;; amdgpu-corpus repo=ROCm/rccl kind=compiled arch=gfx1030 opt=O3
	.amdgcn_target "amdgcn-amd-amdhsa--gfx1030"
	.amdhsa_code_object_version 6
	.text
	.p2align	2                               ; -- Begin function __ockl_fprintf_append_string_n
	.type	__ockl_fprintf_append_string_n,@function
__ockl_fprintf_append_string_n:         ; @__ockl_fprintf_append_string_n
; %bb.0:
	s_waitcnt vmcnt(0) expcnt(0) lgkmcnt(0)
	v_or_b32_e32 v2, 2, v0
	v_cmp_eq_u32_e32 vcc_lo, 0, v6
	v_mbcnt_lo_u32_b32 v35, -1, 0
	s_getpc_b64 s[4:5]
	s_add_u32 s4, s4, .str.3@rel32@lo+4
	s_addc_u32 s5, s5, .str.3@rel32@hi+12
	s_mov_b32 s14, 0
	s_cmp_lg_u64 s[4:5], 0
	v_cndmask_b32_e32 v34, v2, v0, vcc_lo
	s_cbranch_scc0 .LBB0_113
; %bb.1:
	s_load_dwordx2 s[6:7], s[8:9], 0x50
	v_and_b32_e32 v0, -3, v34
	s_getpc_b64 s[4:5]
	s_add_u32 s4, s4, .str.3@rel32@lo+4
	s_addc_u32 s5, s5, .str.3@rel32@hi+12
	v_mov_b32_e32 v11, v1
	v_mov_b32_e32 v2, s4
	v_and_b32_e32 v36, 2, v34
	v_mov_b32_e32 v7, 0
	v_mov_b32_e32 v3, s5
	;; [unrolled: 1-line block ×5, first 2 shown]
	s_mov_b32 s15, 0
	s_branch .LBB0_3
.LBB0_2:                                ;   in Loop: Header=BB0_3 Depth=1
	s_or_b32 exec_lo, exec_lo, s12
	v_sub_co_u32 v4, vcc_lo, v4, v30
	v_sub_co_ci_u32_e64 v5, null, v5, v31, vcc_lo
	v_add_co_u32 v2, s4, v2, v30
	v_add_co_ci_u32_e64 v3, null, v3, v31, s4
	v_cmp_eq_u64_e32 vcc_lo, 0, v[4:5]
	s_or_b32 s15, vcc_lo, s15
	s_andn2_b32 exec_lo, exec_lo, s15
	s_cbranch_execz .LBB0_85
.LBB0_3:                                ; =>This Loop Header: Depth=1
                                        ;     Child Loop BB0_6 Depth 2
                                        ;     Child Loop BB0_14 Depth 2
	;; [unrolled: 1-line block ×11, first 2 shown]
	v_cmp_gt_u64_e32 vcc_lo, 56, v[4:5]
	s_mov_b32 s5, exec_lo
	v_cndmask_b32_e32 v31, 0, v5, vcc_lo
	v_cndmask_b32_e32 v30, 56, v4, vcc_lo
	v_add_co_u32 v16, vcc_lo, v2, 8
	v_add_co_ci_u32_e64 v17, null, 0, v3, vcc_lo
	v_cmpx_gt_u64_e32 8, v[4:5]
	s_xor_b32 s5, exec_lo, s5
	s_cbranch_execz .LBB0_9
; %bb.4:                                ;   in Loop: Header=BB0_3 Depth=1
	s_waitcnt vmcnt(0)
	v_mov_b32_e32 v12, 0
	v_mov_b32_e32 v13, 0
	s_mov_b32 s12, exec_lo
	v_cmpx_ne_u64_e32 0, v[4:5]
	s_cbranch_execz .LBB0_8
; %bb.5:                                ;   in Loop: Header=BB0_3 Depth=1
	v_lshlrev_b64 v[14:15], 3, v[30:31]
	v_mov_b32_e32 v12, 0
	v_mov_b32_e32 v16, v3
	;; [unrolled: 1-line block ×4, first 2 shown]
	s_mov_b64 s[10:11], 0
	s_mov_b32 s13, 0
	.p2align	6
.LBB0_6:                                ;   Parent Loop BB0_3 Depth=1
                                        ; =>  This Inner Loop Header: Depth=2
	global_load_ubyte v0, v[15:16], off
	v_mov_b32_e32 v18, s14
	v_add_co_u32 v15, vcc_lo, v15, 1
	v_add_co_ci_u32_e64 v16, null, 0, v16, vcc_lo
	s_waitcnt vmcnt(0)
	v_and_b32_e32 v17, 0xffff, v0
	v_lshlrev_b64 v[17:18], s10, v[17:18]
	s_add_u32 s10, s10, 8
	s_addc_u32 s11, s11, 0
	v_cmp_eq_u32_e64 s4, s10, v14
	v_or_b32_e32 v13, v18, v13
	v_or_b32_e32 v12, v17, v12
	s_or_b32 s13, s4, s13
	s_andn2_b32 exec_lo, exec_lo, s13
	s_cbranch_execnz .LBB0_6
; %bb.7:                                ;   in Loop: Header=BB0_3 Depth=1
	s_or_b32 exec_lo, exec_lo, s13
.LBB0_8:                                ;   in Loop: Header=BB0_3 Depth=1
	s_or_b32 exec_lo, exec_lo, s12
	v_mov_b32_e32 v17, v3
	v_mov_b32_e32 v16, v2
.LBB0_9:                                ;   in Loop: Header=BB0_3 Depth=1
	s_or_saveexec_b32 s4, s5
	v_mov_b32_e32 v0, 0
	s_xor_b32 exec_lo, exec_lo, s4
	s_cbranch_execz .LBB0_11
; %bb.10:                               ;   in Loop: Header=BB0_3 Depth=1
	global_load_dwordx2 v[12:13], v[2:3], off
	v_add_nc_u32_e32 v0, -8, v30
.LBB0_11:                               ;   in Loop: Header=BB0_3 Depth=1
	s_or_b32 exec_lo, exec_lo, s4
	v_add_co_u32 v18, s4, v16, 8
	v_add_co_ci_u32_e64 v19, null, 0, v17, s4
                                        ; implicit-def: $vgpr14_vgpr15
	s_mov_b32 s4, exec_lo
	v_cmpx_gt_u32_e32 8, v0
	s_xor_b32 s12, exec_lo, s4
	s_cbranch_execz .LBB0_17
; %bb.12:                               ;   in Loop: Header=BB0_3 Depth=1
	v_mov_b32_e32 v14, 0
	v_mov_b32_e32 v15, 0
	s_mov_b32 s13, exec_lo
	v_cmpx_ne_u32_e32 0, v0
	s_cbranch_execz .LBB0_16
; %bb.13:                               ;   in Loop: Header=BB0_3 Depth=1
	v_mov_b32_e32 v14, 0
	v_mov_b32_e32 v15, 0
	s_mov_b64 s[4:5], 0
	s_mov_b32 s16, 0
	s_mov_b64 s[10:11], 0
	.p2align	6
.LBB0_14:                               ;   Parent Loop BB0_3 Depth=1
                                        ; =>  This Inner Loop Header: Depth=2
	v_add_co_u32 v18, vcc_lo, v16, s10
	v_add_co_ci_u32_e64 v19, null, s11, v17, vcc_lo
	s_add_u32 s10, s10, 1
	s_addc_u32 s11, s11, 0
	v_cmp_eq_u32_e32 vcc_lo, s10, v0
	global_load_ubyte v6, v[18:19], off
	v_mov_b32_e32 v19, s14
	s_waitcnt vmcnt(0)
	v_and_b32_e32 v18, 0xffff, v6
	v_lshlrev_b64 v[18:19], s4, v[18:19]
	s_add_u32 s4, s4, 8
	s_addc_u32 s5, s5, 0
	s_or_b32 s16, vcc_lo, s16
	v_or_b32_e32 v15, v19, v15
	v_or_b32_e32 v14, v18, v14
	s_andn2_b32 exec_lo, exec_lo, s16
	s_cbranch_execnz .LBB0_14
; %bb.15:                               ;   in Loop: Header=BB0_3 Depth=1
	s_or_b32 exec_lo, exec_lo, s16
.LBB0_16:                               ;   in Loop: Header=BB0_3 Depth=1
	s_or_b32 exec_lo, exec_lo, s13
	v_mov_b32_e32 v19, v17
	v_mov_b32_e32 v18, v16
                                        ; implicit-def: $vgpr0
.LBB0_17:                               ;   in Loop: Header=BB0_3 Depth=1
	s_or_saveexec_b32 s4, s12
	v_mov_b32_e32 v6, 0
	s_xor_b32 exec_lo, exec_lo, s4
	s_cbranch_execz .LBB0_19
; %bb.18:                               ;   in Loop: Header=BB0_3 Depth=1
	global_load_dwordx2 v[14:15], v[16:17], off
	v_add_nc_u32_e32 v6, -8, v0
.LBB0_19:                               ;   in Loop: Header=BB0_3 Depth=1
	s_or_b32 exec_lo, exec_lo, s4
	v_add_co_u32 v20, s4, v18, 8
	v_add_co_ci_u32_e64 v21, null, 0, v19, s4
	s_mov_b32 s4, exec_lo
	v_cmpx_gt_u32_e32 8, v6
	s_xor_b32 s12, exec_lo, s4
	s_cbranch_execz .LBB0_25
; %bb.20:                               ;   in Loop: Header=BB0_3 Depth=1
	v_mov_b32_e32 v16, 0
	v_mov_b32_e32 v17, 0
	s_mov_b32 s13, exec_lo
	v_cmpx_ne_u32_e32 0, v6
	s_cbranch_execz .LBB0_24
; %bb.21:                               ;   in Loop: Header=BB0_3 Depth=1
	v_mov_b32_e32 v16, 0
	v_mov_b32_e32 v17, 0
	s_mov_b64 s[4:5], 0
	s_mov_b32 s16, 0
	s_mov_b64 s[10:11], 0
	.p2align	6
.LBB0_22:                               ;   Parent Loop BB0_3 Depth=1
                                        ; =>  This Inner Loop Header: Depth=2
	v_add_co_u32 v20, vcc_lo, v18, s10
	v_add_co_ci_u32_e64 v21, null, s11, v19, vcc_lo
	s_add_u32 s10, s10, 1
	s_addc_u32 s11, s11, 0
	v_cmp_eq_u32_e32 vcc_lo, s10, v6
	global_load_ubyte v0, v[20:21], off
	v_mov_b32_e32 v21, s14
	s_waitcnt vmcnt(0)
	v_and_b32_e32 v20, 0xffff, v0
	v_lshlrev_b64 v[20:21], s4, v[20:21]
	s_add_u32 s4, s4, 8
	s_addc_u32 s5, s5, 0
	s_or_b32 s16, vcc_lo, s16
	v_or_b32_e32 v17, v21, v17
	v_or_b32_e32 v16, v20, v16
	s_andn2_b32 exec_lo, exec_lo, s16
	s_cbranch_execnz .LBB0_22
; %bb.23:                               ;   in Loop: Header=BB0_3 Depth=1
	s_or_b32 exec_lo, exec_lo, s16
.LBB0_24:                               ;   in Loop: Header=BB0_3 Depth=1
	s_or_b32 exec_lo, exec_lo, s13
	v_mov_b32_e32 v21, v19
	v_mov_b32_e32 v20, v18
                                        ; implicit-def: $vgpr6
.LBB0_25:                               ;   in Loop: Header=BB0_3 Depth=1
	s_or_saveexec_b32 s4, s12
	v_mov_b32_e32 v0, 0
	s_xor_b32 exec_lo, exec_lo, s4
	s_cbranch_execz .LBB0_27
; %bb.26:                               ;   in Loop: Header=BB0_3 Depth=1
	global_load_dwordx2 v[16:17], v[18:19], off
	v_add_nc_u32_e32 v0, -8, v6
.LBB0_27:                               ;   in Loop: Header=BB0_3 Depth=1
	s_or_b32 exec_lo, exec_lo, s4
	v_add_co_u32 v22, s4, v20, 8
	v_add_co_ci_u32_e64 v23, null, 0, v21, s4
                                        ; implicit-def: $vgpr18_vgpr19
	s_mov_b32 s4, exec_lo
	v_cmpx_gt_u32_e32 8, v0
	s_xor_b32 s12, exec_lo, s4
	s_cbranch_execz .LBB0_33
; %bb.28:                               ;   in Loop: Header=BB0_3 Depth=1
	v_mov_b32_e32 v18, 0
	v_mov_b32_e32 v19, 0
	s_mov_b32 s13, exec_lo
	v_cmpx_ne_u32_e32 0, v0
	s_cbranch_execz .LBB0_32
; %bb.29:                               ;   in Loop: Header=BB0_3 Depth=1
	v_mov_b32_e32 v18, 0
	v_mov_b32_e32 v19, 0
	s_mov_b64 s[4:5], 0
	s_mov_b32 s16, 0
	s_mov_b64 s[10:11], 0
	.p2align	6
.LBB0_30:                               ;   Parent Loop BB0_3 Depth=1
                                        ; =>  This Inner Loop Header: Depth=2
	v_add_co_u32 v22, vcc_lo, v20, s10
	v_add_co_ci_u32_e64 v23, null, s11, v21, vcc_lo
	s_add_u32 s10, s10, 1
	s_addc_u32 s11, s11, 0
	v_cmp_eq_u32_e32 vcc_lo, s10, v0
	global_load_ubyte v6, v[22:23], off
	v_mov_b32_e32 v23, s14
	s_waitcnt vmcnt(0)
	v_and_b32_e32 v22, 0xffff, v6
	v_lshlrev_b64 v[22:23], s4, v[22:23]
	s_add_u32 s4, s4, 8
	s_addc_u32 s5, s5, 0
	s_or_b32 s16, vcc_lo, s16
	v_or_b32_e32 v19, v23, v19
	v_or_b32_e32 v18, v22, v18
	s_andn2_b32 exec_lo, exec_lo, s16
	s_cbranch_execnz .LBB0_30
; %bb.31:                               ;   in Loop: Header=BB0_3 Depth=1
	s_or_b32 exec_lo, exec_lo, s16
.LBB0_32:                               ;   in Loop: Header=BB0_3 Depth=1
	s_or_b32 exec_lo, exec_lo, s13
	v_mov_b32_e32 v23, v21
	v_mov_b32_e32 v22, v20
                                        ; implicit-def: $vgpr0
.LBB0_33:                               ;   in Loop: Header=BB0_3 Depth=1
	s_or_saveexec_b32 s4, s12
	v_mov_b32_e32 v6, 0
	s_xor_b32 exec_lo, exec_lo, s4
	s_cbranch_execz .LBB0_35
; %bb.34:                               ;   in Loop: Header=BB0_3 Depth=1
	global_load_dwordx2 v[18:19], v[20:21], off
	v_add_nc_u32_e32 v6, -8, v0
.LBB0_35:                               ;   in Loop: Header=BB0_3 Depth=1
	s_or_b32 exec_lo, exec_lo, s4
	v_add_co_u32 v24, s4, v22, 8
	v_add_co_ci_u32_e64 v25, null, 0, v23, s4
	s_mov_b32 s4, exec_lo
	v_cmpx_gt_u32_e32 8, v6
	s_xor_b32 s12, exec_lo, s4
	s_cbranch_execz .LBB0_41
; %bb.36:                               ;   in Loop: Header=BB0_3 Depth=1
	v_mov_b32_e32 v20, 0
	v_mov_b32_e32 v21, 0
	s_mov_b32 s13, exec_lo
	v_cmpx_ne_u32_e32 0, v6
	s_cbranch_execz .LBB0_40
; %bb.37:                               ;   in Loop: Header=BB0_3 Depth=1
	v_mov_b32_e32 v20, 0
	v_mov_b32_e32 v21, 0
	s_mov_b64 s[4:5], 0
	s_mov_b32 s16, 0
	s_mov_b64 s[10:11], 0
	.p2align	6
.LBB0_38:                               ;   Parent Loop BB0_3 Depth=1
                                        ; =>  This Inner Loop Header: Depth=2
	v_add_co_u32 v24, vcc_lo, v22, s10
	v_add_co_ci_u32_e64 v25, null, s11, v23, vcc_lo
	s_add_u32 s10, s10, 1
	s_addc_u32 s11, s11, 0
	v_cmp_eq_u32_e32 vcc_lo, s10, v6
	global_load_ubyte v0, v[24:25], off
	v_mov_b32_e32 v25, s14
	s_waitcnt vmcnt(0)
	v_and_b32_e32 v24, 0xffff, v0
	v_lshlrev_b64 v[24:25], s4, v[24:25]
	s_add_u32 s4, s4, 8
	s_addc_u32 s5, s5, 0
	s_or_b32 s16, vcc_lo, s16
	v_or_b32_e32 v21, v25, v21
	v_or_b32_e32 v20, v24, v20
	s_andn2_b32 exec_lo, exec_lo, s16
	s_cbranch_execnz .LBB0_38
; %bb.39:                               ;   in Loop: Header=BB0_3 Depth=1
	s_or_b32 exec_lo, exec_lo, s16
.LBB0_40:                               ;   in Loop: Header=BB0_3 Depth=1
	s_or_b32 exec_lo, exec_lo, s13
	v_mov_b32_e32 v25, v23
	v_mov_b32_e32 v24, v22
                                        ; implicit-def: $vgpr6
.LBB0_41:                               ;   in Loop: Header=BB0_3 Depth=1
	s_or_saveexec_b32 s4, s12
	v_mov_b32_e32 v0, 0
	s_xor_b32 exec_lo, exec_lo, s4
	s_cbranch_execz .LBB0_43
; %bb.42:                               ;   in Loop: Header=BB0_3 Depth=1
	global_load_dwordx2 v[20:21], v[22:23], off
	v_add_nc_u32_e32 v0, -8, v6
.LBB0_43:                               ;   in Loop: Header=BB0_3 Depth=1
	s_or_b32 exec_lo, exec_lo, s4
	v_add_co_u32 v26, s4, v24, 8
	v_add_co_ci_u32_e64 v27, null, 0, v25, s4
                                        ; implicit-def: $vgpr22_vgpr23
	s_mov_b32 s4, exec_lo
	v_cmpx_gt_u32_e32 8, v0
	s_xor_b32 s12, exec_lo, s4
	s_cbranch_execz .LBB0_49
; %bb.44:                               ;   in Loop: Header=BB0_3 Depth=1
	v_mov_b32_e32 v22, 0
	v_mov_b32_e32 v23, 0
	s_mov_b32 s13, exec_lo
	v_cmpx_ne_u32_e32 0, v0
	s_cbranch_execz .LBB0_48
; %bb.45:                               ;   in Loop: Header=BB0_3 Depth=1
	v_mov_b32_e32 v22, 0
	v_mov_b32_e32 v23, 0
	s_mov_b64 s[4:5], 0
	s_mov_b32 s16, 0
	s_mov_b64 s[10:11], 0
	.p2align	6
.LBB0_46:                               ;   Parent Loop BB0_3 Depth=1
                                        ; =>  This Inner Loop Header: Depth=2
	v_add_co_u32 v26, vcc_lo, v24, s10
	v_add_co_ci_u32_e64 v27, null, s11, v25, vcc_lo
	s_add_u32 s10, s10, 1
	s_addc_u32 s11, s11, 0
	v_cmp_eq_u32_e32 vcc_lo, s10, v0
	global_load_ubyte v6, v[26:27], off
	v_mov_b32_e32 v27, s14
	s_waitcnt vmcnt(0)
	v_and_b32_e32 v26, 0xffff, v6
	v_lshlrev_b64 v[26:27], s4, v[26:27]
	s_add_u32 s4, s4, 8
	s_addc_u32 s5, s5, 0
	s_or_b32 s16, vcc_lo, s16
	v_or_b32_e32 v23, v27, v23
	v_or_b32_e32 v22, v26, v22
	s_andn2_b32 exec_lo, exec_lo, s16
	s_cbranch_execnz .LBB0_46
; %bb.47:                               ;   in Loop: Header=BB0_3 Depth=1
	s_or_b32 exec_lo, exec_lo, s16
.LBB0_48:                               ;   in Loop: Header=BB0_3 Depth=1
	s_or_b32 exec_lo, exec_lo, s13
	v_mov_b32_e32 v27, v25
	v_mov_b32_e32 v26, v24
                                        ; implicit-def: $vgpr0
.LBB0_49:                               ;   in Loop: Header=BB0_3 Depth=1
	s_or_saveexec_b32 s4, s12
	v_mov_b32_e32 v6, 0
	s_xor_b32 exec_lo, exec_lo, s4
	s_cbranch_execz .LBB0_51
; %bb.50:                               ;   in Loop: Header=BB0_3 Depth=1
	global_load_dwordx2 v[22:23], v[24:25], off
	v_add_nc_u32_e32 v6, -8, v0
.LBB0_51:                               ;   in Loop: Header=BB0_3 Depth=1
	s_or_b32 exec_lo, exec_lo, s4
	s_mov_b32 s4, exec_lo
	v_cmpx_gt_u32_e32 8, v6
	s_xor_b32 s10, exec_lo, s4
	s_cbranch_execz .LBB0_57
; %bb.52:                               ;   in Loop: Header=BB0_3 Depth=1
	v_mov_b32_e32 v24, 0
	v_mov_b32_e32 v25, 0
	s_mov_b32 s11, exec_lo
	v_cmpx_ne_u32_e32 0, v6
	s_cbranch_execz .LBB0_56
; %bb.53:                               ;   in Loop: Header=BB0_3 Depth=1
	v_mov_b32_e32 v24, 0
	v_mov_b32_e32 v25, 0
	s_mov_b64 s[4:5], 0
	s_mov_b32 s12, 0
	.p2align	6
.LBB0_54:                               ;   Parent Loop BB0_3 Depth=1
                                        ; =>  This Inner Loop Header: Depth=2
	global_load_ubyte v0, v[26:27], off
	v_mov_b32_e32 v29, s14
	v_add_nc_u32_e32 v6, -1, v6
	v_add_co_u32 v26, vcc_lo, v26, 1
	v_add_co_ci_u32_e64 v27, null, 0, v27, vcc_lo
	v_cmp_eq_u32_e32 vcc_lo, 0, v6
	s_waitcnt vmcnt(0)
	v_and_b32_e32 v28, 0xffff, v0
	v_lshlrev_b64 v[28:29], s4, v[28:29]
	s_add_u32 s4, s4, 8
	s_addc_u32 s5, s5, 0
	s_or_b32 s12, vcc_lo, s12
	v_or_b32_e32 v25, v29, v25
	v_or_b32_e32 v24, v28, v24
	s_andn2_b32 exec_lo, exec_lo, s12
	s_cbranch_execnz .LBB0_54
; %bb.55:                               ;   in Loop: Header=BB0_3 Depth=1
	s_or_b32 exec_lo, exec_lo, s12
.LBB0_56:                               ;   in Loop: Header=BB0_3 Depth=1
	s_or_b32 exec_lo, exec_lo, s11
                                        ; implicit-def: $vgpr26_vgpr27
.LBB0_57:                               ;   in Loop: Header=BB0_3 Depth=1
	s_andn2_saveexec_b32 s4, s10
	s_cbranch_execz .LBB0_59
; %bb.58:                               ;   in Loop: Header=BB0_3 Depth=1
	global_load_dwordx2 v[24:25], v[26:27], off
.LBB0_59:                               ;   in Loop: Header=BB0_3 Depth=1
	s_or_b32 exec_lo, exec_lo, s4
	v_readfirstlane_b32 s4, v35
	v_mov_b32_e32 v32, 0
	v_mov_b32_e32 v33, 0
	v_cmp_eq_u32_e64 s4, s4, v35
	s_and_saveexec_b32 s5, s4
	s_cbranch_execz .LBB0_65
; %bb.60:                               ;   in Loop: Header=BB0_3 Depth=1
	s_waitcnt lgkmcnt(0)
	global_load_dwordx2 v[28:29], v7, s[6:7] offset:24 glc dlc
	s_waitcnt vmcnt(0)
	buffer_gl1_inv
	buffer_gl0_inv
	s_clause 0x1
	global_load_dwordx2 v[26:27], v7, s[6:7] offset:40
	global_load_dwordx2 v[32:33], v7, s[6:7]
	s_mov_b32 s10, exec_lo
	s_waitcnt vmcnt(1)
	v_and_b32_e32 v0, v27, v29
	v_and_b32_e32 v6, v26, v28
	v_mul_lo_u32 v0, v0, 24
	v_mul_hi_u32 v26, v6, 24
	v_mul_lo_u32 v6, v6, 24
	v_add_nc_u32_e32 v0, v26, v0
	s_waitcnt vmcnt(0)
	v_add_co_u32 v26, vcc_lo, v32, v6
	v_add_co_ci_u32_e64 v27, null, v33, v0, vcc_lo
	global_load_dwordx2 v[26:27], v[26:27], off glc dlc
	s_waitcnt vmcnt(0)
	global_atomic_cmpswap_x2 v[32:33], v7, v[26:29], s[6:7] offset:24 glc
	s_waitcnt vmcnt(0)
	buffer_gl1_inv
	buffer_gl0_inv
	v_cmpx_ne_u64_e64 v[32:33], v[28:29]
	s_cbranch_execz .LBB0_64
; %bb.61:                               ;   in Loop: Header=BB0_3 Depth=1
	s_mov_b32 s11, 0
	.p2align	6
.LBB0_62:                               ;   Parent Loop BB0_3 Depth=1
                                        ; =>  This Inner Loop Header: Depth=2
	s_sleep 1
	s_clause 0x1
	global_load_dwordx2 v[26:27], v7, s[6:7] offset:40
	global_load_dwordx2 v[37:38], v7, s[6:7]
	v_mov_b32_e32 v28, v32
	v_mov_b32_e32 v29, v33
	s_waitcnt vmcnt(1)
	v_and_b32_e32 v0, v26, v28
	v_and_b32_e32 v6, v27, v29
	s_waitcnt vmcnt(0)
	v_mad_u64_u32 v[32:33], null, v0, 24, v[37:38]
	v_mov_b32_e32 v0, v33
	v_mad_u64_u32 v[26:27], null, v6, 24, v[0:1]
	v_mov_b32_e32 v33, v26
	global_load_dwordx2 v[26:27], v[32:33], off glc dlc
	s_waitcnt vmcnt(0)
	global_atomic_cmpswap_x2 v[32:33], v7, v[26:29], s[6:7] offset:24 glc
	s_waitcnt vmcnt(0)
	buffer_gl1_inv
	buffer_gl0_inv
	v_cmp_eq_u64_e32 vcc_lo, v[32:33], v[28:29]
	s_or_b32 s11, vcc_lo, s11
	s_andn2_b32 exec_lo, exec_lo, s11
	s_cbranch_execnz .LBB0_62
; %bb.63:                               ;   in Loop: Header=BB0_3 Depth=1
	s_or_b32 exec_lo, exec_lo, s11
.LBB0_64:                               ;   in Loop: Header=BB0_3 Depth=1
	s_or_b32 exec_lo, exec_lo, s10
.LBB0_65:                               ;   in Loop: Header=BB0_3 Depth=1
	s_or_b32 exec_lo, exec_lo, s5
	s_waitcnt lgkmcnt(0)
	s_clause 0x1
	global_load_dwordx2 v[37:38], v7, s[6:7] offset:40
	global_load_dwordx4 v[26:29], v7, s[6:7]
	v_readfirstlane_b32 s11, v33
	v_readfirstlane_b32 s10, v32
	s_mov_b32 s5, exec_lo
	s_waitcnt vmcnt(1)
	v_readfirstlane_b32 s12, v37
	v_readfirstlane_b32 s13, v38
	s_and_b64 s[12:13], s[12:13], s[10:11]
	s_mul_i32 s16, s13, 24
	s_mul_hi_u32 s17, s12, 24
	s_mul_i32 s18, s12, 24
	s_add_i32 s17, s17, s16
	s_waitcnt vmcnt(0)
	v_add_co_u32 v32, vcc_lo, v26, s18
	v_add_co_ci_u32_e64 v33, null, s17, v27, vcc_lo
	s_and_saveexec_b32 s16, s4
	s_cbranch_execz .LBB0_67
; %bb.66:                               ;   in Loop: Header=BB0_3 Depth=1
	v_mov_b32_e32 v6, s5
	global_store_dwordx4 v[32:33], v[6:9], off offset:8
.LBB0_67:                               ;   in Loop: Header=BB0_3 Depth=1
	s_or_b32 exec_lo, exec_lo, s16
	v_cmp_gt_u64_e32 vcc_lo, 57, v[4:5]
	s_lshl_b64 s[12:13], s[12:13], 12
	v_and_b32_e32 v10, 0xffffff1f, v10
	v_lshl_add_u32 v37, v30, 2, 28
	v_cndmask_b32_e32 v6, 0, v36, vcc_lo
	v_add_co_u32 v0, vcc_lo, v28, s12
	v_add_co_ci_u32_e64 v28, null, s13, v29, vcc_lo
	v_or_b32_e32 v6, v10, v6
	v_lshlrev_b32_e32 v29, 6, v35
	v_readfirstlane_b32 s12, v0
	v_readfirstlane_b32 s13, v28
	v_and_or_b32 v10, 0x1e0, v37, v6
	global_store_dwordx4 v29, v[14:17], s[12:13] offset:16
	global_store_dwordx4 v29, v[10:13], s[12:13]
	global_store_dwordx4 v29, v[18:21], s[12:13] offset:32
	global_store_dwordx4 v29, v[22:25], s[12:13] offset:48
	s_and_saveexec_b32 s5, s4
	s_cbranch_execz .LBB0_75
; %bb.68:                               ;   in Loop: Header=BB0_3 Depth=1
	s_clause 0x1
	global_load_dwordx2 v[18:19], v7, s[6:7] offset:32 glc dlc
	global_load_dwordx2 v[10:11], v7, s[6:7] offset:40
	v_mov_b32_e32 v16, s10
	v_mov_b32_e32 v17, s11
	s_waitcnt vmcnt(0)
	v_readfirstlane_b32 s12, v10
	v_readfirstlane_b32 s13, v11
	s_and_b64 s[12:13], s[12:13], s[10:11]
	s_mul_i32 s13, s13, 24
	s_mul_hi_u32 s16, s12, 24
	s_mul_i32 s12, s12, 24
	s_add_i32 s16, s16, s13
	v_add_co_u32 v14, vcc_lo, v26, s12
	v_add_co_ci_u32_e64 v15, null, s16, v27, vcc_lo
	s_mov_b32 s12, exec_lo
	global_store_dwordx2 v[14:15], v[18:19], off
	s_waitcnt_vscnt null, 0x0
	global_atomic_cmpswap_x2 v[12:13], v7, v[16:19], s[6:7] offset:32 glc
	s_waitcnt vmcnt(0)
	v_cmpx_ne_u64_e64 v[12:13], v[18:19]
	s_cbranch_execz .LBB0_71
; %bb.69:                               ;   in Loop: Header=BB0_3 Depth=1
	s_mov_b32 s13, 0
.LBB0_70:                               ;   Parent Loop BB0_3 Depth=1
                                        ; =>  This Inner Loop Header: Depth=2
	v_mov_b32_e32 v10, s10
	v_mov_b32_e32 v11, s11
	s_sleep 1
	global_store_dwordx2 v[14:15], v[12:13], off
	s_waitcnt_vscnt null, 0x0
	global_atomic_cmpswap_x2 v[10:11], v7, v[10:13], s[6:7] offset:32 glc
	s_waitcnt vmcnt(0)
	v_cmp_eq_u64_e32 vcc_lo, v[10:11], v[12:13]
	v_mov_b32_e32 v13, v11
	v_mov_b32_e32 v12, v10
	s_or_b32 s13, vcc_lo, s13
	s_andn2_b32 exec_lo, exec_lo, s13
	s_cbranch_execnz .LBB0_70
.LBB0_71:                               ;   in Loop: Header=BB0_3 Depth=1
	s_or_b32 exec_lo, exec_lo, s12
	global_load_dwordx2 v[10:11], v7, s[6:7] offset:16
	s_mov_b32 s13, exec_lo
	s_mov_b32 s12, exec_lo
	v_mbcnt_lo_u32_b32 v6, s13, 0
	v_cmpx_eq_u32_e32 0, v6
	s_cbranch_execz .LBB0_73
; %bb.72:                               ;   in Loop: Header=BB0_3 Depth=1
	s_bcnt1_i32_b32 s13, s13
	v_mov_b32_e32 v6, s13
	s_waitcnt vmcnt(0)
	global_atomic_add_x2 v[10:11], v[6:7], off offset:8
.LBB0_73:                               ;   in Loop: Header=BB0_3 Depth=1
	s_or_b32 exec_lo, exec_lo, s12
	s_waitcnt vmcnt(0)
	global_load_dwordx2 v[12:13], v[10:11], off offset:16
	s_waitcnt vmcnt(0)
	v_cmp_eq_u64_e32 vcc_lo, 0, v[12:13]
	s_cbranch_vccnz .LBB0_75
; %bb.74:                               ;   in Loop: Header=BB0_3 Depth=1
	global_load_dword v6, v[10:11], off offset:24
	s_waitcnt vmcnt(0)
	v_readfirstlane_b32 s12, v6
	s_waitcnt_vscnt null, 0x0
	global_store_dwordx2 v[12:13], v[6:7], off
	s_and_b32 m0, s12, 0x7fffff
	s_sendmsg sendmsg(MSG_INTERRUPT)
.LBB0_75:                               ;   in Loop: Header=BB0_3 Depth=1
	s_or_b32 exec_lo, exec_lo, s5
	v_add_co_u32 v10, vcc_lo, v0, v29
	v_add_co_ci_u32_e64 v11, null, 0, v28, vcc_lo
	s_branch .LBB0_79
	.p2align	6
.LBB0_76:                               ;   in Loop: Header=BB0_79 Depth=2
	s_or_b32 exec_lo, exec_lo, s5
	v_readfirstlane_b32 s5, v0
	s_cmp_eq_u32 s5, 0
	s_cbranch_scc1 .LBB0_78
; %bb.77:                               ;   in Loop: Header=BB0_79 Depth=2
	s_sleep 1
	s_cbranch_execnz .LBB0_79
	s_branch .LBB0_81
	.p2align	6
.LBB0_78:                               ;   in Loop: Header=BB0_3 Depth=1
	s_branch .LBB0_81
.LBB0_79:                               ;   Parent Loop BB0_3 Depth=1
                                        ; =>  This Inner Loop Header: Depth=2
	v_mov_b32_e32 v0, 1
	s_and_saveexec_b32 s5, s4
	s_cbranch_execz .LBB0_76
; %bb.80:                               ;   in Loop: Header=BB0_79 Depth=2
	global_load_dword v0, v[32:33], off offset:20 glc dlc
	s_waitcnt vmcnt(0)
	buffer_gl1_inv
	buffer_gl0_inv
	v_and_b32_e32 v0, 1, v0
	s_branch .LBB0_76
.LBB0_81:                               ;   in Loop: Header=BB0_3 Depth=1
	global_load_dwordx4 v[10:13], v[10:11], off
	s_and_saveexec_b32 s12, s4
	s_cbranch_execz .LBB0_2
; %bb.82:                               ;   in Loop: Header=BB0_3 Depth=1
	s_clause 0x2
	global_load_dwordx2 v[12:13], v7, s[6:7] offset:40
	global_load_dwordx2 v[20:21], v7, s[6:7] offset:24 glc dlc
	global_load_dwordx2 v[14:15], v7, s[6:7]
	s_waitcnt vmcnt(2)
	v_readfirstlane_b32 s16, v12
	v_readfirstlane_b32 s17, v13
	s_add_u32 s13, s16, 1
	s_addc_u32 s18, s17, 0
	s_add_u32 s4, s13, s10
	s_addc_u32 s5, s18, s11
	s_cmp_eq_u64 s[4:5], 0
	s_cselect_b32 s5, s18, s5
	s_cselect_b32 s4, s13, s4
	v_mov_b32_e32 v19, s5
	s_and_b64 s[10:11], s[4:5], s[16:17]
	v_mov_b32_e32 v18, s4
	s_mul_i32 s11, s11, 24
	s_mul_hi_u32 s13, s10, 24
	s_mul_i32 s10, s10, 24
	s_add_i32 s13, s13, s11
	s_waitcnt vmcnt(0)
	v_add_co_u32 v16, vcc_lo, v14, s10
	v_add_co_ci_u32_e64 v17, null, s13, v15, vcc_lo
	global_store_dwordx2 v[16:17], v[20:21], off
	s_waitcnt_vscnt null, 0x0
	global_atomic_cmpswap_x2 v[14:15], v7, v[18:21], s[6:7] offset:24 glc
	s_waitcnt vmcnt(0)
	v_cmp_ne_u64_e32 vcc_lo, v[14:15], v[20:21]
	s_and_b32 exec_lo, exec_lo, vcc_lo
	s_cbranch_execz .LBB0_2
; %bb.83:                               ;   in Loop: Header=BB0_3 Depth=1
	s_mov_b32 s10, 0
.LBB0_84:                               ;   Parent Loop BB0_3 Depth=1
                                        ; =>  This Inner Loop Header: Depth=2
	v_mov_b32_e32 v12, s4
	v_mov_b32_e32 v13, s5
	s_sleep 1
	global_store_dwordx2 v[16:17], v[14:15], off
	s_waitcnt_vscnt null, 0x0
	global_atomic_cmpswap_x2 v[12:13], v7, v[12:15], s[6:7] offset:24 glc
	s_waitcnt vmcnt(0)
	v_cmp_eq_u64_e32 vcc_lo, v[12:13], v[14:15]
	v_mov_b32_e32 v15, v13
	v_mov_b32_e32 v14, v12
	s_or_b32 s10, vcc_lo, s10
	s_andn2_b32 exec_lo, exec_lo, s10
	s_cbranch_execnz .LBB0_84
	s_branch .LBB0_2
.LBB0_85:
	s_or_b32 exec_lo, exec_lo, s15
	s_branch .LBB0_114
.LBB0_86:
	s_load_dwordx2 s[6:7], s[8:9], 0x50
	v_readfirstlane_b32 s4, v35
	v_mov_b32_e32 v8, 0
	v_mov_b32_e32 v9, 0
	v_cmp_eq_u32_e64 s4, s4, v35
	s_and_saveexec_b32 s5, s4
	s_cbranch_execz .LBB0_92
; %bb.87:
	v_mov_b32_e32 v0, 0
	s_mov_b32 s8, exec_lo
	s_waitcnt lgkmcnt(0)
	global_load_dwordx2 v[4:5], v0, s[6:7] offset:24 glc dlc
	s_waitcnt vmcnt(0)
	buffer_gl1_inv
	buffer_gl0_inv
	s_clause 0x1
	global_load_dwordx2 v[2:3], v0, s[6:7] offset:40
	global_load_dwordx2 v[6:7], v0, s[6:7]
	s_waitcnt vmcnt(1)
	v_and_b32_e32 v3, v3, v5
	v_and_b32_e32 v2, v2, v4
	v_mul_lo_u32 v3, v3, 24
	v_mul_hi_u32 v8, v2, 24
	v_mul_lo_u32 v2, v2, 24
	v_add_nc_u32_e32 v3, v8, v3
	s_waitcnt vmcnt(0)
	v_add_co_u32 v2, vcc_lo, v6, v2
	v_add_co_ci_u32_e64 v3, null, v7, v3, vcc_lo
	global_load_dwordx2 v[2:3], v[2:3], off glc dlc
	s_waitcnt vmcnt(0)
	global_atomic_cmpswap_x2 v[8:9], v0, v[2:5], s[6:7] offset:24 glc
	s_waitcnt vmcnt(0)
	buffer_gl1_inv
	buffer_gl0_inv
	v_cmpx_ne_u64_e64 v[8:9], v[4:5]
	s_cbranch_execz .LBB0_91
; %bb.88:
	s_mov_b32 s9, 0
	.p2align	6
.LBB0_89:                               ; =>This Inner Loop Header: Depth=1
	s_sleep 1
	s_clause 0x1
	global_load_dwordx2 v[2:3], v0, s[6:7] offset:40
	global_load_dwordx2 v[6:7], v0, s[6:7]
	v_mov_b32_e32 v4, v8
	v_mov_b32_e32 v5, v9
	s_waitcnt vmcnt(1)
	v_and_b32_e32 v2, v2, v4
	v_and_b32_e32 v3, v3, v5
	s_waitcnt vmcnt(0)
	v_mad_u64_u32 v[6:7], null, v2, 24, v[6:7]
	v_mov_b32_e32 v2, v7
	v_mad_u64_u32 v[2:3], null, v3, 24, v[2:3]
	v_mov_b32_e32 v7, v2
	global_load_dwordx2 v[2:3], v[6:7], off glc dlc
	s_waitcnt vmcnt(0)
	global_atomic_cmpswap_x2 v[8:9], v0, v[2:5], s[6:7] offset:24 glc
	s_waitcnt vmcnt(0)
	buffer_gl1_inv
	buffer_gl0_inv
	v_cmp_eq_u64_e32 vcc_lo, v[8:9], v[4:5]
	s_or_b32 s9, vcc_lo, s9
	s_andn2_b32 exec_lo, exec_lo, s9
	s_cbranch_execnz .LBB0_89
; %bb.90:
	s_or_b32 exec_lo, exec_lo, s9
.LBB0_91:
	s_or_b32 exec_lo, exec_lo, s8
.LBB0_92:
	s_or_b32 exec_lo, exec_lo, s5
	v_mov_b32_e32 v2, 0
	v_readfirstlane_b32 s9, v9
	v_readfirstlane_b32 s8, v8
	s_mov_b32 s5, exec_lo
	s_waitcnt lgkmcnt(0)
	s_clause 0x1
	global_load_dwordx2 v[10:11], v2, s[6:7] offset:40
	global_load_dwordx4 v[4:7], v2, s[6:7]
	s_waitcnt vmcnt(1)
	v_readfirstlane_b32 s10, v10
	v_readfirstlane_b32 s11, v11
	s_and_b64 s[10:11], s[10:11], s[8:9]
	s_mul_i32 s12, s11, 24
	s_mul_hi_u32 s13, s10, 24
	s_mul_i32 s14, s10, 24
	s_add_i32 s13, s13, s12
	s_waitcnt vmcnt(0)
	v_add_co_u32 v8, vcc_lo, v4, s14
	v_add_co_ci_u32_e64 v9, null, s13, v5, vcc_lo
	s_and_saveexec_b32 s12, s4
	s_cbranch_execz .LBB0_94
; %bb.93:
	v_mov_b32_e32 v10, s5
	v_mov_b32_e32 v11, v2
	v_mov_b32_e32 v12, 2
	v_mov_b32_e32 v13, 1
	global_store_dwordx4 v[8:9], v[10:13], off offset:8
.LBB0_94:
	s_or_b32 exec_lo, exec_lo, s12
	s_lshl_b64 s[10:11], s[10:11], 12
	s_mov_b32 s12, 0
	v_add_co_u32 v6, vcc_lo, v6, s10
	v_add_co_ci_u32_e64 v7, null, s11, v7, vcc_lo
	s_mov_b32 s13, s12
	s_mov_b32 s14, s12
	;; [unrolled: 1-line block ×3, first 2 shown]
	v_and_or_b32 v0, 0xffffff1f, v34, 32
	v_lshlrev_b32_e32 v14, 6, v35
	v_mov_b32_e32 v3, v2
	v_readfirstlane_b32 s10, v6
	v_readfirstlane_b32 s11, v7
	v_mov_b32_e32 v10, s12
	v_mov_b32_e32 v11, s13
	;; [unrolled: 1-line block ×4, first 2 shown]
	global_store_dwordx4 v14, v[0:3], s[10:11]
	global_store_dwordx4 v14, v[10:13], s[10:11] offset:16
	global_store_dwordx4 v14, v[10:13], s[10:11] offset:32
	;; [unrolled: 1-line block ×3, first 2 shown]
	s_and_saveexec_b32 s5, s4
	s_cbranch_execz .LBB0_102
; %bb.95:
	v_mov_b32_e32 v6, 0
	v_mov_b32_e32 v10, s8
	;; [unrolled: 1-line block ×3, first 2 shown]
	s_mov_b32 s10, exec_lo
	s_clause 0x1
	global_load_dwordx2 v[12:13], v6, s[6:7] offset:32 glc dlc
	global_load_dwordx2 v[0:1], v6, s[6:7] offset:40
	s_waitcnt vmcnt(0)
	v_and_b32_e32 v1, s9, v1
	v_and_b32_e32 v0, s8, v0
	v_mul_lo_u32 v1, v1, 24
	v_mul_hi_u32 v2, v0, 24
	v_mul_lo_u32 v0, v0, 24
	v_add_nc_u32_e32 v1, v2, v1
	v_add_co_u32 v4, vcc_lo, v4, v0
	v_add_co_ci_u32_e64 v5, null, v5, v1, vcc_lo
	global_store_dwordx2 v[4:5], v[12:13], off
	s_waitcnt_vscnt null, 0x0
	global_atomic_cmpswap_x2 v[2:3], v6, v[10:13], s[6:7] offset:32 glc
	s_waitcnt vmcnt(0)
	v_cmpx_ne_u64_e64 v[2:3], v[12:13]
	s_cbranch_execz .LBB0_98
; %bb.96:
	s_mov_b32 s11, 0
.LBB0_97:                               ; =>This Inner Loop Header: Depth=1
	v_mov_b32_e32 v0, s8
	v_mov_b32_e32 v1, s9
	s_sleep 1
	global_store_dwordx2 v[4:5], v[2:3], off
	s_waitcnt_vscnt null, 0x0
	global_atomic_cmpswap_x2 v[0:1], v6, v[0:3], s[6:7] offset:32 glc
	s_waitcnt vmcnt(0)
	v_cmp_eq_u64_e32 vcc_lo, v[0:1], v[2:3]
	v_mov_b32_e32 v3, v1
	v_mov_b32_e32 v2, v0
	s_or_b32 s11, vcc_lo, s11
	s_andn2_b32 exec_lo, exec_lo, s11
	s_cbranch_execnz .LBB0_97
.LBB0_98:
	s_or_b32 exec_lo, exec_lo, s10
	v_mov_b32_e32 v3, 0
	s_mov_b32 s11, exec_lo
	s_mov_b32 s10, exec_lo
	v_mbcnt_lo_u32_b32 v2, s11, 0
	global_load_dwordx2 v[0:1], v3, s[6:7] offset:16
	v_cmpx_eq_u32_e32 0, v2
	s_cbranch_execz .LBB0_100
; %bb.99:
	s_bcnt1_i32_b32 s11, s11
	v_mov_b32_e32 v2, s11
	s_waitcnt vmcnt(0)
	global_atomic_add_x2 v[0:1], v[2:3], off offset:8
.LBB0_100:
	s_or_b32 exec_lo, exec_lo, s10
	s_waitcnt vmcnt(0)
	global_load_dwordx2 v[2:3], v[0:1], off offset:16
	s_waitcnt vmcnt(0)
	v_cmp_eq_u64_e32 vcc_lo, 0, v[2:3]
	s_cbranch_vccnz .LBB0_102
; %bb.101:
	global_load_dword v0, v[0:1], off offset:24
	v_mov_b32_e32 v1, 0
	s_waitcnt vmcnt(0)
	v_readfirstlane_b32 s10, v0
	s_waitcnt_vscnt null, 0x0
	global_store_dwordx2 v[2:3], v[0:1], off
	s_and_b32 m0, s10, 0x7fffff
	s_sendmsg sendmsg(MSG_INTERRUPT)
.LBB0_102:
	s_or_b32 exec_lo, exec_lo, s5
	s_branch .LBB0_106
	.p2align	6
.LBB0_103:                              ;   in Loop: Header=BB0_106 Depth=1
	s_or_b32 exec_lo, exec_lo, s5
	v_readfirstlane_b32 s5, v0
	s_cmp_eq_u32 s5, 0
	s_cbranch_scc1 .LBB0_105
; %bb.104:                              ;   in Loop: Header=BB0_106 Depth=1
	s_sleep 1
	s_cbranch_execnz .LBB0_106
	s_branch .LBB0_108
	.p2align	6
.LBB0_105:
	s_branch .LBB0_108
.LBB0_106:                              ; =>This Inner Loop Header: Depth=1
	v_mov_b32_e32 v0, 1
	s_and_saveexec_b32 s5, s4
	s_cbranch_execz .LBB0_103
; %bb.107:                              ;   in Loop: Header=BB0_106 Depth=1
	global_load_dword v0, v[8:9], off offset:20 glc dlc
	s_waitcnt vmcnt(0)
	buffer_gl1_inv
	buffer_gl0_inv
	v_and_b32_e32 v0, 1, v0
	s_branch .LBB0_103
.LBB0_108:
	s_and_saveexec_b32 s10, s4
	s_cbranch_execz .LBB0_112
; %bb.109:
	v_mov_b32_e32 v6, 0
	s_clause 0x2
	global_load_dwordx2 v[0:1], v6, s[6:7] offset:40
	global_load_dwordx2 v[9:10], v6, s[6:7] offset:24 glc dlc
	global_load_dwordx2 v[2:3], v6, s[6:7]
	s_waitcnt vmcnt(2)
	v_readfirstlane_b32 s12, v0
	v_readfirstlane_b32 s13, v1
	s_add_u32 s11, s12, 1
	s_addc_u32 s14, s13, 0
	s_add_u32 s4, s11, s8
	s_addc_u32 s5, s14, s9
	s_cmp_eq_u64 s[4:5], 0
	s_cselect_b32 s5, s14, s5
	s_cselect_b32 s4, s11, s4
	v_mov_b32_e32 v8, s5
	s_and_b64 s[8:9], s[4:5], s[12:13]
	v_mov_b32_e32 v7, s4
	s_mul_i32 s9, s9, 24
	s_mul_hi_u32 s11, s8, 24
	s_mul_i32 s8, s8, 24
	s_add_i32 s11, s11, s9
	s_waitcnt vmcnt(0)
	v_add_co_u32 v4, vcc_lo, v2, s8
	v_add_co_ci_u32_e64 v5, null, s11, v3, vcc_lo
	global_store_dwordx2 v[4:5], v[9:10], off
	s_waitcnt_vscnt null, 0x0
	global_atomic_cmpswap_x2 v[2:3], v6, v[7:10], s[6:7] offset:24 glc
	s_waitcnt vmcnt(0)
	v_cmp_ne_u64_e32 vcc_lo, v[2:3], v[9:10]
	s_and_b32 exec_lo, exec_lo, vcc_lo
	s_cbranch_execz .LBB0_112
; %bb.110:
	s_mov_b32 s8, 0
.LBB0_111:                              ; =>This Inner Loop Header: Depth=1
	v_mov_b32_e32 v0, s4
	v_mov_b32_e32 v1, s5
	s_sleep 1
	global_store_dwordx2 v[4:5], v[2:3], off
	s_waitcnt_vscnt null, 0x0
	global_atomic_cmpswap_x2 v[0:1], v6, v[0:3], s[6:7] offset:24 glc
	s_waitcnt vmcnt(0)
	v_cmp_eq_u64_e32 vcc_lo, v[0:1], v[2:3]
	v_mov_b32_e32 v3, v1
	v_mov_b32_e32 v2, v0
	s_or_b32 s8, vcc_lo, s8
	s_andn2_b32 exec_lo, exec_lo, s8
	s_cbranch_execnz .LBB0_111
.LBB0_112:
	s_or_b32 exec_lo, exec_lo, s10
	s_waitcnt lgkmcnt(0)
	s_setpc_b64 s[30:31]
.LBB0_113:
	s_cbranch_execnz .LBB0_86
.LBB0_114:
	s_waitcnt vmcnt(0) lgkmcnt(0)
	s_setpc_b64 s[30:31]
.Lfunc_end0:
	.size	__ockl_fprintf_append_string_n, .Lfunc_end0-__ockl_fprintf_append_string_n
                                        ; -- End function
	.set .L__ockl_fprintf_append_string_n.num_vgpr, 39
	.set .L__ockl_fprintf_append_string_n.num_agpr, 0
	.set .L__ockl_fprintf_append_string_n.numbered_sgpr, 32
	.set .L__ockl_fprintf_append_string_n.num_named_barrier, 0
	.set .L__ockl_fprintf_append_string_n.private_seg_size, 0
	.set .L__ockl_fprintf_append_string_n.uses_vcc, 1
	.set .L__ockl_fprintf_append_string_n.uses_flat_scratch, 0
	.set .L__ockl_fprintf_append_string_n.has_dyn_sized_stack, 0
	.set .L__ockl_fprintf_append_string_n.has_recursion, 0
	.set .L__ockl_fprintf_append_string_n.has_indirect_call, 0
	.section	.AMDGPU.csdata,"",@progbits
; Function info:
; codeLenInByte = 4528
; TotalNumSgprs: 34
; NumVgprs: 39
; ScratchSize: 0
; MemoryBound: 0
	.text
	.p2align	2                               ; -- Begin function __assert_fail
	.type	__assert_fail,@function
__assert_fail:                          ; @__assert_fail
; %bb.0:
	s_waitcnt vmcnt(0) expcnt(0) lgkmcnt(0)
	s_mov_b32 s24, s33
	s_mov_b32 s33, s32
	s_xor_saveexec_b32 s4, -1
	buffer_store_dword v39, off, s[0:3], s33 offset:48 ; 4-byte Folded Spill
	s_mov_b32 exec_lo, s4
	v_writelane_b32 v39, s30, 0
	s_addk_i32 s32, 0x800
	v_writelane_b32 v39, s31, 1
	v_mov_b32_e32 v4, v0
	v_mov_b32_e32 v0, 0
	s_getpc_b64 s[4:5]
	s_add_u32 s4, s4, __const.__assert_fail.fmt@rel32@lo+35
	s_addc_u32 s5, s5, __const.__assert_fail.fmt@rel32@hi+43
	v_mbcnt_lo_u32_b32 v32, -1, 0
	v_mov_b32_e32 v6, 0
	v_mov_b32_e32 v5, v1
	global_load_dwordx4 v[8:11], v0, s[4:5]
	s_getpc_b64 s[4:5]
	s_add_u32 s4, s4, __const.__assert_fail.fmt@rel32@lo+4
	s_addc_u32 s5, s5, __const.__assert_fail.fmt@rel32@hi+12
	s_getpc_b64 s[6:7]
	s_add_u32 s6, s6, __const.__assert_fail.fmt@rel32@lo+20
	s_addc_u32 s7, s7, __const.__assert_fail.fmt@rel32@hi+28
	s_clause 0x1
	s_load_dwordx4 s[12:15], s[4:5], 0x0
	s_load_dwordx4 s[16:19], s[6:7], 0x0
	s_load_dwordx2 s[6:7], s[8:9], 0x50
	v_readfirstlane_b32 s4, v32
	v_mov_b32_e32 v7, 0
	v_cmp_eq_u32_e64 s4, s4, v32
	s_waitcnt lgkmcnt(0)
	v_mov_b32_e32 v1, s15
	v_mov_b32_e32 v2, s14
	;; [unrolled: 1-line block ×8, first 2 shown]
	buffer_store_dword v1, off, s[0:3], s33 offset:12
	buffer_store_dword v2, off, s[0:3], s33 offset:8
	;; [unrolled: 1-line block ×3, first 2 shown]
	buffer_store_dword v12, off, s[0:3], s33
	buffer_store_dword v13, off, s[0:3], s33 offset:28
	buffer_store_dword v14, off, s[0:3], s33 offset:24
	;; [unrolled: 1-line block ×4, first 2 shown]
	s_waitcnt vmcnt(0)
	buffer_store_dword v11, off, s[0:3], s33 offset:43
	buffer_store_dword v10, off, s[0:3], s33 offset:39
	;; [unrolled: 1-line block ×4, first 2 shown]
	s_and_saveexec_b32 s5, s4
	s_cbranch_execz .LBB1_6
; %bb.1:
	global_load_dwordx2 v[8:9], v0, s[6:7] offset:24 glc dlc
	s_waitcnt vmcnt(0)
	buffer_gl1_inv
	buffer_gl0_inv
	s_clause 0x1
	global_load_dwordx2 v[1:2], v0, s[6:7] offset:40
	global_load_dwordx2 v[6:7], v0, s[6:7]
	s_mov_b32 s10, exec_lo
	s_waitcnt vmcnt(1)
	v_and_b32_e32 v2, v2, v9
	v_and_b32_e32 v1, v1, v8
	v_mul_lo_u32 v2, v2, 24
	v_mul_hi_u32 v3, v1, 24
	v_mul_lo_u32 v1, v1, 24
	v_add_nc_u32_e32 v2, v3, v2
	s_waitcnt vmcnt(0)
	v_add_co_u32 v1, vcc_lo, v6, v1
	v_add_co_ci_u32_e64 v2, null, v7, v2, vcc_lo
	global_load_dwordx2 v[6:7], v[1:2], off glc dlc
	s_waitcnt vmcnt(0)
	global_atomic_cmpswap_x2 v[6:7], v0, v[6:9], s[6:7] offset:24 glc
	s_waitcnt vmcnt(0)
	buffer_gl1_inv
	buffer_gl0_inv
	v_cmpx_ne_u64_e64 v[6:7], v[8:9]
	s_cbranch_execz .LBB1_5
; %bb.2:
	v_mov_b32_e32 v1, 0
	s_mov_b32 s11, 0
	.p2align	6
.LBB1_3:                                ; =>This Inner Loop Header: Depth=1
	s_sleep 1
	s_clause 0x1
	global_load_dwordx2 v[2:3], v1, s[6:7] offset:40
	global_load_dwordx2 v[10:11], v1, s[6:7]
	v_mov_b32_e32 v9, v7
	v_mov_b32_e32 v8, v6
	s_waitcnt vmcnt(1)
	v_and_b32_e32 v2, v2, v8
	v_and_b32_e32 v3, v3, v9
	s_waitcnt vmcnt(0)
	v_mad_u64_u32 v[6:7], null, v2, 24, v[10:11]
	v_mov_b32_e32 v2, v7
	v_mad_u64_u32 v[2:3], null, v3, 24, v[2:3]
	v_mov_b32_e32 v7, v2
	global_load_dwordx2 v[6:7], v[6:7], off glc dlc
	s_waitcnt vmcnt(0)
	global_atomic_cmpswap_x2 v[6:7], v1, v[6:9], s[6:7] offset:24 glc
	s_waitcnt vmcnt(0)
	buffer_gl1_inv
	buffer_gl0_inv
	v_cmp_eq_u64_e32 vcc_lo, v[6:7], v[8:9]
	s_or_b32 s11, vcc_lo, s11
	s_andn2_b32 exec_lo, exec_lo, s11
	s_cbranch_execnz .LBB1_3
; %bb.4:
	s_or_b32 exec_lo, exec_lo, s11
.LBB1_5:
	s_or_b32 exec_lo, exec_lo, s10
.LBB1_6:
	s_or_b32 exec_lo, exec_lo, s5
	s_clause 0x1
	global_load_dwordx2 v[8:9], v0, s[6:7] offset:40
	global_load_dwordx4 v[0:3], v0, s[6:7]
	v_readfirstlane_b32 s11, v7
	v_readfirstlane_b32 s10, v6
	s_mov_b32 s5, exec_lo
	s_waitcnt vmcnt(1)
	v_readfirstlane_b32 s12, v8
	v_readfirstlane_b32 s13, v9
	s_and_b64 s[12:13], s[12:13], s[10:11]
	s_mul_i32 s14, s13, 24
	s_mul_hi_u32 s15, s12, 24
	s_mul_i32 s16, s12, 24
	s_add_i32 s15, s15, s14
	s_waitcnt vmcnt(0)
	v_add_co_u32 v10, vcc_lo, v0, s16
	v_add_co_ci_u32_e64 v11, null, s15, v1, vcc_lo
	s_and_saveexec_b32 s14, s4
	s_cbranch_execz .LBB1_8
; %bb.7:
	v_mov_b32_e32 v6, s5
	v_mov_b32_e32 v7, 0
	;; [unrolled: 1-line block ×4, first 2 shown]
	global_store_dwordx4 v[10:11], v[6:9], off offset:8
.LBB1_8:
	s_or_b32 exec_lo, exec_lo, s14
	s_lshl_b64 s[12:13], s[12:13], 12
	v_lshlrev_b32_e32 v33, 6, v32
	v_add_co_u32 v2, vcc_lo, v2, s12
	v_add_co_ci_u32_e64 v3, null, s13, v3, vcc_lo
	v_mov_b32_e32 v7, 0
	s_mov_b32 s12, 0
	v_add_co_u32 v12, vcc_lo, v2, v33
	s_mov_b32 s15, s12
	s_mov_b32 s13, s12
	;; [unrolled: 1-line block ×3, first 2 shown]
	v_mov_b32_e32 v6, 33
	v_mov_b32_e32 v8, 1
	;; [unrolled: 1-line block ×3, first 2 shown]
	v_readfirstlane_b32 s16, v2
	v_readfirstlane_b32 s17, v3
	v_mov_b32_e32 v17, s15
	v_add_co_ci_u32_e64 v13, null, 0, v3, vcc_lo
	v_mov_b32_e32 v16, s14
	v_mov_b32_e32 v15, s13
	;; [unrolled: 1-line block ×3, first 2 shown]
	global_store_dwordx4 v33, v[6:9], s[16:17]
	global_store_dwordx4 v33, v[14:17], s[16:17] offset:16
	global_store_dwordx4 v33, v[14:17], s[16:17] offset:32
	;; [unrolled: 1-line block ×3, first 2 shown]
	s_and_saveexec_b32 s5, s4
	s_cbranch_execz .LBB1_16
; %bb.9:
	s_clause 0x1
	global_load_dwordx2 v[16:17], v7, s[6:7] offset:32 glc dlc
	global_load_dwordx2 v[2:3], v7, s[6:7] offset:40
	v_mov_b32_e32 v14, s10
	v_mov_b32_e32 v15, s11
	s_mov_b32 s12, exec_lo
	s_waitcnt vmcnt(0)
	v_and_b32_e32 v3, s11, v3
	v_and_b32_e32 v2, s10, v2
	v_mul_lo_u32 v3, v3, 24
	v_mul_hi_u32 v6, v2, 24
	v_mul_lo_u32 v2, v2, 24
	v_add_nc_u32_e32 v3, v6, v3
	v_add_co_u32 v8, vcc_lo, v0, v2
	v_add_co_ci_u32_e64 v9, null, v1, v3, vcc_lo
	global_store_dwordx2 v[8:9], v[16:17], off
	s_waitcnt_vscnt null, 0x0
	global_atomic_cmpswap_x2 v[2:3], v7, v[14:17], s[6:7] offset:32 glc
	s_waitcnt vmcnt(0)
	v_cmpx_ne_u64_e64 v[2:3], v[16:17]
	s_cbranch_execz .LBB1_12
; %bb.10:
	v_mov_b32_e32 v6, 0
	s_mov_b32 s13, 0
.LBB1_11:                               ; =>This Inner Loop Header: Depth=1
	v_mov_b32_e32 v0, s10
	v_mov_b32_e32 v1, s11
	s_sleep 1
	global_store_dwordx2 v[8:9], v[2:3], off
	s_waitcnt_vscnt null, 0x0
	global_atomic_cmpswap_x2 v[0:1], v6, v[0:3], s[6:7] offset:32 glc
	s_waitcnt vmcnt(0)
	v_cmp_eq_u64_e32 vcc_lo, v[0:1], v[2:3]
	v_mov_b32_e32 v3, v1
	v_mov_b32_e32 v2, v0
	s_or_b32 s13, vcc_lo, s13
	s_andn2_b32 exec_lo, exec_lo, s13
	s_cbranch_execnz .LBB1_11
.LBB1_12:
	s_or_b32 exec_lo, exec_lo, s12
	v_mov_b32_e32 v3, 0
	s_mov_b32 s13, exec_lo
	s_mov_b32 s12, exec_lo
	v_mbcnt_lo_u32_b32 v2, s13, 0
	global_load_dwordx2 v[0:1], v3, s[6:7] offset:16
	v_cmpx_eq_u32_e32 0, v2
	s_cbranch_execz .LBB1_14
; %bb.13:
	s_bcnt1_i32_b32 s13, s13
	v_mov_b32_e32 v2, s13
	s_waitcnt vmcnt(0)
	global_atomic_add_x2 v[0:1], v[2:3], off offset:8
.LBB1_14:
	s_or_b32 exec_lo, exec_lo, s12
	s_waitcnt vmcnt(0)
	global_load_dwordx2 v[2:3], v[0:1], off offset:16
	s_waitcnt vmcnt(0)
	v_cmp_eq_u64_e32 vcc_lo, 0, v[2:3]
	s_cbranch_vccnz .LBB1_16
; %bb.15:
	global_load_dword v0, v[0:1], off offset:24
	v_mov_b32_e32 v1, 0
	s_waitcnt vmcnt(0)
	v_readfirstlane_b32 s12, v0
	s_waitcnt_vscnt null, 0x0
	global_store_dwordx2 v[2:3], v[0:1], off
	s_and_b32 m0, s12, 0x7fffff
	s_sendmsg sendmsg(MSG_INTERRUPT)
.LBB1_16:
	s_or_b32 exec_lo, exec_lo, s5
	s_branch .LBB1_20
	.p2align	6
.LBB1_17:                               ;   in Loop: Header=BB1_20 Depth=1
	s_or_b32 exec_lo, exec_lo, s5
	v_readfirstlane_b32 s5, v0
	s_cmp_eq_u32 s5, 0
	s_cbranch_scc1 .LBB1_19
; %bb.18:                               ;   in Loop: Header=BB1_20 Depth=1
	s_sleep 1
	s_cbranch_execnz .LBB1_20
	s_branch .LBB1_22
	.p2align	6
.LBB1_19:
	s_branch .LBB1_22
.LBB1_20:                               ; =>This Inner Loop Header: Depth=1
	v_mov_b32_e32 v0, 1
	s_and_saveexec_b32 s5, s4
	s_cbranch_execz .LBB1_17
; %bb.21:                               ;   in Loop: Header=BB1_20 Depth=1
	global_load_dword v0, v[10:11], off offset:20 glc dlc
	s_waitcnt vmcnt(0)
	buffer_gl1_inv
	buffer_gl0_inv
	v_and_b32_e32 v0, 1, v0
	s_branch .LBB1_17
.LBB1_22:
	global_load_dwordx2 v[6:7], v[12:13], off
	s_and_saveexec_b32 s12, s4
	s_cbranch_execz .LBB1_26
; %bb.23:
	v_mov_b32_e32 v10, 0
	s_clause 0x2
	global_load_dwordx2 v[0:1], v10, s[6:7] offset:40
	global_load_dwordx2 v[13:14], v10, s[6:7] offset:24 glc dlc
	global_load_dwordx2 v[2:3], v10, s[6:7]
	s_waitcnt vmcnt(2)
	v_readfirstlane_b32 s14, v0
	v_readfirstlane_b32 s15, v1
	s_add_u32 s13, s14, 1
	s_addc_u32 s16, s15, 0
	s_add_u32 s4, s13, s10
	s_addc_u32 s5, s16, s11
	s_cmp_eq_u64 s[4:5], 0
	s_cselect_b32 s5, s16, s5
	s_cselect_b32 s4, s13, s4
	v_mov_b32_e32 v12, s5
	s_and_b64 s[10:11], s[4:5], s[14:15]
	v_mov_b32_e32 v11, s4
	s_mul_i32 s11, s11, 24
	s_mul_hi_u32 s13, s10, 24
	s_mul_i32 s10, s10, 24
	s_add_i32 s13, s13, s11
	s_waitcnt vmcnt(0)
	v_add_co_u32 v8, vcc_lo, v2, s10
	v_add_co_ci_u32_e64 v9, null, s13, v3, vcc_lo
	global_store_dwordx2 v[8:9], v[13:14], off
	s_waitcnt_vscnt null, 0x0
	global_atomic_cmpswap_x2 v[2:3], v10, v[11:14], s[6:7] offset:24 glc
	s_waitcnt vmcnt(0)
	v_cmp_ne_u64_e32 vcc_lo, v[2:3], v[13:14]
	s_and_b32 exec_lo, exec_lo, vcc_lo
	s_cbranch_execz .LBB1_26
; %bb.24:
	s_mov_b32 s10, 0
.LBB1_25:                               ; =>This Inner Loop Header: Depth=1
	v_mov_b32_e32 v0, s4
	v_mov_b32_e32 v1, s5
	s_sleep 1
	global_store_dwordx2 v[8:9], v[2:3], off
	s_waitcnt_vscnt null, 0x0
	global_atomic_cmpswap_x2 v[0:1], v10, v[0:3], s[6:7] offset:24 glc
	s_waitcnt vmcnt(0)
	v_cmp_eq_u64_e32 vcc_lo, v[0:1], v[2:3]
	v_mov_b32_e32 v3, v1
	v_mov_b32_e32 v2, v0
	s_or_b32 s10, vcc_lo, s10
	s_andn2_b32 exec_lo, exec_lo, s10
	s_cbranch_execnz .LBB1_25
.LBB1_26:
	s_or_b32 exec_lo, exec_lo, s12
	s_lshr_b32 s5, s33, 5
	s_mov_b32 s4, 0
.LBB1_27:                               ; =>This Inner Loop Header: Depth=1
	v_mov_b32_e32 v0, s5
	s_add_i32 s5, s5, 1
	buffer_load_ubyte v0, v0, s[0:3], 0 offen
	s_waitcnt vmcnt(0)
	v_cmp_eq_u16_e32 vcc_lo, 0, v0
	v_mov_b32_e32 v0, s5
	s_or_b32 s4, vcc_lo, s4
	s_andn2_b32 exec_lo, exec_lo, s4
	s_cbranch_execnz .LBB1_27
; %bb.28:
	s_or_b32 exec_lo, exec_lo, s4
	s_lshr_b32 s4, s33, 5
	s_cmp_lg_u32 s4, -1
	s_cbranch_scc0 .LBB1_113
; %bb.29:
	v_lshrrev_b32_e64 v1, 5, s33
	v_and_b32_e32 v34, 2, v6
	v_mov_b32_e32 v9, 0
	v_lshrrev_b32_e64 v35, 5, s33
	v_mov_b32_e32 v10, 2
	v_subrev_nc_u32_e32 v28, v1, v0
	v_and_b32_e32 v0, -3, v6
	v_mov_b32_e32 v1, v7
	v_mov_b32_e32 v11, 1
	s_mov_b32 s15, 0
	v_ashrrev_i32_e32 v29, 31, v28
	s_mov_b32 s14, 0
	s_branch .LBB1_31
.LBB1_30:                               ;   in Loop: Header=BB1_31 Depth=1
	s_or_b32 exec_lo, exec_lo, s12
	v_sub_co_u32 v28, vcc_lo, v28, v36
	v_sub_co_ci_u32_e64 v29, null, v29, v26, vcc_lo
	v_add_nc_u32_e32 v35, v35, v36
	v_cmp_eq_u64_e32 vcc_lo, 0, v[28:29]
	s_or_b32 s14, vcc_lo, s14
	s_andn2_b32 exec_lo, exec_lo, s14
	s_cbranch_execz .LBB1_114
.LBB1_31:                               ; =>This Loop Header: Depth=1
                                        ;     Child Loop BB1_34 Depth 2
                                        ;     Child Loop BB1_42 Depth 2
	;; [unrolled: 1-line block ×11, first 2 shown]
	v_cmp_gt_u64_e32 vcc_lo, 56, v[28:29]
	v_add_nc_u32_e32 v14, 8, v35
	s_mov_b32 s5, exec_lo
	v_cndmask_b32_e32 v36, 56, v28, vcc_lo
	v_cmpx_gt_u64_e32 8, v[28:29]
	s_xor_b32 s5, exec_lo, s5
	s_cbranch_execz .LBB1_37
; %bb.32:                               ;   in Loop: Header=BB1_31 Depth=1
	v_mov_b32_e32 v2, 0
	v_mov_b32_e32 v3, 0
	s_mov_b32 s12, exec_lo
	v_cmpx_ne_u64_e32 0, v[28:29]
	s_cbranch_execz .LBB1_36
; %bb.33:                               ;   in Loop: Header=BB1_31 Depth=1
	v_mov_b32_e32 v2, 0
	v_mov_b32_e32 v3, 0
	s_mov_b64 s[10:11], 0
	s_mov_b32 s13, 0
	s_mov_b32 s16, 0
	.p2align	6
.LBB1_34:                               ;   Parent Loop BB1_31 Depth=1
                                        ; =>  This Inner Loop Header: Depth=2
	v_add_nc_u32_e32 v8, s16, v35
	v_mov_b32_e32 v13, s15
	s_add_i32 s16, s16, 1
	v_cmp_eq_u32_e64 s4, s16, v36
	buffer_load_ubyte v8, v8, s[0:3], 0 offen
	s_waitcnt vmcnt(0)
	v_and_b32_e32 v12, 0xffff, v8
	v_lshlrev_b64 v[12:13], s10, v[12:13]
	s_add_u32 s10, s10, 8
	s_addc_u32 s11, s11, 0
	s_or_b32 s13, s4, s13
	v_or_b32_e32 v3, v13, v3
	v_or_b32_e32 v2, v12, v2
	s_andn2_b32 exec_lo, exec_lo, s13
	s_cbranch_execnz .LBB1_34
; %bb.35:                               ;   in Loop: Header=BB1_31 Depth=1
	s_or_b32 exec_lo, exec_lo, s13
.LBB1_36:                               ;   in Loop: Header=BB1_31 Depth=1
	s_or_b32 exec_lo, exec_lo, s12
	v_mov_b32_e32 v14, v35
.LBB1_37:                               ;   in Loop: Header=BB1_31 Depth=1
	s_or_saveexec_b32 s4, s5
	v_mov_b32_e32 v15, 0
	s_xor_b32 exec_lo, exec_lo, s4
	s_cbranch_execz .LBB1_39
; %bb.38:                               ;   in Loop: Header=BB1_31 Depth=1
	s_clause 0x1
	buffer_load_dword v2, v35, s[0:3], 0 offen
	buffer_load_dword v3, v35, s[0:3], 0 offen offset:4
	v_add_nc_u32_e32 v15, -8, v36
.LBB1_39:                               ;   in Loop: Header=BB1_31 Depth=1
	s_or_b32 exec_lo, exec_lo, s4
	v_add_nc_u32_e32 v8, 8, v14
	s_mov_b32 s5, exec_lo
                                        ; implicit-def: $vgpr12_vgpr13
	v_cmpx_gt_u32_e32 8, v15
	s_xor_b32 s5, exec_lo, s5
	s_cbranch_execz .LBB1_45
; %bb.40:                               ;   in Loop: Header=BB1_31 Depth=1
	v_mov_b32_e32 v12, 0
	v_mov_b32_e32 v13, 0
	s_mov_b32 s12, exec_lo
	v_cmpx_ne_u32_e32 0, v15
	s_cbranch_execz .LBB1_44
; %bb.41:                               ;   in Loop: Header=BB1_31 Depth=1
	v_mov_b32_e32 v12, 0
	v_mov_b32_e32 v13, 0
	s_mov_b64 s[10:11], 0
	s_mov_b32 s13, 0
	s_mov_b32 s16, 0
	.p2align	6
.LBB1_42:                               ;   Parent Loop BB1_31 Depth=1
                                        ; =>  This Inner Loop Header: Depth=2
	v_add_nc_u32_e32 v8, s16, v14
	v_mov_b32_e32 v17, s15
	s_add_i32 s16, s16, 1
	v_cmp_eq_u32_e64 s4, s16, v15
	buffer_load_ubyte v8, v8, s[0:3], 0 offen
	s_waitcnt vmcnt(0)
	v_and_b32_e32 v16, 0xffff, v8
	v_lshlrev_b64 v[16:17], s10, v[16:17]
	s_add_u32 s10, s10, 8
	s_addc_u32 s11, s11, 0
	s_or_b32 s13, s4, s13
	v_or_b32_e32 v13, v17, v13
	v_or_b32_e32 v12, v16, v12
	s_andn2_b32 exec_lo, exec_lo, s13
	s_cbranch_execnz .LBB1_42
; %bb.43:                               ;   in Loop: Header=BB1_31 Depth=1
	s_or_b32 exec_lo, exec_lo, s13
.LBB1_44:                               ;   in Loop: Header=BB1_31 Depth=1
	s_or_b32 exec_lo, exec_lo, s12
	v_mov_b32_e32 v8, v14
                                        ; implicit-def: $vgpr15
.LBB1_45:                               ;   in Loop: Header=BB1_31 Depth=1
	s_or_saveexec_b32 s4, s5
	v_mov_b32_e32 v16, 0
	s_xor_b32 exec_lo, exec_lo, s4
	s_cbranch_execz .LBB1_47
; %bb.46:                               ;   in Loop: Header=BB1_31 Depth=1
	s_clause 0x1
	buffer_load_dword v12, v14, s[0:3], 0 offen
	buffer_load_dword v13, v14, s[0:3], 0 offen offset:4
	v_add_nc_u32_e32 v16, -8, v15
.LBB1_47:                               ;   in Loop: Header=BB1_31 Depth=1
	s_or_b32 exec_lo, exec_lo, s4
	v_add_nc_u32_e32 v18, 8, v8
	s_mov_b32 s5, exec_lo
	v_cmpx_gt_u32_e32 8, v16
	s_xor_b32 s5, exec_lo, s5
	s_cbranch_execz .LBB1_53
; %bb.48:                               ;   in Loop: Header=BB1_31 Depth=1
	v_mov_b32_e32 v14, 0
	v_mov_b32_e32 v15, 0
	s_mov_b32 s12, exec_lo
	v_cmpx_ne_u32_e32 0, v16
	s_cbranch_execz .LBB1_52
; %bb.49:                               ;   in Loop: Header=BB1_31 Depth=1
	v_mov_b32_e32 v14, 0
	v_mov_b32_e32 v15, 0
	s_mov_b64 s[10:11], 0
	s_mov_b32 s13, 0
	s_mov_b32 s16, 0
	.p2align	6
.LBB1_50:                               ;   Parent Loop BB1_31 Depth=1
                                        ; =>  This Inner Loop Header: Depth=2
	v_add_nc_u32_e32 v17, s16, v8
	v_mov_b32_e32 v18, s15
	s_add_i32 s16, s16, 1
	v_cmp_eq_u32_e64 s4, s16, v16
	buffer_load_ubyte v17, v17, s[0:3], 0 offen
	s_waitcnt vmcnt(0)
	v_and_b32_e32 v17, 0xffff, v17
	v_lshlrev_b64 v[17:18], s10, v[17:18]
	s_add_u32 s10, s10, 8
	s_addc_u32 s11, s11, 0
	s_or_b32 s13, s4, s13
	v_or_b32_e32 v15, v18, v15
	v_or_b32_e32 v14, v17, v14
	s_andn2_b32 exec_lo, exec_lo, s13
	s_cbranch_execnz .LBB1_50
; %bb.51:                               ;   in Loop: Header=BB1_31 Depth=1
	s_or_b32 exec_lo, exec_lo, s13
.LBB1_52:                               ;   in Loop: Header=BB1_31 Depth=1
	s_or_b32 exec_lo, exec_lo, s12
	v_mov_b32_e32 v18, v8
                                        ; implicit-def: $vgpr16
.LBB1_53:                               ;   in Loop: Header=BB1_31 Depth=1
	s_or_saveexec_b32 s4, s5
	v_mov_b32_e32 v19, 0
	s_xor_b32 exec_lo, exec_lo, s4
	s_cbranch_execz .LBB1_55
; %bb.54:                               ;   in Loop: Header=BB1_31 Depth=1
	s_clause 0x1
	buffer_load_dword v14, v8, s[0:3], 0 offen
	buffer_load_dword v15, v8, s[0:3], 0 offen offset:4
	v_add_nc_u32_e32 v19, -8, v16
.LBB1_55:                               ;   in Loop: Header=BB1_31 Depth=1
	s_or_b32 exec_lo, exec_lo, s4
	v_add_nc_u32_e32 v8, 8, v18
	s_mov_b32 s5, exec_lo
                                        ; implicit-def: $vgpr16_vgpr17
	v_cmpx_gt_u32_e32 8, v19
	s_xor_b32 s5, exec_lo, s5
	s_cbranch_execz .LBB1_61
; %bb.56:                               ;   in Loop: Header=BB1_31 Depth=1
	v_mov_b32_e32 v16, 0
	v_mov_b32_e32 v17, 0
	s_mov_b32 s12, exec_lo
	v_cmpx_ne_u32_e32 0, v19
	s_cbranch_execz .LBB1_60
; %bb.57:                               ;   in Loop: Header=BB1_31 Depth=1
	v_mov_b32_e32 v16, 0
	v_mov_b32_e32 v17, 0
	s_mov_b64 s[10:11], 0
	s_mov_b32 s13, 0
	s_mov_b32 s16, 0
	.p2align	6
.LBB1_58:                               ;   Parent Loop BB1_31 Depth=1
                                        ; =>  This Inner Loop Header: Depth=2
	v_add_nc_u32_e32 v8, s16, v18
	v_mov_b32_e32 v21, s15
	s_add_i32 s16, s16, 1
	v_cmp_eq_u32_e64 s4, s16, v19
	buffer_load_ubyte v8, v8, s[0:3], 0 offen
	s_waitcnt vmcnt(0)
	v_and_b32_e32 v20, 0xffff, v8
	v_lshlrev_b64 v[20:21], s10, v[20:21]
	s_add_u32 s10, s10, 8
	s_addc_u32 s11, s11, 0
	s_or_b32 s13, s4, s13
	v_or_b32_e32 v17, v21, v17
	v_or_b32_e32 v16, v20, v16
	s_andn2_b32 exec_lo, exec_lo, s13
	s_cbranch_execnz .LBB1_58
; %bb.59:                               ;   in Loop: Header=BB1_31 Depth=1
	s_or_b32 exec_lo, exec_lo, s13
.LBB1_60:                               ;   in Loop: Header=BB1_31 Depth=1
	s_or_b32 exec_lo, exec_lo, s12
	v_mov_b32_e32 v8, v18
                                        ; implicit-def: $vgpr19
.LBB1_61:                               ;   in Loop: Header=BB1_31 Depth=1
	s_or_saveexec_b32 s4, s5
	v_mov_b32_e32 v20, 0
	s_xor_b32 exec_lo, exec_lo, s4
	s_cbranch_execz .LBB1_63
; %bb.62:                               ;   in Loop: Header=BB1_31 Depth=1
	s_clause 0x1
	buffer_load_dword v16, v18, s[0:3], 0 offen
	buffer_load_dword v17, v18, s[0:3], 0 offen offset:4
	v_add_nc_u32_e32 v20, -8, v19
.LBB1_63:                               ;   in Loop: Header=BB1_31 Depth=1
	s_or_b32 exec_lo, exec_lo, s4
	v_add_nc_u32_e32 v22, 8, v8
	s_mov_b32 s5, exec_lo
	v_cmpx_gt_u32_e32 8, v20
	s_xor_b32 s5, exec_lo, s5
	s_cbranch_execz .LBB1_69
; %bb.64:                               ;   in Loop: Header=BB1_31 Depth=1
	v_mov_b32_e32 v18, 0
	v_mov_b32_e32 v19, 0
	s_mov_b32 s12, exec_lo
	v_cmpx_ne_u32_e32 0, v20
	s_cbranch_execz .LBB1_68
; %bb.65:                               ;   in Loop: Header=BB1_31 Depth=1
	v_mov_b32_e32 v18, 0
	v_mov_b32_e32 v19, 0
	s_mov_b64 s[10:11], 0
	s_mov_b32 s13, 0
	s_mov_b32 s16, 0
	.p2align	6
.LBB1_66:                               ;   Parent Loop BB1_31 Depth=1
                                        ; =>  This Inner Loop Header: Depth=2
	v_add_nc_u32_e32 v21, s16, v8
	v_mov_b32_e32 v22, s15
	s_add_i32 s16, s16, 1
	v_cmp_eq_u32_e64 s4, s16, v20
	buffer_load_ubyte v21, v21, s[0:3], 0 offen
	s_waitcnt vmcnt(0)
	v_and_b32_e32 v21, 0xffff, v21
	v_lshlrev_b64 v[21:22], s10, v[21:22]
	s_add_u32 s10, s10, 8
	s_addc_u32 s11, s11, 0
	s_or_b32 s13, s4, s13
	v_or_b32_e32 v19, v22, v19
	v_or_b32_e32 v18, v21, v18
	s_andn2_b32 exec_lo, exec_lo, s13
	s_cbranch_execnz .LBB1_66
; %bb.67:                               ;   in Loop: Header=BB1_31 Depth=1
	s_or_b32 exec_lo, exec_lo, s13
.LBB1_68:                               ;   in Loop: Header=BB1_31 Depth=1
	s_or_b32 exec_lo, exec_lo, s12
	v_mov_b32_e32 v22, v8
                                        ; implicit-def: $vgpr20
.LBB1_69:                               ;   in Loop: Header=BB1_31 Depth=1
	s_or_saveexec_b32 s4, s5
	v_mov_b32_e32 v23, 0
	s_xor_b32 exec_lo, exec_lo, s4
	s_cbranch_execz .LBB1_71
; %bb.70:                               ;   in Loop: Header=BB1_31 Depth=1
	s_clause 0x1
	buffer_load_dword v18, v8, s[0:3], 0 offen
	buffer_load_dword v19, v8, s[0:3], 0 offen offset:4
	v_add_nc_u32_e32 v23, -8, v20
.LBB1_71:                               ;   in Loop: Header=BB1_31 Depth=1
	s_or_b32 exec_lo, exec_lo, s4
	v_add_nc_u32_e32 v8, 8, v22
	s_mov_b32 s5, exec_lo
                                        ; implicit-def: $vgpr20_vgpr21
	v_cmpx_gt_u32_e32 8, v23
	s_xor_b32 s5, exec_lo, s5
	s_cbranch_execz .LBB1_77
; %bb.72:                               ;   in Loop: Header=BB1_31 Depth=1
	v_mov_b32_e32 v20, 0
	v_mov_b32_e32 v21, 0
	s_mov_b32 s12, exec_lo
	v_cmpx_ne_u32_e32 0, v23
	s_cbranch_execz .LBB1_76
; %bb.73:                               ;   in Loop: Header=BB1_31 Depth=1
	v_mov_b32_e32 v20, 0
	v_mov_b32_e32 v21, 0
	s_mov_b64 s[10:11], 0
	s_mov_b32 s13, 0
	s_mov_b32 s16, 0
	.p2align	6
.LBB1_74:                               ;   Parent Loop BB1_31 Depth=1
                                        ; =>  This Inner Loop Header: Depth=2
	v_add_nc_u32_e32 v8, s16, v22
	v_mov_b32_e32 v25, s15
	s_add_i32 s16, s16, 1
	v_cmp_eq_u32_e64 s4, s16, v23
	buffer_load_ubyte v8, v8, s[0:3], 0 offen
	s_waitcnt vmcnt(0)
	v_and_b32_e32 v24, 0xffff, v8
	v_lshlrev_b64 v[24:25], s10, v[24:25]
	s_add_u32 s10, s10, 8
	s_addc_u32 s11, s11, 0
	s_or_b32 s13, s4, s13
	v_or_b32_e32 v21, v25, v21
	v_or_b32_e32 v20, v24, v20
	s_andn2_b32 exec_lo, exec_lo, s13
	s_cbranch_execnz .LBB1_74
; %bb.75:                               ;   in Loop: Header=BB1_31 Depth=1
	s_or_b32 exec_lo, exec_lo, s13
.LBB1_76:                               ;   in Loop: Header=BB1_31 Depth=1
	s_or_b32 exec_lo, exec_lo, s12
	v_mov_b32_e32 v8, v22
                                        ; implicit-def: $vgpr23
.LBB1_77:                               ;   in Loop: Header=BB1_31 Depth=1
	s_or_saveexec_b32 s4, s5
	v_mov_b32_e32 v24, 0
	s_xor_b32 exec_lo, exec_lo, s4
	s_cbranch_execz .LBB1_79
; %bb.78:                               ;   in Loop: Header=BB1_31 Depth=1
	s_clause 0x1
	buffer_load_dword v20, v22, s[0:3], 0 offen
	buffer_load_dword v21, v22, s[0:3], 0 offen offset:4
	v_add_nc_u32_e32 v24, -8, v23
.LBB1_79:                               ;   in Loop: Header=BB1_31 Depth=1
	s_or_b32 exec_lo, exec_lo, s4
	s_mov_b32 s5, exec_lo
	v_cmpx_gt_u32_e32 8, v24
	s_xor_b32 s5, exec_lo, s5
	s_cbranch_execz .LBB1_85
; %bb.80:                               ;   in Loop: Header=BB1_31 Depth=1
	v_mov_b32_e32 v22, 0
	v_mov_b32_e32 v23, 0
	s_mov_b32 s12, exec_lo
	v_cmpx_ne_u32_e32 0, v24
	s_cbranch_execz .LBB1_84
; %bb.81:                               ;   in Loop: Header=BB1_31 Depth=1
	v_mov_b32_e32 v22, 0
	v_mov_b32_e32 v23, 0
	s_mov_b64 s[10:11], 0
	s_mov_b32 s13, 0
	.p2align	6
.LBB1_82:                               ;   Parent Loop BB1_31 Depth=1
                                        ; =>  This Inner Loop Header: Depth=2
	buffer_load_ubyte v25, v8, s[0:3], 0 offen
	v_mov_b32_e32 v26, s15
	v_add_nc_u32_e32 v24, -1, v24
	v_add_nc_u32_e32 v8, 1, v8
	v_cmp_eq_u32_e64 s4, 0, v24
	s_waitcnt vmcnt(0)
	v_and_b32_e32 v25, 0xffff, v25
	v_lshlrev_b64 v[25:26], s10, v[25:26]
	s_add_u32 s10, s10, 8
	s_addc_u32 s11, s11, 0
	s_or_b32 s13, s4, s13
	v_or_b32_e32 v23, v26, v23
	v_or_b32_e32 v22, v25, v22
	s_andn2_b32 exec_lo, exec_lo, s13
	s_cbranch_execnz .LBB1_82
; %bb.83:                               ;   in Loop: Header=BB1_31 Depth=1
	s_or_b32 exec_lo, exec_lo, s13
.LBB1_84:                               ;   in Loop: Header=BB1_31 Depth=1
	s_or_b32 exec_lo, exec_lo, s12
                                        ; implicit-def: $vgpr8
.LBB1_85:                               ;   in Loop: Header=BB1_31 Depth=1
	s_andn2_saveexec_b32 s4, s5
	s_cbranch_execz .LBB1_87
; %bb.86:                               ;   in Loop: Header=BB1_31 Depth=1
	s_clause 0x1
	buffer_load_dword v22, v8, s[0:3], 0 offen
	buffer_load_dword v23, v8, s[0:3], 0 offen offset:4
.LBB1_87:                               ;   in Loop: Header=BB1_31 Depth=1
	s_or_b32 exec_lo, exec_lo, s4
	v_readfirstlane_b32 s4, v32
	v_mov_b32_e32 v30, 0
	v_mov_b32_e32 v31, 0
	v_cmp_eq_u32_e64 s4, s4, v32
	s_and_saveexec_b32 s10, s4
	s_cbranch_execz .LBB1_93
; %bb.88:                               ;   in Loop: Header=BB1_31 Depth=1
	global_load_dwordx2 v[26:27], v9, s[6:7] offset:24 glc dlc
	s_waitcnt vmcnt(0)
	buffer_gl1_inv
	buffer_gl0_inv
	s_clause 0x1
	global_load_dwordx2 v[24:25], v9, s[6:7] offset:40
	global_load_dwordx2 v[30:31], v9, s[6:7]
	s_mov_b32 s11, exec_lo
	s_waitcnt vmcnt(1)
	v_and_b32_e32 v8, v25, v27
	v_and_b32_e32 v24, v24, v26
	v_mul_lo_u32 v8, v8, 24
	v_mul_hi_u32 v25, v24, 24
	v_mul_lo_u32 v24, v24, 24
	v_add_nc_u32_e32 v8, v25, v8
	s_waitcnt vmcnt(0)
	v_add_co_u32 v24, s5, v30, v24
	v_add_co_ci_u32_e64 v25, null, v31, v8, s5
	global_load_dwordx2 v[24:25], v[24:25], off glc dlc
	s_waitcnt vmcnt(0)
	global_atomic_cmpswap_x2 v[30:31], v9, v[24:27], s[6:7] offset:24 glc
	s_waitcnt vmcnt(0)
	buffer_gl1_inv
	buffer_gl0_inv
	v_cmpx_ne_u64_e64 v[30:31], v[26:27]
	s_cbranch_execz .LBB1_92
; %bb.89:                               ;   in Loop: Header=BB1_31 Depth=1
	s_mov_b32 s12, 0
	.p2align	6
.LBB1_90:                               ;   Parent Loop BB1_31 Depth=1
                                        ; =>  This Inner Loop Header: Depth=2
	s_sleep 1
	s_clause 0x1
	global_load_dwordx2 v[24:25], v9, s[6:7] offset:40
	global_load_dwordx2 v[37:38], v9, s[6:7]
	v_mov_b32_e32 v26, v30
	v_mov_b32_e32 v27, v31
	s_waitcnt vmcnt(1)
	v_and_b32_e32 v8, v24, v26
	v_and_b32_e32 v24, v25, v27
	s_waitcnt vmcnt(0)
	v_mad_u64_u32 v[30:31], null, v8, 24, v[37:38]
	v_mov_b32_e32 v8, v31
	v_mad_u64_u32 v[24:25], null, v24, 24, v[8:9]
	v_mov_b32_e32 v31, v24
	global_load_dwordx2 v[24:25], v[30:31], off glc dlc
	s_waitcnt vmcnt(0)
	global_atomic_cmpswap_x2 v[30:31], v9, v[24:27], s[6:7] offset:24 glc
	s_waitcnt vmcnt(0)
	buffer_gl1_inv
	buffer_gl0_inv
	v_cmp_eq_u64_e64 s5, v[30:31], v[26:27]
	s_or_b32 s12, s5, s12
	s_andn2_b32 exec_lo, exec_lo, s12
	s_cbranch_execnz .LBB1_90
; %bb.91:                               ;   in Loop: Header=BB1_31 Depth=1
	s_or_b32 exec_lo, exec_lo, s12
.LBB1_92:                               ;   in Loop: Header=BB1_31 Depth=1
	s_or_b32 exec_lo, exec_lo, s11
.LBB1_93:                               ;   in Loop: Header=BB1_31 Depth=1
	s_or_b32 exec_lo, exec_lo, s10
	s_clause 0x1
	global_load_dwordx2 v[37:38], v9, s[6:7] offset:40
	global_load_dwordx4 v[24:27], v9, s[6:7]
	v_readfirstlane_b32 s11, v31
	v_readfirstlane_b32 s10, v30
	s_mov_b32 s16, exec_lo
	s_waitcnt vmcnt(1)
	v_readfirstlane_b32 s12, v37
	v_readfirstlane_b32 s13, v38
	s_and_b64 s[12:13], s[12:13], s[10:11]
	s_mul_i32 s5, s13, 24
	s_mul_hi_u32 s17, s12, 24
	s_mul_i32 s18, s12, 24
	s_add_i32 s17, s17, s5
	s_waitcnt vmcnt(0)
	v_add_co_u32 v30, s5, v24, s18
	v_add_co_ci_u32_e64 v31, null, s17, v25, s5
	s_and_saveexec_b32 s5, s4
	s_cbranch_execz .LBB1_95
; %bb.94:                               ;   in Loop: Header=BB1_31 Depth=1
	v_mov_b32_e32 v8, s16
	global_store_dwordx4 v[30:31], v[8:11], off offset:8
.LBB1_95:                               ;   in Loop: Header=BB1_31 Depth=1
	s_or_b32 exec_lo, exec_lo, s5
	v_cmp_gt_u64_e64 s5, 57, v[28:29]
	v_and_b32_e32 v0, 0xffffff1f, v0
	s_lshl_b64 s[12:13], s[12:13], 12
	v_cndmask_b32_e64 v8, 0, v34, s5
	v_add_co_u32 v37, s5, v26, s12
	v_add_co_ci_u32_e64 v27, null, s13, v27, s5
	v_lshl_add_u32 v26, v36, 2, 28
	v_or_b32_e32 v0, v0, v8
	v_readfirstlane_b32 s12, v37
	v_readfirstlane_b32 s13, v27
	v_and_or_b32 v0, 0x1e0, v26, v0
	v_cndmask_b32_e32 v26, 0, v29, vcc_lo
	global_store_dwordx4 v33, v[12:15], s[12:13] offset:16
	global_store_dwordx4 v33, v[0:3], s[12:13]
	global_store_dwordx4 v33, v[16:19], s[12:13] offset:32
	global_store_dwordx4 v33, v[20:23], s[12:13] offset:48
	s_and_saveexec_b32 s5, s4
	s_cbranch_execz .LBB1_103
; %bb.96:                               ;   in Loop: Header=BB1_31 Depth=1
	s_clause 0x1
	global_load_dwordx2 v[16:17], v9, s[6:7] offset:32 glc dlc
	global_load_dwordx2 v[0:1], v9, s[6:7] offset:40
	v_mov_b32_e32 v14, s10
	v_mov_b32_e32 v15, s11
	s_waitcnt vmcnt(0)
	v_readfirstlane_b32 s12, v0
	v_readfirstlane_b32 s13, v1
	s_and_b64 s[12:13], s[12:13], s[10:11]
	s_mul_i32 s13, s13, 24
	s_mul_hi_u32 s16, s12, 24
	s_mul_i32 s12, s12, 24
	s_add_i32 s16, s16, s13
	v_add_co_u32 v12, vcc_lo, v24, s12
	v_add_co_ci_u32_e64 v13, null, s16, v25, vcc_lo
	s_mov_b32 s12, exec_lo
	global_store_dwordx2 v[12:13], v[16:17], off
	s_waitcnt_vscnt null, 0x0
	global_atomic_cmpswap_x2 v[2:3], v9, v[14:17], s[6:7] offset:32 glc
	s_waitcnt vmcnt(0)
	v_cmpx_ne_u64_e64 v[2:3], v[16:17]
	s_cbranch_execz .LBB1_99
; %bb.97:                               ;   in Loop: Header=BB1_31 Depth=1
	s_mov_b32 s13, 0
.LBB1_98:                               ;   Parent Loop BB1_31 Depth=1
                                        ; =>  This Inner Loop Header: Depth=2
	v_mov_b32_e32 v0, s10
	v_mov_b32_e32 v1, s11
	s_sleep 1
	global_store_dwordx2 v[12:13], v[2:3], off
	s_waitcnt_vscnt null, 0x0
	global_atomic_cmpswap_x2 v[0:1], v9, v[0:3], s[6:7] offset:32 glc
	s_waitcnt vmcnt(0)
	v_cmp_eq_u64_e32 vcc_lo, v[0:1], v[2:3]
	v_mov_b32_e32 v3, v1
	v_mov_b32_e32 v2, v0
	s_or_b32 s13, vcc_lo, s13
	s_andn2_b32 exec_lo, exec_lo, s13
	s_cbranch_execnz .LBB1_98
.LBB1_99:                               ;   in Loop: Header=BB1_31 Depth=1
	s_or_b32 exec_lo, exec_lo, s12
	global_load_dwordx2 v[0:1], v9, s[6:7] offset:16
	s_mov_b32 s13, exec_lo
	s_mov_b32 s12, exec_lo
	v_mbcnt_lo_u32_b32 v2, s13, 0
	v_cmpx_eq_u32_e32 0, v2
	s_cbranch_execz .LBB1_101
; %bb.100:                              ;   in Loop: Header=BB1_31 Depth=1
	s_bcnt1_i32_b32 s13, s13
	v_mov_b32_e32 v8, s13
	s_waitcnt vmcnt(0)
	global_atomic_add_x2 v[0:1], v[8:9], off offset:8
.LBB1_101:                              ;   in Loop: Header=BB1_31 Depth=1
	s_or_b32 exec_lo, exec_lo, s12
	s_waitcnt vmcnt(0)
	global_load_dwordx2 v[2:3], v[0:1], off offset:16
	s_waitcnt vmcnt(0)
	v_cmp_eq_u64_e32 vcc_lo, 0, v[2:3]
	s_cbranch_vccnz .LBB1_103
; %bb.102:                              ;   in Loop: Header=BB1_31 Depth=1
	global_load_dword v8, v[0:1], off offset:24
	s_waitcnt vmcnt(0)
	v_readfirstlane_b32 s12, v8
	s_waitcnt_vscnt null, 0x0
	global_store_dwordx2 v[2:3], v[8:9], off
	s_and_b32 m0, s12, 0x7fffff
	s_sendmsg sendmsg(MSG_INTERRUPT)
.LBB1_103:                              ;   in Loop: Header=BB1_31 Depth=1
	s_or_b32 exec_lo, exec_lo, s5
	v_add_co_u32 v0, vcc_lo, v37, v33
	v_add_co_ci_u32_e64 v1, null, 0, v27, vcc_lo
	s_branch .LBB1_107
	.p2align	6
.LBB1_104:                              ;   in Loop: Header=BB1_107 Depth=2
	s_or_b32 exec_lo, exec_lo, s5
	v_readfirstlane_b32 s5, v2
	s_cmp_eq_u32 s5, 0
	s_cbranch_scc1 .LBB1_106
; %bb.105:                              ;   in Loop: Header=BB1_107 Depth=2
	s_sleep 1
	s_cbranch_execnz .LBB1_107
	s_branch .LBB1_109
	.p2align	6
.LBB1_106:                              ;   in Loop: Header=BB1_31 Depth=1
	s_branch .LBB1_109
.LBB1_107:                              ;   Parent Loop BB1_31 Depth=1
                                        ; =>  This Inner Loop Header: Depth=2
	v_mov_b32_e32 v2, 1
	s_and_saveexec_b32 s5, s4
	s_cbranch_execz .LBB1_104
; %bb.108:                              ;   in Loop: Header=BB1_107 Depth=2
	global_load_dword v2, v[30:31], off offset:20 glc dlc
	s_waitcnt vmcnt(0)
	buffer_gl1_inv
	buffer_gl0_inv
	v_and_b32_e32 v2, 1, v2
	s_branch .LBB1_104
.LBB1_109:                              ;   in Loop: Header=BB1_31 Depth=1
	global_load_dwordx2 v[0:1], v[0:1], off
	s_and_saveexec_b32 s12, s4
	s_cbranch_execz .LBB1_30
; %bb.110:                              ;   in Loop: Header=BB1_31 Depth=1
	s_clause 0x2
	global_load_dwordx2 v[2:3], v9, s[6:7] offset:40
	global_load_dwordx2 v[16:17], v9, s[6:7] offset:24 glc dlc
	global_load_dwordx2 v[12:13], v9, s[6:7]
	s_waitcnt vmcnt(2)
	v_readfirstlane_b32 s16, v2
	v_readfirstlane_b32 s17, v3
	s_add_u32 s13, s16, 1
	s_addc_u32 s18, s17, 0
	s_add_u32 s4, s13, s10
	s_addc_u32 s5, s18, s11
	s_cmp_eq_u64 s[4:5], 0
	s_cselect_b32 s5, s18, s5
	s_cselect_b32 s4, s13, s4
	v_mov_b32_e32 v15, s5
	s_and_b64 s[10:11], s[4:5], s[16:17]
	v_mov_b32_e32 v14, s4
	s_mul_i32 s11, s11, 24
	s_mul_hi_u32 s13, s10, 24
	s_mul_i32 s10, s10, 24
	s_add_i32 s13, s13, s11
	s_waitcnt vmcnt(0)
	v_add_co_u32 v2, vcc_lo, v12, s10
	v_add_co_ci_u32_e64 v3, null, s13, v13, vcc_lo
	global_store_dwordx2 v[2:3], v[16:17], off
	s_waitcnt_vscnt null, 0x0
	global_atomic_cmpswap_x2 v[14:15], v9, v[14:17], s[6:7] offset:24 glc
	s_waitcnt vmcnt(0)
	v_cmp_ne_u64_e32 vcc_lo, v[14:15], v[16:17]
	s_and_b32 exec_lo, exec_lo, vcc_lo
	s_cbranch_execz .LBB1_30
; %bb.111:                              ;   in Loop: Header=BB1_31 Depth=1
	s_mov_b32 s10, 0
.LBB1_112:                              ;   Parent Loop BB1_31 Depth=1
                                        ; =>  This Inner Loop Header: Depth=2
	v_mov_b32_e32 v12, s4
	v_mov_b32_e32 v13, s5
	s_sleep 1
	global_store_dwordx2 v[2:3], v[14:15], off
	s_waitcnt_vscnt null, 0x0
	global_atomic_cmpswap_x2 v[12:13], v9, v[12:15], s[6:7] offset:24 glc
	s_waitcnt vmcnt(0)
	v_cmp_eq_u64_e32 vcc_lo, v[12:13], v[14:15]
	v_mov_b32_e32 v15, v13
	v_mov_b32_e32 v14, v12
	s_or_b32 s10, vcc_lo, s10
	s_andn2_b32 exec_lo, exec_lo, s10
	s_cbranch_execnz .LBB1_112
	s_branch .LBB1_30
.LBB1_113:
                                        ; implicit-def: $vgpr0_vgpr1
	s_cbranch_execnz .LBB1_115
	s_branch .LBB1_142
.LBB1_114:
	s_or_b32 exec_lo, exec_lo, s14
	s_branch .LBB1_142
.LBB1_115:
	v_readfirstlane_b32 s4, v32
	v_mov_b32_e32 v9, 0
	v_mov_b32_e32 v10, 0
	v_cmp_eq_u32_e64 s4, s4, v32
	s_and_saveexec_b32 s5, s4
	s_cbranch_execz .LBB1_121
; %bb.116:
	s_waitcnt vmcnt(0)
	v_mov_b32_e32 v0, 0
	s_mov_b32 s10, exec_lo
	global_load_dwordx2 v[11:12], v0, s[6:7] offset:24 glc dlc
	s_waitcnt vmcnt(0)
	buffer_gl1_inv
	buffer_gl0_inv
	s_clause 0x1
	global_load_dwordx2 v[1:2], v0, s[6:7] offset:40
	global_load_dwordx2 v[8:9], v0, s[6:7]
	s_waitcnt vmcnt(1)
	v_and_b32_e32 v2, v2, v12
	v_and_b32_e32 v1, v1, v11
	v_mul_lo_u32 v2, v2, 24
	v_mul_hi_u32 v3, v1, 24
	v_mul_lo_u32 v1, v1, 24
	v_add_nc_u32_e32 v2, v3, v2
	s_waitcnt vmcnt(0)
	v_add_co_u32 v1, vcc_lo, v8, v1
	v_add_co_ci_u32_e64 v2, null, v9, v2, vcc_lo
	global_load_dwordx2 v[9:10], v[1:2], off glc dlc
	s_waitcnt vmcnt(0)
	global_atomic_cmpswap_x2 v[9:10], v0, v[9:12], s[6:7] offset:24 glc
	s_waitcnt vmcnt(0)
	buffer_gl1_inv
	buffer_gl0_inv
	v_cmpx_ne_u64_e64 v[9:10], v[11:12]
	s_cbranch_execz .LBB1_120
; %bb.117:
	s_mov_b32 s11, 0
	.p2align	6
.LBB1_118:                              ; =>This Inner Loop Header: Depth=1
	s_sleep 1
	s_clause 0x1
	global_load_dwordx2 v[1:2], v0, s[6:7] offset:40
	global_load_dwordx2 v[13:14], v0, s[6:7]
	v_mov_b32_e32 v12, v10
	v_mov_b32_e32 v11, v9
	s_waitcnt vmcnt(1)
	v_and_b32_e32 v1, v1, v11
	v_and_b32_e32 v2, v2, v12
	s_waitcnt vmcnt(0)
	v_mad_u64_u32 v[8:9], null, v1, 24, v[13:14]
	v_mov_b32_e32 v1, v9
	v_mad_u64_u32 v[1:2], null, v2, 24, v[1:2]
	v_mov_b32_e32 v9, v1
	global_load_dwordx2 v[9:10], v[8:9], off glc dlc
	s_waitcnt vmcnt(0)
	global_atomic_cmpswap_x2 v[9:10], v0, v[9:12], s[6:7] offset:24 glc
	s_waitcnt vmcnt(0)
	buffer_gl1_inv
	buffer_gl0_inv
	v_cmp_eq_u64_e32 vcc_lo, v[9:10], v[11:12]
	s_or_b32 s11, vcc_lo, s11
	s_andn2_b32 exec_lo, exec_lo, s11
	s_cbranch_execnz .LBB1_118
; %bb.119:
	s_or_b32 exec_lo, exec_lo, s11
.LBB1_120:
	s_or_b32 exec_lo, exec_lo, s10
.LBB1_121:
	s_or_b32 exec_lo, exec_lo, s5
	v_mov_b32_e32 v8, 0
	v_readfirstlane_b32 s11, v10
	v_readfirstlane_b32 s10, v9
	s_mov_b32 s5, exec_lo
	s_clause 0x1
	global_load_dwordx2 v[11:12], v8, s[6:7] offset:40
	global_load_dwordx4 v[0:3], v8, s[6:7]
	s_waitcnt vmcnt(1)
	v_readfirstlane_b32 s12, v11
	v_readfirstlane_b32 s13, v12
	s_and_b64 s[12:13], s[12:13], s[10:11]
	s_mul_i32 s14, s13, 24
	s_mul_hi_u32 s15, s12, 24
	s_mul_i32 s16, s12, 24
	s_add_i32 s15, s15, s14
	s_waitcnt vmcnt(0)
	v_add_co_u32 v10, vcc_lo, v0, s16
	v_add_co_ci_u32_e64 v11, null, s15, v1, vcc_lo
	s_and_saveexec_b32 s14, s4
	s_cbranch_execz .LBB1_123
; %bb.122:
	v_mov_b32_e32 v12, s5
	v_mov_b32_e32 v13, v8
	;; [unrolled: 1-line block ×4, first 2 shown]
	global_store_dwordx4 v[10:11], v[12:15], off offset:8
.LBB1_123:
	s_or_b32 exec_lo, exec_lo, s14
	s_lshl_b64 s[12:13], s[12:13], 12
	v_and_or_b32 v6, 0xffffff1f, v6, 32
	v_add_co_u32 v2, vcc_lo, v2, s12
	v_add_co_ci_u32_e64 v3, null, s13, v3, vcc_lo
	s_mov_b32 s12, 0
	v_add_co_u32 v12, vcc_lo, v2, v33
	s_mov_b32 s15, s12
	s_mov_b32 s13, s12
	;; [unrolled: 1-line block ×3, first 2 shown]
	v_mov_b32_e32 v9, v8
	v_readfirstlane_b32 s16, v2
	v_readfirstlane_b32 s17, v3
	v_mov_b32_e32 v17, s15
	v_add_co_ci_u32_e64 v13, null, 0, v3, vcc_lo
	v_mov_b32_e32 v16, s14
	v_mov_b32_e32 v15, s13
	;; [unrolled: 1-line block ×3, first 2 shown]
	global_store_dwordx4 v33, v[6:9], s[16:17]
	global_store_dwordx4 v33, v[14:17], s[16:17] offset:16
	global_store_dwordx4 v33, v[14:17], s[16:17] offset:32
	;; [unrolled: 1-line block ×3, first 2 shown]
	s_and_saveexec_b32 s5, s4
	s_cbranch_execz .LBB1_131
; %bb.124:
	v_mov_b32_e32 v8, 0
	v_mov_b32_e32 v14, s10
	;; [unrolled: 1-line block ×3, first 2 shown]
	s_clause 0x1
	global_load_dwordx2 v[16:17], v8, s[6:7] offset:32 glc dlc
	global_load_dwordx2 v[2:3], v8, s[6:7] offset:40
	s_waitcnt vmcnt(0)
	v_readfirstlane_b32 s12, v2
	v_readfirstlane_b32 s13, v3
	s_and_b64 s[12:13], s[12:13], s[10:11]
	s_mul_i32 s13, s13, 24
	s_mul_hi_u32 s14, s12, 24
	s_mul_i32 s12, s12, 24
	s_add_i32 s14, s14, s13
	v_add_co_u32 v6, vcc_lo, v0, s12
	v_add_co_ci_u32_e64 v7, null, s14, v1, vcc_lo
	s_mov_b32 s12, exec_lo
	global_store_dwordx2 v[6:7], v[16:17], off
	s_waitcnt_vscnt null, 0x0
	global_atomic_cmpswap_x2 v[2:3], v8, v[14:17], s[6:7] offset:32 glc
	s_waitcnt vmcnt(0)
	v_cmpx_ne_u64_e64 v[2:3], v[16:17]
	s_cbranch_execz .LBB1_127
; %bb.125:
	s_mov_b32 s13, 0
.LBB1_126:                              ; =>This Inner Loop Header: Depth=1
	v_mov_b32_e32 v0, s10
	v_mov_b32_e32 v1, s11
	s_sleep 1
	global_store_dwordx2 v[6:7], v[2:3], off
	s_waitcnt_vscnt null, 0x0
	global_atomic_cmpswap_x2 v[0:1], v8, v[0:3], s[6:7] offset:32 glc
	s_waitcnt vmcnt(0)
	v_cmp_eq_u64_e32 vcc_lo, v[0:1], v[2:3]
	v_mov_b32_e32 v3, v1
	v_mov_b32_e32 v2, v0
	s_or_b32 s13, vcc_lo, s13
	s_andn2_b32 exec_lo, exec_lo, s13
	s_cbranch_execnz .LBB1_126
.LBB1_127:
	s_or_b32 exec_lo, exec_lo, s12
	v_mov_b32_e32 v3, 0
	s_mov_b32 s13, exec_lo
	s_mov_b32 s12, exec_lo
	v_mbcnt_lo_u32_b32 v2, s13, 0
	global_load_dwordx2 v[0:1], v3, s[6:7] offset:16
	v_cmpx_eq_u32_e32 0, v2
	s_cbranch_execz .LBB1_129
; %bb.128:
	s_bcnt1_i32_b32 s13, s13
	v_mov_b32_e32 v2, s13
	s_waitcnt vmcnt(0)
	global_atomic_add_x2 v[0:1], v[2:3], off offset:8
.LBB1_129:
	s_or_b32 exec_lo, exec_lo, s12
	s_waitcnt vmcnt(0)
	global_load_dwordx2 v[2:3], v[0:1], off offset:16
	s_waitcnt vmcnt(0)
	v_cmp_eq_u64_e32 vcc_lo, 0, v[2:3]
	s_cbranch_vccnz .LBB1_131
; %bb.130:
	global_load_dword v0, v[0:1], off offset:24
	v_mov_b32_e32 v1, 0
	s_waitcnt vmcnt(0)
	v_readfirstlane_b32 s12, v0
	s_waitcnt_vscnt null, 0x0
	global_store_dwordx2 v[2:3], v[0:1], off
	s_and_b32 m0, s12, 0x7fffff
	s_sendmsg sendmsg(MSG_INTERRUPT)
.LBB1_131:
	s_or_b32 exec_lo, exec_lo, s5
	s_branch .LBB1_135
	.p2align	6
.LBB1_132:                              ;   in Loop: Header=BB1_135 Depth=1
	s_or_b32 exec_lo, exec_lo, s5
	v_readfirstlane_b32 s5, v0
	s_cmp_eq_u32 s5, 0
	s_cbranch_scc1 .LBB1_134
; %bb.133:                              ;   in Loop: Header=BB1_135 Depth=1
	s_sleep 1
	s_cbranch_execnz .LBB1_135
	s_branch .LBB1_137
	.p2align	6
.LBB1_134:
	s_branch .LBB1_137
.LBB1_135:                              ; =>This Inner Loop Header: Depth=1
	v_mov_b32_e32 v0, 1
	s_and_saveexec_b32 s5, s4
	s_cbranch_execz .LBB1_132
; %bb.136:                              ;   in Loop: Header=BB1_135 Depth=1
	global_load_dword v0, v[10:11], off offset:20 glc dlc
	s_waitcnt vmcnt(0)
	buffer_gl1_inv
	buffer_gl0_inv
	v_and_b32_e32 v0, 1, v0
	s_branch .LBB1_132
.LBB1_137:
	global_load_dwordx2 v[0:1], v[12:13], off
	s_and_saveexec_b32 s12, s4
	s_cbranch_execz .LBB1_141
; %bb.138:
	v_mov_b32_e32 v10, 0
	s_clause 0x2
	global_load_dwordx2 v[2:3], v10, s[6:7] offset:40
	global_load_dwordx2 v[13:14], v10, s[6:7] offset:24 glc dlc
	global_load_dwordx2 v[6:7], v10, s[6:7]
	s_waitcnt vmcnt(2)
	v_readfirstlane_b32 s14, v2
	v_readfirstlane_b32 s15, v3
	s_add_u32 s13, s14, 1
	s_addc_u32 s16, s15, 0
	s_add_u32 s4, s13, s10
	s_addc_u32 s5, s16, s11
	s_cmp_eq_u64 s[4:5], 0
	s_cselect_b32 s5, s16, s5
	s_cselect_b32 s4, s13, s4
	v_mov_b32_e32 v12, s5
	s_and_b64 s[10:11], s[4:5], s[14:15]
	v_mov_b32_e32 v11, s4
	s_mul_i32 s11, s11, 24
	s_mul_hi_u32 s13, s10, 24
	s_mul_i32 s10, s10, 24
	s_add_i32 s13, s13, s11
	s_waitcnt vmcnt(0)
	v_add_co_u32 v2, vcc_lo, v6, s10
	v_add_co_ci_u32_e64 v3, null, s13, v7, vcc_lo
	global_store_dwordx2 v[2:3], v[13:14], off
	s_waitcnt_vscnt null, 0x0
	global_atomic_cmpswap_x2 v[8:9], v10, v[11:14], s[6:7] offset:24 glc
	s_waitcnt vmcnt(0)
	v_cmp_ne_u64_e32 vcc_lo, v[8:9], v[13:14]
	s_and_b32 exec_lo, exec_lo, vcc_lo
	s_cbranch_execz .LBB1_141
; %bb.139:
	s_mov_b32 s10, 0
.LBB1_140:                              ; =>This Inner Loop Header: Depth=1
	v_mov_b32_e32 v6, s4
	v_mov_b32_e32 v7, s5
	s_sleep 1
	global_store_dwordx2 v[2:3], v[8:9], off
	s_waitcnt_vscnt null, 0x0
	global_atomic_cmpswap_x2 v[6:7], v10, v[6:9], s[6:7] offset:24 glc
	s_waitcnt vmcnt(0)
	v_cmp_eq_u64_e32 vcc_lo, v[6:7], v[8:9]
	v_mov_b32_e32 v9, v7
	v_mov_b32_e32 v8, v6
	s_or_b32 s10, vcc_lo, s10
	s_andn2_b32 exec_lo, exec_lo, s10
	s_cbranch_execnz .LBB1_140
.LBB1_141:
	s_or_b32 exec_lo, exec_lo, s12
.LBB1_142:
	s_getpc_b64 s[10:11]
	s_add_u32 s10, s10, .str.4@rel32@lo+4
	s_addc_u32 s11, s11, .str.4@rel32@hi+12
	s_cmp_lg_u64 s[10:11], 0
	s_cbranch_scc0 .LBB1_220
; %bb.143:
	s_getpc_b64 s[4:5]
	s_add_u32 s4, s4, .str.4@rel32@lo+80
	s_addc_u32 s5, s5, .str.4@rel32@hi+88
	s_waitcnt vmcnt(0)
	v_and_b32_e32 v30, 2, v0
	v_mov_b32_e32 v11, 0
	v_and_b32_e32 v6, -3, v0
	v_mov_b32_e32 v7, v1
	v_mov_b32_e32 v12, 2
	;; [unrolled: 1-line block ×3, first 2 shown]
	s_sub_i32 s12, s4, s10
	s_ashr_i32 s13, s12, 31
	s_branch .LBB1_145
.LBB1_144:                              ;   in Loop: Header=BB1_145 Depth=1
	s_or_b32 exec_lo, exec_lo, s18
	s_sub_u32 s12, s12, s14
	s_subb_u32 s13, s13, s15
	s_add_u32 s10, s10, s14
	s_addc_u32 s11, s11, s15
	s_cmp_lg_u64 s[12:13], 0
	s_cbranch_scc0 .LBB1_221
.LBB1_145:                              ; =>This Loop Header: Depth=1
                                        ;     Child Loop BB1_148 Depth 2
                                        ;     Child Loop BB1_155 Depth 2
                                        ;     Child Loop BB1_162 Depth 2
                                        ;     Child Loop BB1_169 Depth 2
                                        ;     Child Loop BB1_176 Depth 2
                                        ;     Child Loop BB1_183 Depth 2
                                        ;     Child Loop BB1_190 Depth 2
                                        ;     Child Loop BB1_197 Depth 2
                                        ;     Child Loop BB1_205 Depth 2
                                        ;     Child Loop BB1_214 Depth 2
                                        ;     Child Loop BB1_219 Depth 2
	v_cmp_lt_u64_e64 s4, s[12:13], 56
	v_cmp_gt_u64_e64 s16, s[12:13], 7
	s_and_b32 s4, s4, exec_lo
	s_cselect_b32 s15, s13, 0
	s_cselect_b32 s14, s12, 56
	s_add_u32 s4, s10, 8
	s_addc_u32 s5, s11, 0
	s_and_b32 vcc_lo, exec_lo, s16
	s_cbranch_vccnz .LBB1_150
; %bb.146:                              ;   in Loop: Header=BB1_145 Depth=1
	v_mov_b32_e32 v8, 0
	v_mov_b32_e32 v9, 0
	s_cmp_eq_u64 s[12:13], 0
	s_cbranch_scc1 .LBB1_149
; %bb.147:                              ;   in Loop: Header=BB1_145 Depth=1
	s_lshl_b64 s[4:5], s[14:15], 3
	s_mov_b64 s[16:17], 0
	s_mov_b64 s[18:19], s[10:11]
.LBB1_148:                              ;   Parent Loop BB1_145 Depth=1
                                        ; =>  This Inner Loop Header: Depth=2
	global_load_ubyte v2, v11, s[18:19]
	s_waitcnt vmcnt(0)
	v_and_b32_e32 v10, 0xffff, v2
	v_lshlrev_b64 v[2:3], s16, v[10:11]
	s_add_u32 s16, s16, 8
	s_addc_u32 s17, s17, 0
	s_add_u32 s18, s18, 1
	s_addc_u32 s19, s19, 0
	s_cmp_lg_u32 s4, s16
	v_or_b32_e32 v8, v2, v8
	v_or_b32_e32 v9, v3, v9
	s_cbranch_scc1 .LBB1_148
.LBB1_149:                              ;   in Loop: Header=BB1_145 Depth=1
	s_mov_b64 s[4:5], s[10:11]
	s_mov_b32 s20, 0
	s_cbranch_execz .LBB1_151
	s_branch .LBB1_152
.LBB1_150:                              ;   in Loop: Header=BB1_145 Depth=1
	s_mov_b32 s20, 0
.LBB1_151:                              ;   in Loop: Header=BB1_145 Depth=1
	global_load_dwordx2 v[8:9], v11, s[10:11]
	s_add_i32 s20, s14, -8
.LBB1_152:                              ;   in Loop: Header=BB1_145 Depth=1
	s_add_u32 s16, s4, 8
	s_addc_u32 s17, s5, 0
	s_cmp_gt_u32 s20, 7
	s_cbranch_scc1 .LBB1_157
; %bb.153:                              ;   in Loop: Header=BB1_145 Depth=1
	v_mov_b32_e32 v14, 0
	v_mov_b32_e32 v15, 0
	s_cmp_eq_u32 s20, 0
	s_cbranch_scc1 .LBB1_156
; %bb.154:                              ;   in Loop: Header=BB1_145 Depth=1
	s_mov_b64 s[16:17], 0
	s_mov_b64 s[18:19], 0
.LBB1_155:                              ;   Parent Loop BB1_145 Depth=1
                                        ; =>  This Inner Loop Header: Depth=2
	s_add_u32 s22, s4, s18
	s_addc_u32 s23, s5, s19
	s_add_u32 s18, s18, 1
	global_load_ubyte v2, v11, s[22:23]
	s_addc_u32 s19, s19, 0
	s_waitcnt vmcnt(0)
	v_and_b32_e32 v10, 0xffff, v2
	v_lshlrev_b64 v[2:3], s16, v[10:11]
	s_add_u32 s16, s16, 8
	s_addc_u32 s17, s17, 0
	s_cmp_lg_u32 s20, s18
	v_or_b32_e32 v14, v2, v14
	v_or_b32_e32 v15, v3, v15
	s_cbranch_scc1 .LBB1_155
.LBB1_156:                              ;   in Loop: Header=BB1_145 Depth=1
	s_mov_b64 s[16:17], s[4:5]
	s_mov_b32 s21, 0
	s_cbranch_execz .LBB1_158
	s_branch .LBB1_159
.LBB1_157:                              ;   in Loop: Header=BB1_145 Depth=1
                                        ; implicit-def: $vgpr14_vgpr15
	s_mov_b32 s21, 0
.LBB1_158:                              ;   in Loop: Header=BB1_145 Depth=1
	global_load_dwordx2 v[14:15], v11, s[4:5]
	s_add_i32 s21, s20, -8
.LBB1_159:                              ;   in Loop: Header=BB1_145 Depth=1
	s_add_u32 s4, s16, 8
	s_addc_u32 s5, s17, 0
	s_cmp_gt_u32 s21, 7
	s_cbranch_scc1 .LBB1_164
; %bb.160:                              ;   in Loop: Header=BB1_145 Depth=1
	v_mov_b32_e32 v16, 0
	v_mov_b32_e32 v17, 0
	s_cmp_eq_u32 s21, 0
	s_cbranch_scc1 .LBB1_163
; %bb.161:                              ;   in Loop: Header=BB1_145 Depth=1
	s_mov_b64 s[4:5], 0
	s_mov_b64 s[18:19], 0
.LBB1_162:                              ;   Parent Loop BB1_145 Depth=1
                                        ; =>  This Inner Loop Header: Depth=2
	s_add_u32 s22, s16, s18
	s_addc_u32 s23, s17, s19
	s_add_u32 s18, s18, 1
	global_load_ubyte v2, v11, s[22:23]
	s_addc_u32 s19, s19, 0
	s_waitcnt vmcnt(0)
	v_and_b32_e32 v10, 0xffff, v2
	v_lshlrev_b64 v[2:3], s4, v[10:11]
	s_add_u32 s4, s4, 8
	s_addc_u32 s5, s5, 0
	s_cmp_lg_u32 s21, s18
	v_or_b32_e32 v16, v2, v16
	v_or_b32_e32 v17, v3, v17
	s_cbranch_scc1 .LBB1_162
.LBB1_163:                              ;   in Loop: Header=BB1_145 Depth=1
	s_mov_b64 s[4:5], s[16:17]
	s_mov_b32 s20, 0
	s_cbranch_execz .LBB1_165
	s_branch .LBB1_166
.LBB1_164:                              ;   in Loop: Header=BB1_145 Depth=1
	s_mov_b32 s20, 0
.LBB1_165:                              ;   in Loop: Header=BB1_145 Depth=1
	global_load_dwordx2 v[16:17], v11, s[16:17]
	s_add_i32 s20, s21, -8
.LBB1_166:                              ;   in Loop: Header=BB1_145 Depth=1
	s_add_u32 s16, s4, 8
	s_addc_u32 s17, s5, 0
	s_cmp_gt_u32 s20, 7
	s_cbranch_scc1 .LBB1_171
; %bb.167:                              ;   in Loop: Header=BB1_145 Depth=1
	v_mov_b32_e32 v18, 0
	v_mov_b32_e32 v19, 0
	s_cmp_eq_u32 s20, 0
	s_cbranch_scc1 .LBB1_170
; %bb.168:                              ;   in Loop: Header=BB1_145 Depth=1
	s_mov_b64 s[16:17], 0
	s_mov_b64 s[18:19], 0
.LBB1_169:                              ;   Parent Loop BB1_145 Depth=1
                                        ; =>  This Inner Loop Header: Depth=2
	s_add_u32 s22, s4, s18
	s_addc_u32 s23, s5, s19
	s_add_u32 s18, s18, 1
	global_load_ubyte v2, v11, s[22:23]
	s_addc_u32 s19, s19, 0
	s_waitcnt vmcnt(0)
	v_and_b32_e32 v10, 0xffff, v2
	v_lshlrev_b64 v[2:3], s16, v[10:11]
	s_add_u32 s16, s16, 8
	s_addc_u32 s17, s17, 0
	s_cmp_lg_u32 s20, s18
	v_or_b32_e32 v18, v2, v18
	v_or_b32_e32 v19, v3, v19
	s_cbranch_scc1 .LBB1_169
.LBB1_170:                              ;   in Loop: Header=BB1_145 Depth=1
	s_mov_b64 s[16:17], s[4:5]
	s_mov_b32 s21, 0
	s_cbranch_execz .LBB1_172
	s_branch .LBB1_173
.LBB1_171:                              ;   in Loop: Header=BB1_145 Depth=1
                                        ; implicit-def: $vgpr18_vgpr19
	s_mov_b32 s21, 0
.LBB1_172:                              ;   in Loop: Header=BB1_145 Depth=1
	global_load_dwordx2 v[18:19], v11, s[4:5]
	s_add_i32 s21, s20, -8
.LBB1_173:                              ;   in Loop: Header=BB1_145 Depth=1
	s_add_u32 s4, s16, 8
	s_addc_u32 s5, s17, 0
	s_cmp_gt_u32 s21, 7
	s_cbranch_scc1 .LBB1_178
; %bb.174:                              ;   in Loop: Header=BB1_145 Depth=1
	v_mov_b32_e32 v20, 0
	v_mov_b32_e32 v21, 0
	s_cmp_eq_u32 s21, 0
	s_cbranch_scc1 .LBB1_177
; %bb.175:                              ;   in Loop: Header=BB1_145 Depth=1
	s_mov_b64 s[4:5], 0
	s_mov_b64 s[18:19], 0
.LBB1_176:                              ;   Parent Loop BB1_145 Depth=1
                                        ; =>  This Inner Loop Header: Depth=2
	s_add_u32 s22, s16, s18
	s_addc_u32 s23, s17, s19
	s_add_u32 s18, s18, 1
	global_load_ubyte v2, v11, s[22:23]
	s_addc_u32 s19, s19, 0
	s_waitcnt vmcnt(0)
	v_and_b32_e32 v10, 0xffff, v2
	v_lshlrev_b64 v[2:3], s4, v[10:11]
	s_add_u32 s4, s4, 8
	s_addc_u32 s5, s5, 0
	s_cmp_lg_u32 s21, s18
	v_or_b32_e32 v20, v2, v20
	v_or_b32_e32 v21, v3, v21
	s_cbranch_scc1 .LBB1_176
.LBB1_177:                              ;   in Loop: Header=BB1_145 Depth=1
	s_mov_b64 s[4:5], s[16:17]
	s_mov_b32 s20, 0
	s_cbranch_execz .LBB1_179
	s_branch .LBB1_180
.LBB1_178:                              ;   in Loop: Header=BB1_145 Depth=1
	s_mov_b32 s20, 0
.LBB1_179:                              ;   in Loop: Header=BB1_145 Depth=1
	global_load_dwordx2 v[20:21], v11, s[16:17]
	s_add_i32 s20, s21, -8
.LBB1_180:                              ;   in Loop: Header=BB1_145 Depth=1
	s_add_u32 s16, s4, 8
	s_addc_u32 s17, s5, 0
	s_cmp_gt_u32 s20, 7
	s_cbranch_scc1 .LBB1_185
; %bb.181:                              ;   in Loop: Header=BB1_145 Depth=1
	v_mov_b32_e32 v22, 0
	v_mov_b32_e32 v23, 0
	s_cmp_eq_u32 s20, 0
	s_cbranch_scc1 .LBB1_184
; %bb.182:                              ;   in Loop: Header=BB1_145 Depth=1
	s_mov_b64 s[16:17], 0
	s_mov_b64 s[18:19], 0
.LBB1_183:                              ;   Parent Loop BB1_145 Depth=1
                                        ; =>  This Inner Loop Header: Depth=2
	s_add_u32 s22, s4, s18
	s_addc_u32 s23, s5, s19
	s_add_u32 s18, s18, 1
	global_load_ubyte v2, v11, s[22:23]
	s_addc_u32 s19, s19, 0
	s_waitcnt vmcnt(0)
	v_and_b32_e32 v10, 0xffff, v2
	v_lshlrev_b64 v[2:3], s16, v[10:11]
	s_add_u32 s16, s16, 8
	s_addc_u32 s17, s17, 0
	s_cmp_lg_u32 s20, s18
	v_or_b32_e32 v22, v2, v22
	v_or_b32_e32 v23, v3, v23
	s_cbranch_scc1 .LBB1_183
.LBB1_184:                              ;   in Loop: Header=BB1_145 Depth=1
	s_mov_b64 s[16:17], s[4:5]
	s_mov_b32 s21, 0
	s_cbranch_execz .LBB1_186
	s_branch .LBB1_187
.LBB1_185:                              ;   in Loop: Header=BB1_145 Depth=1
                                        ; implicit-def: $vgpr22_vgpr23
	s_mov_b32 s21, 0
.LBB1_186:                              ;   in Loop: Header=BB1_145 Depth=1
	global_load_dwordx2 v[22:23], v11, s[4:5]
	s_add_i32 s21, s20, -8
.LBB1_187:                              ;   in Loop: Header=BB1_145 Depth=1
	s_cmp_gt_u32 s21, 7
	s_cbranch_scc1 .LBB1_192
; %bb.188:                              ;   in Loop: Header=BB1_145 Depth=1
	v_mov_b32_e32 v24, 0
	v_mov_b32_e32 v25, 0
	s_cmp_eq_u32 s21, 0
	s_cbranch_scc1 .LBB1_191
; %bb.189:                              ;   in Loop: Header=BB1_145 Depth=1
	s_mov_b64 s[4:5], 0
	s_mov_b64 s[18:19], s[16:17]
.LBB1_190:                              ;   Parent Loop BB1_145 Depth=1
                                        ; =>  This Inner Loop Header: Depth=2
	global_load_ubyte v2, v11, s[18:19]
	s_add_i32 s21, s21, -1
	s_waitcnt vmcnt(0)
	v_and_b32_e32 v10, 0xffff, v2
	v_lshlrev_b64 v[2:3], s4, v[10:11]
	s_add_u32 s4, s4, 8
	s_addc_u32 s5, s5, 0
	s_add_u32 s18, s18, 1
	s_addc_u32 s19, s19, 0
	s_cmp_lg_u32 s21, 0
	v_or_b32_e32 v24, v2, v24
	v_or_b32_e32 v25, v3, v25
	s_cbranch_scc1 .LBB1_190
.LBB1_191:                              ;   in Loop: Header=BB1_145 Depth=1
	s_cbranch_execz .LBB1_193
	s_branch .LBB1_194
.LBB1_192:                              ;   in Loop: Header=BB1_145 Depth=1
.LBB1_193:                              ;   in Loop: Header=BB1_145 Depth=1
	global_load_dwordx2 v[24:25], v11, s[16:17]
.LBB1_194:                              ;   in Loop: Header=BB1_145 Depth=1
	v_readfirstlane_b32 s4, v32
	v_mov_b32_e32 v2, 0
	v_mov_b32_e32 v3, 0
	v_cmp_eq_u32_e64 s4, s4, v32
	s_and_saveexec_b32 s5, s4
	s_cbranch_execz .LBB1_200
; %bb.195:                              ;   in Loop: Header=BB1_145 Depth=1
	global_load_dwordx2 v[28:29], v11, s[6:7] offset:24 glc dlc
	s_waitcnt vmcnt(0)
	buffer_gl1_inv
	buffer_gl0_inv
	s_clause 0x1
	global_load_dwordx2 v[2:3], v11, s[6:7] offset:40
	global_load_dwordx2 v[26:27], v11, s[6:7]
	s_mov_b32 s16, exec_lo
	s_waitcnt vmcnt(1)
	v_and_b32_e32 v3, v3, v29
	v_and_b32_e32 v2, v2, v28
	v_mul_lo_u32 v3, v3, 24
	v_mul_hi_u32 v10, v2, 24
	v_mul_lo_u32 v2, v2, 24
	v_add_nc_u32_e32 v3, v10, v3
	s_waitcnt vmcnt(0)
	v_add_co_u32 v2, vcc_lo, v26, v2
	v_add_co_ci_u32_e64 v3, null, v27, v3, vcc_lo
	global_load_dwordx2 v[26:27], v[2:3], off glc dlc
	s_waitcnt vmcnt(0)
	global_atomic_cmpswap_x2 v[2:3], v11, v[26:29], s[6:7] offset:24 glc
	s_waitcnt vmcnt(0)
	buffer_gl1_inv
	buffer_gl0_inv
	v_cmpx_ne_u64_e64 v[2:3], v[28:29]
	s_cbranch_execz .LBB1_199
; %bb.196:                              ;   in Loop: Header=BB1_145 Depth=1
	s_mov_b32 s17, 0
	.p2align	6
.LBB1_197:                              ;   Parent Loop BB1_145 Depth=1
                                        ; =>  This Inner Loop Header: Depth=2
	s_sleep 1
	s_clause 0x1
	global_load_dwordx2 v[26:27], v11, s[6:7] offset:40
	global_load_dwordx2 v[34:35], v11, s[6:7]
	v_mov_b32_e32 v29, v3
	v_mov_b32_e32 v28, v2
	s_waitcnt vmcnt(1)
	v_and_b32_e32 v2, v26, v28
	v_and_b32_e32 v10, v27, v29
	s_waitcnt vmcnt(0)
	v_mad_u64_u32 v[2:3], null, v2, 24, v[34:35]
	v_mad_u64_u32 v[26:27], null, v10, 24, v[3:4]
	v_mov_b32_e32 v3, v26
	global_load_dwordx2 v[26:27], v[2:3], off glc dlc
	s_waitcnt vmcnt(0)
	global_atomic_cmpswap_x2 v[2:3], v11, v[26:29], s[6:7] offset:24 glc
	s_waitcnt vmcnt(0)
	buffer_gl1_inv
	buffer_gl0_inv
	v_cmp_eq_u64_e32 vcc_lo, v[2:3], v[28:29]
	s_or_b32 s17, vcc_lo, s17
	s_andn2_b32 exec_lo, exec_lo, s17
	s_cbranch_execnz .LBB1_197
; %bb.198:                              ;   in Loop: Header=BB1_145 Depth=1
	s_or_b32 exec_lo, exec_lo, s17
.LBB1_199:                              ;   in Loop: Header=BB1_145 Depth=1
	s_or_b32 exec_lo, exec_lo, s16
.LBB1_200:                              ;   in Loop: Header=BB1_145 Depth=1
	s_or_b32 exec_lo, exec_lo, s5
	s_clause 0x1
	global_load_dwordx2 v[34:35], v11, s[6:7] offset:40
	global_load_dwordx4 v[26:29], v11, s[6:7]
	v_readfirstlane_b32 s17, v3
	v_readfirstlane_b32 s16, v2
	s_mov_b32 s5, exec_lo
	s_waitcnt vmcnt(1)
	v_readfirstlane_b32 s18, v34
	v_readfirstlane_b32 s19, v35
	s_and_b64 s[18:19], s[18:19], s[16:17]
	s_mul_i32 s20, s19, 24
	s_mul_hi_u32 s21, s18, 24
	s_mul_i32 s22, s18, 24
	s_add_i32 s21, s21, s20
	s_waitcnt vmcnt(0)
	v_add_co_u32 v2, vcc_lo, v26, s22
	v_add_co_ci_u32_e64 v3, null, s21, v27, vcc_lo
	s_and_saveexec_b32 s20, s4
	s_cbranch_execz .LBB1_202
; %bb.201:                              ;   in Loop: Header=BB1_145 Depth=1
	v_mov_b32_e32 v10, s5
	global_store_dwordx4 v[2:3], v[10:13], off offset:8
.LBB1_202:                              ;   in Loop: Header=BB1_145 Depth=1
	s_or_b32 exec_lo, exec_lo, s20
	v_cmp_lt_u64_e64 vcc_lo, s[12:13], 57
	s_lshl_b64 s[18:19], s[18:19], 12
	v_and_b32_e32 v6, 0xffffff1f, v6
	s_lshl_b32 s5, s14, 2
	s_add_i32 s5, s5, 28
	v_cndmask_b32_e32 v10, 0, v30, vcc_lo
	v_add_co_u32 v28, vcc_lo, v28, s18
	v_add_co_ci_u32_e64 v29, null, s19, v29, vcc_lo
	v_or_b32_e32 v6, v6, v10
	v_readfirstlane_b32 s18, v28
	v_readfirstlane_b32 s19, v29
	v_and_or_b32 v6, 0x1e0, s5, v6
	global_store_dwordx4 v33, v[14:17], s[18:19] offset:16
	global_store_dwordx4 v33, v[6:9], s[18:19]
	global_store_dwordx4 v33, v[18:21], s[18:19] offset:32
	global_store_dwordx4 v33, v[22:25], s[18:19] offset:48
	s_and_saveexec_b32 s5, s4
	s_cbranch_execz .LBB1_210
; %bb.203:                              ;   in Loop: Header=BB1_145 Depth=1
	s_clause 0x1
	global_load_dwordx2 v[18:19], v11, s[6:7] offset:32 glc dlc
	global_load_dwordx2 v[6:7], v11, s[6:7] offset:40
	v_mov_b32_e32 v16, s16
	v_mov_b32_e32 v17, s17
	s_waitcnt vmcnt(0)
	v_readfirstlane_b32 s18, v6
	v_readfirstlane_b32 s19, v7
	s_and_b64 s[18:19], s[18:19], s[16:17]
	s_mul_i32 s19, s19, 24
	s_mul_hi_u32 s20, s18, 24
	s_mul_i32 s18, s18, 24
	s_add_i32 s20, s20, s19
	v_add_co_u32 v14, vcc_lo, v26, s18
	v_add_co_ci_u32_e64 v15, null, s20, v27, vcc_lo
	s_mov_b32 s18, exec_lo
	global_store_dwordx2 v[14:15], v[18:19], off
	s_waitcnt_vscnt null, 0x0
	global_atomic_cmpswap_x2 v[8:9], v11, v[16:19], s[6:7] offset:32 glc
	s_waitcnt vmcnt(0)
	v_cmpx_ne_u64_e64 v[8:9], v[18:19]
	s_cbranch_execz .LBB1_206
; %bb.204:                              ;   in Loop: Header=BB1_145 Depth=1
	s_mov_b32 s19, 0
.LBB1_205:                              ;   Parent Loop BB1_145 Depth=1
                                        ; =>  This Inner Loop Header: Depth=2
	v_mov_b32_e32 v6, s16
	v_mov_b32_e32 v7, s17
	s_sleep 1
	global_store_dwordx2 v[14:15], v[8:9], off
	s_waitcnt_vscnt null, 0x0
	global_atomic_cmpswap_x2 v[6:7], v11, v[6:9], s[6:7] offset:32 glc
	s_waitcnt vmcnt(0)
	v_cmp_eq_u64_e32 vcc_lo, v[6:7], v[8:9]
	v_mov_b32_e32 v9, v7
	v_mov_b32_e32 v8, v6
	s_or_b32 s19, vcc_lo, s19
	s_andn2_b32 exec_lo, exec_lo, s19
	s_cbranch_execnz .LBB1_205
.LBB1_206:                              ;   in Loop: Header=BB1_145 Depth=1
	s_or_b32 exec_lo, exec_lo, s18
	global_load_dwordx2 v[6:7], v11, s[6:7] offset:16
	s_mov_b32 s19, exec_lo
	s_mov_b32 s18, exec_lo
	v_mbcnt_lo_u32_b32 v8, s19, 0
	v_cmpx_eq_u32_e32 0, v8
	s_cbranch_execz .LBB1_208
; %bb.207:                              ;   in Loop: Header=BB1_145 Depth=1
	s_bcnt1_i32_b32 s19, s19
	v_mov_b32_e32 v10, s19
	s_waitcnt vmcnt(0)
	global_atomic_add_x2 v[6:7], v[10:11], off offset:8
.LBB1_208:                              ;   in Loop: Header=BB1_145 Depth=1
	s_or_b32 exec_lo, exec_lo, s18
	s_waitcnt vmcnt(0)
	global_load_dwordx2 v[8:9], v[6:7], off offset:16
	s_waitcnt vmcnt(0)
	v_cmp_eq_u64_e32 vcc_lo, 0, v[8:9]
	s_cbranch_vccnz .LBB1_210
; %bb.209:                              ;   in Loop: Header=BB1_145 Depth=1
	global_load_dword v10, v[6:7], off offset:24
	s_waitcnt vmcnt(0)
	v_readfirstlane_b32 s18, v10
	s_waitcnt_vscnt null, 0x0
	global_store_dwordx2 v[8:9], v[10:11], off
	s_and_b32 m0, s18, 0x7fffff
	s_sendmsg sendmsg(MSG_INTERRUPT)
.LBB1_210:                              ;   in Loop: Header=BB1_145 Depth=1
	s_or_b32 exec_lo, exec_lo, s5
	v_add_co_u32 v6, vcc_lo, v28, v33
	v_add_co_ci_u32_e64 v7, null, 0, v29, vcc_lo
	s_branch .LBB1_214
	.p2align	6
.LBB1_211:                              ;   in Loop: Header=BB1_214 Depth=2
	s_or_b32 exec_lo, exec_lo, s5
	v_readfirstlane_b32 s5, v8
	s_cmp_eq_u32 s5, 0
	s_cbranch_scc1 .LBB1_213
; %bb.212:                              ;   in Loop: Header=BB1_214 Depth=2
	s_sleep 1
	s_cbranch_execnz .LBB1_214
	s_branch .LBB1_216
	.p2align	6
.LBB1_213:                              ;   in Loop: Header=BB1_145 Depth=1
	s_branch .LBB1_216
.LBB1_214:                              ;   Parent Loop BB1_145 Depth=1
                                        ; =>  This Inner Loop Header: Depth=2
	v_mov_b32_e32 v8, 1
	s_and_saveexec_b32 s5, s4
	s_cbranch_execz .LBB1_211
; %bb.215:                              ;   in Loop: Header=BB1_214 Depth=2
	global_load_dword v8, v[2:3], off offset:20 glc dlc
	s_waitcnt vmcnt(0)
	buffer_gl1_inv
	buffer_gl0_inv
	v_and_b32_e32 v8, 1, v8
	s_branch .LBB1_211
.LBB1_216:                              ;   in Loop: Header=BB1_145 Depth=1
	global_load_dwordx2 v[6:7], v[6:7], off
	s_and_saveexec_b32 s18, s4
	s_cbranch_execz .LBB1_144
; %bb.217:                              ;   in Loop: Header=BB1_145 Depth=1
	s_clause 0x2
	global_load_dwordx2 v[2:3], v11, s[6:7] offset:40
	global_load_dwordx2 v[18:19], v11, s[6:7] offset:24 glc dlc
	global_load_dwordx2 v[8:9], v11, s[6:7]
	s_waitcnt vmcnt(2)
	v_readfirstlane_b32 s20, v2
	v_readfirstlane_b32 s21, v3
	s_add_u32 s19, s20, 1
	s_addc_u32 s22, s21, 0
	s_add_u32 s4, s19, s16
	s_addc_u32 s5, s22, s17
	s_cmp_eq_u64 s[4:5], 0
	s_cselect_b32 s5, s22, s5
	s_cselect_b32 s4, s19, s4
	v_mov_b32_e32 v17, s5
	s_and_b64 s[16:17], s[4:5], s[20:21]
	v_mov_b32_e32 v16, s4
	s_mul_i32 s17, s17, 24
	s_mul_hi_u32 s19, s16, 24
	s_mul_i32 s16, s16, 24
	s_add_i32 s19, s19, s17
	s_waitcnt vmcnt(0)
	v_add_co_u32 v2, vcc_lo, v8, s16
	v_add_co_ci_u32_e64 v3, null, s19, v9, vcc_lo
	global_store_dwordx2 v[2:3], v[18:19], off
	s_waitcnt_vscnt null, 0x0
	global_atomic_cmpswap_x2 v[16:17], v11, v[16:19], s[6:7] offset:24 glc
	s_waitcnt vmcnt(0)
	v_cmp_ne_u64_e32 vcc_lo, v[16:17], v[18:19]
	s_and_b32 exec_lo, exec_lo, vcc_lo
	s_cbranch_execz .LBB1_144
; %bb.218:                              ;   in Loop: Header=BB1_145 Depth=1
	s_mov_b32 s16, 0
.LBB1_219:                              ;   Parent Loop BB1_145 Depth=1
                                        ; =>  This Inner Loop Header: Depth=2
	v_mov_b32_e32 v14, s4
	v_mov_b32_e32 v15, s5
	s_sleep 1
	global_store_dwordx2 v[2:3], v[16:17], off
	s_waitcnt_vscnt null, 0x0
	global_atomic_cmpswap_x2 v[8:9], v11, v[14:17], s[6:7] offset:24 glc
	s_waitcnt vmcnt(0)
	v_cmp_eq_u64_e32 vcc_lo, v[8:9], v[16:17]
	v_mov_b32_e32 v17, v9
	v_mov_b32_e32 v16, v8
	s_or_b32 s16, vcc_lo, s16
	s_andn2_b32 exec_lo, exec_lo, s16
	s_cbranch_execnz .LBB1_219
	s_branch .LBB1_144
.LBB1_220:
                                        ; implicit-def: $vgpr6_vgpr7
	s_cbranch_execnz .LBB1_222
	s_branch .LBB1_249
.LBB1_221:
	s_branch .LBB1_249
.LBB1_222:
	v_readfirstlane_b32 s4, v32
	v_mov_b32_e32 v10, 0
	v_mov_b32_e32 v11, 0
	v_cmp_eq_u32_e64 s4, s4, v32
	s_and_saveexec_b32 s5, s4
	s_cbranch_execz .LBB1_228
; %bb.223:
	v_mov_b32_e32 v2, 0
	s_mov_b32 s10, exec_lo
	global_load_dwordx2 v[8:9], v2, s[6:7] offset:24 glc dlc
	s_waitcnt vmcnt(0)
	buffer_gl1_inv
	buffer_gl0_inv
	s_clause 0x1
	global_load_dwordx2 v[6:7], v2, s[6:7] offset:40
	global_load_dwordx2 v[10:11], v2, s[6:7]
	s_waitcnt vmcnt(1)
	v_and_b32_e32 v3, v7, v9
	v_and_b32_e32 v6, v6, v8
	v_mul_lo_u32 v3, v3, 24
	v_mul_hi_u32 v7, v6, 24
	v_mul_lo_u32 v6, v6, 24
	v_add_nc_u32_e32 v3, v7, v3
	s_waitcnt vmcnt(0)
	v_add_co_u32 v6, vcc_lo, v10, v6
	v_add_co_ci_u32_e64 v7, null, v11, v3, vcc_lo
	global_load_dwordx2 v[6:7], v[6:7], off glc dlc
	s_waitcnt vmcnt(0)
	global_atomic_cmpswap_x2 v[10:11], v2, v[6:9], s[6:7] offset:24 glc
	s_waitcnt vmcnt(0)
	buffer_gl1_inv
	buffer_gl0_inv
	v_cmpx_ne_u64_e64 v[10:11], v[8:9]
	s_cbranch_execz .LBB1_227
; %bb.224:
	s_mov_b32 s11, 0
	.p2align	6
.LBB1_225:                              ; =>This Inner Loop Header: Depth=1
	s_sleep 1
	s_clause 0x1
	global_load_dwordx2 v[6:7], v2, s[6:7] offset:40
	global_load_dwordx2 v[12:13], v2, s[6:7]
	v_mov_b32_e32 v8, v10
	v_mov_b32_e32 v9, v11
	s_waitcnt vmcnt(1)
	v_and_b32_e32 v3, v6, v8
	v_and_b32_e32 v6, v7, v9
	s_waitcnt vmcnt(0)
	v_mad_u64_u32 v[10:11], null, v3, 24, v[12:13]
	v_mov_b32_e32 v3, v11
	v_mad_u64_u32 v[6:7], null, v6, 24, v[3:4]
	v_mov_b32_e32 v11, v6
	global_load_dwordx2 v[6:7], v[10:11], off glc dlc
	s_waitcnt vmcnt(0)
	global_atomic_cmpswap_x2 v[10:11], v2, v[6:9], s[6:7] offset:24 glc
	s_waitcnt vmcnt(0)
	buffer_gl1_inv
	buffer_gl0_inv
	v_cmp_eq_u64_e32 vcc_lo, v[10:11], v[8:9]
	s_or_b32 s11, vcc_lo, s11
	s_andn2_b32 exec_lo, exec_lo, s11
	s_cbranch_execnz .LBB1_225
; %bb.226:
	s_or_b32 exec_lo, exec_lo, s11
.LBB1_227:
	s_or_b32 exec_lo, exec_lo, s10
.LBB1_228:
	s_or_b32 exec_lo, exec_lo, s5
	v_mov_b32_e32 v2, 0
	v_readfirstlane_b32 s11, v11
	v_readfirstlane_b32 s10, v10
	s_mov_b32 s5, exec_lo
	s_clause 0x1
	global_load_dwordx2 v[12:13], v2, s[6:7] offset:40
	global_load_dwordx4 v[6:9], v2, s[6:7]
	s_waitcnt vmcnt(1)
	v_readfirstlane_b32 s12, v12
	v_readfirstlane_b32 s13, v13
	s_and_b64 s[12:13], s[12:13], s[10:11]
	s_mul_i32 s14, s13, 24
	s_mul_hi_u32 s15, s12, 24
	s_mul_i32 s16, s12, 24
	s_add_i32 s15, s15, s14
	s_waitcnt vmcnt(0)
	v_add_co_u32 v10, vcc_lo, v6, s16
	v_add_co_ci_u32_e64 v11, null, s15, v7, vcc_lo
	s_and_saveexec_b32 s14, s4
	s_cbranch_execz .LBB1_230
; %bb.229:
	v_mov_b32_e32 v12, s5
	v_mov_b32_e32 v13, v2
	;; [unrolled: 1-line block ×4, first 2 shown]
	global_store_dwordx4 v[10:11], v[12:15], off offset:8
.LBB1_230:
	s_or_b32 exec_lo, exec_lo, s14
	s_lshl_b64 s[12:13], s[12:13], 12
	v_and_or_b32 v0, 0xffffff1f, v0, 32
	v_add_co_u32 v8, vcc_lo, v8, s12
	v_add_co_ci_u32_e64 v9, null, s13, v9, vcc_lo
	s_mov_b32 s12, 0
	v_readfirstlane_b32 s16, v8
	v_add_co_u32 v8, vcc_lo, v8, v33
	s_mov_b32 s13, s12
	s_mov_b32 s14, s12
	;; [unrolled: 1-line block ×3, first 2 shown]
	v_mov_b32_e32 v3, v2
	v_readfirstlane_b32 s17, v9
	v_mov_b32_e32 v12, s12
	v_add_co_ci_u32_e64 v9, null, 0, v9, vcc_lo
	v_mov_b32_e32 v13, s13
	v_mov_b32_e32 v14, s14
	;; [unrolled: 1-line block ×3, first 2 shown]
	global_store_dwordx4 v33, v[0:3], s[16:17]
	global_store_dwordx4 v33, v[12:15], s[16:17] offset:16
	global_store_dwordx4 v33, v[12:15], s[16:17] offset:32
	;; [unrolled: 1-line block ×3, first 2 shown]
	s_and_saveexec_b32 s5, s4
	s_cbranch_execz .LBB1_238
; %bb.231:
	v_mov_b32_e32 v12, 0
	v_mov_b32_e32 v13, s10
	;; [unrolled: 1-line block ×3, first 2 shown]
	s_clause 0x1
	global_load_dwordx2 v[15:16], v12, s[6:7] offset:32 glc dlc
	global_load_dwordx2 v[0:1], v12, s[6:7] offset:40
	s_waitcnt vmcnt(0)
	v_readfirstlane_b32 s12, v0
	v_readfirstlane_b32 s13, v1
	s_and_b64 s[12:13], s[12:13], s[10:11]
	s_mul_i32 s13, s13, 24
	s_mul_hi_u32 s14, s12, 24
	s_mul_i32 s12, s12, 24
	s_add_i32 s14, s14, s13
	v_add_co_u32 v6, vcc_lo, v6, s12
	v_add_co_ci_u32_e64 v7, null, s14, v7, vcc_lo
	s_mov_b32 s12, exec_lo
	global_store_dwordx2 v[6:7], v[15:16], off
	s_waitcnt_vscnt null, 0x0
	global_atomic_cmpswap_x2 v[2:3], v12, v[13:16], s[6:7] offset:32 glc
	s_waitcnt vmcnt(0)
	v_cmpx_ne_u64_e64 v[2:3], v[15:16]
	s_cbranch_execz .LBB1_234
; %bb.232:
	s_mov_b32 s13, 0
.LBB1_233:                              ; =>This Inner Loop Header: Depth=1
	v_mov_b32_e32 v0, s10
	v_mov_b32_e32 v1, s11
	s_sleep 1
	global_store_dwordx2 v[6:7], v[2:3], off
	s_waitcnt_vscnt null, 0x0
	global_atomic_cmpswap_x2 v[0:1], v12, v[0:3], s[6:7] offset:32 glc
	s_waitcnt vmcnt(0)
	v_cmp_eq_u64_e32 vcc_lo, v[0:1], v[2:3]
	v_mov_b32_e32 v3, v1
	v_mov_b32_e32 v2, v0
	s_or_b32 s13, vcc_lo, s13
	s_andn2_b32 exec_lo, exec_lo, s13
	s_cbranch_execnz .LBB1_233
.LBB1_234:
	s_or_b32 exec_lo, exec_lo, s12
	v_mov_b32_e32 v3, 0
	s_mov_b32 s13, exec_lo
	s_mov_b32 s12, exec_lo
	v_mbcnt_lo_u32_b32 v2, s13, 0
	global_load_dwordx2 v[0:1], v3, s[6:7] offset:16
	v_cmpx_eq_u32_e32 0, v2
	s_cbranch_execz .LBB1_236
; %bb.235:
	s_bcnt1_i32_b32 s13, s13
	v_mov_b32_e32 v2, s13
	s_waitcnt vmcnt(0)
	global_atomic_add_x2 v[0:1], v[2:3], off offset:8
.LBB1_236:
	s_or_b32 exec_lo, exec_lo, s12
	s_waitcnt vmcnt(0)
	global_load_dwordx2 v[2:3], v[0:1], off offset:16
	s_waitcnt vmcnt(0)
	v_cmp_eq_u64_e32 vcc_lo, 0, v[2:3]
	s_cbranch_vccnz .LBB1_238
; %bb.237:
	global_load_dword v0, v[0:1], off offset:24
	v_mov_b32_e32 v1, 0
	s_waitcnt vmcnt(0)
	v_readfirstlane_b32 s12, v0
	s_waitcnt_vscnt null, 0x0
	global_store_dwordx2 v[2:3], v[0:1], off
	s_and_b32 m0, s12, 0x7fffff
	s_sendmsg sendmsg(MSG_INTERRUPT)
.LBB1_238:
	s_or_b32 exec_lo, exec_lo, s5
	s_branch .LBB1_242
	.p2align	6
.LBB1_239:                              ;   in Loop: Header=BB1_242 Depth=1
	s_or_b32 exec_lo, exec_lo, s5
	v_readfirstlane_b32 s5, v0
	s_cmp_eq_u32 s5, 0
	s_cbranch_scc1 .LBB1_241
; %bb.240:                              ;   in Loop: Header=BB1_242 Depth=1
	s_sleep 1
	s_cbranch_execnz .LBB1_242
	s_branch .LBB1_244
	.p2align	6
.LBB1_241:
	s_branch .LBB1_244
.LBB1_242:                              ; =>This Inner Loop Header: Depth=1
	v_mov_b32_e32 v0, 1
	s_and_saveexec_b32 s5, s4
	s_cbranch_execz .LBB1_239
; %bb.243:                              ;   in Loop: Header=BB1_242 Depth=1
	global_load_dword v0, v[10:11], off offset:20 glc dlc
	s_waitcnt vmcnt(0)
	buffer_gl1_inv
	buffer_gl0_inv
	v_and_b32_e32 v0, 1, v0
	s_branch .LBB1_239
.LBB1_244:
	global_load_dwordx2 v[6:7], v[8:9], off
	s_and_saveexec_b32 s12, s4
	s_cbranch_execz .LBB1_248
; %bb.245:
	v_mov_b32_e32 v10, 0
	s_clause 0x2
	global_load_dwordx2 v[0:1], v10, s[6:7] offset:40
	global_load_dwordx2 v[13:14], v10, s[6:7] offset:24 glc dlc
	global_load_dwordx2 v[2:3], v10, s[6:7]
	s_waitcnt vmcnt(2)
	v_readfirstlane_b32 s14, v0
	v_readfirstlane_b32 s15, v1
	s_add_u32 s13, s14, 1
	s_addc_u32 s16, s15, 0
	s_add_u32 s4, s13, s10
	s_addc_u32 s5, s16, s11
	s_cmp_eq_u64 s[4:5], 0
	s_cselect_b32 s5, s16, s5
	s_cselect_b32 s4, s13, s4
	v_mov_b32_e32 v12, s5
	s_and_b64 s[10:11], s[4:5], s[14:15]
	v_mov_b32_e32 v11, s4
	s_mul_i32 s11, s11, 24
	s_mul_hi_u32 s13, s10, 24
	s_mul_i32 s10, s10, 24
	s_add_i32 s13, s13, s11
	s_waitcnt vmcnt(0)
	v_add_co_u32 v8, vcc_lo, v2, s10
	v_add_co_ci_u32_e64 v9, null, s13, v3, vcc_lo
	global_store_dwordx2 v[8:9], v[13:14], off
	s_waitcnt_vscnt null, 0x0
	global_atomic_cmpswap_x2 v[2:3], v10, v[11:14], s[6:7] offset:24 glc
	s_waitcnt vmcnt(0)
	v_cmp_ne_u64_e32 vcc_lo, v[2:3], v[13:14]
	s_and_b32 exec_lo, exec_lo, vcc_lo
	s_cbranch_execz .LBB1_248
; %bb.246:
	s_mov_b32 s10, 0
.LBB1_247:                              ; =>This Inner Loop Header: Depth=1
	v_mov_b32_e32 v0, s4
	v_mov_b32_e32 v1, s5
	s_sleep 1
	global_store_dwordx2 v[8:9], v[2:3], off
	s_waitcnt_vscnt null, 0x0
	global_atomic_cmpswap_x2 v[0:1], v10, v[0:3], s[6:7] offset:24 glc
	s_waitcnt vmcnt(0)
	v_cmp_eq_u64_e32 vcc_lo, v[0:1], v[2:3]
	v_mov_b32_e32 v3, v1
	v_mov_b32_e32 v2, v0
	s_or_b32 s10, vcc_lo, s10
	s_andn2_b32 exec_lo, exec_lo, s10
	s_cbranch_execnz .LBB1_247
.LBB1_248:
	s_or_b32 exec_lo, exec_lo, s12
.LBB1_249:
	v_readfirstlane_b32 s4, v32
	v_mov_b32_e32 v10, 0
	v_mov_b32_e32 v11, 0
	v_cmp_eq_u32_e64 s4, s4, v32
	s_and_saveexec_b32 s5, s4
	s_cbranch_execz .LBB1_255
; %bb.250:
	s_waitcnt vmcnt(0)
	v_mov_b32_e32 v0, 0
	s_mov_b32 s10, exec_lo
	global_load_dwordx2 v[12:13], v0, s[6:7] offset:24 glc dlc
	s_waitcnt vmcnt(0)
	buffer_gl1_inv
	buffer_gl0_inv
	s_clause 0x1
	global_load_dwordx2 v[1:2], v0, s[6:7] offset:40
	global_load_dwordx2 v[8:9], v0, s[6:7]
	s_waitcnt vmcnt(1)
	v_and_b32_e32 v2, v2, v13
	v_and_b32_e32 v1, v1, v12
	v_mul_lo_u32 v2, v2, 24
	v_mul_hi_u32 v3, v1, 24
	v_mul_lo_u32 v1, v1, 24
	v_add_nc_u32_e32 v2, v3, v2
	s_waitcnt vmcnt(0)
	v_add_co_u32 v1, vcc_lo, v8, v1
	v_add_co_ci_u32_e64 v2, null, v9, v2, vcc_lo
	global_load_dwordx2 v[10:11], v[1:2], off glc dlc
	s_waitcnt vmcnt(0)
	global_atomic_cmpswap_x2 v[10:11], v0, v[10:13], s[6:7] offset:24 glc
	s_waitcnt vmcnt(0)
	buffer_gl1_inv
	buffer_gl0_inv
	v_cmpx_ne_u64_e64 v[10:11], v[12:13]
	s_cbranch_execz .LBB1_254
; %bb.251:
	s_mov_b32 s11, 0
	.p2align	6
.LBB1_252:                              ; =>This Inner Loop Header: Depth=1
	s_sleep 1
	s_clause 0x1
	global_load_dwordx2 v[1:2], v0, s[6:7] offset:40
	global_load_dwordx2 v[8:9], v0, s[6:7]
	v_mov_b32_e32 v13, v11
	v_mov_b32_e32 v12, v10
	s_waitcnt vmcnt(1)
	v_and_b32_e32 v1, v1, v12
	v_and_b32_e32 v2, v2, v13
	s_waitcnt vmcnt(0)
	v_mad_u64_u32 v[8:9], null, v1, 24, v[8:9]
	v_mov_b32_e32 v1, v9
	v_mad_u64_u32 v[1:2], null, v2, 24, v[1:2]
	v_mov_b32_e32 v9, v1
	global_load_dwordx2 v[10:11], v[8:9], off glc dlc
	s_waitcnt vmcnt(0)
	global_atomic_cmpswap_x2 v[10:11], v0, v[10:13], s[6:7] offset:24 glc
	s_waitcnt vmcnt(0)
	buffer_gl1_inv
	buffer_gl0_inv
	v_cmp_eq_u64_e32 vcc_lo, v[10:11], v[12:13]
	s_or_b32 s11, vcc_lo, s11
	s_andn2_b32 exec_lo, exec_lo, s11
	s_cbranch_execnz .LBB1_252
; %bb.253:
	s_or_b32 exec_lo, exec_lo, s11
.LBB1_254:
	s_or_b32 exec_lo, exec_lo, s10
.LBB1_255:
	s_or_b32 exec_lo, exec_lo, s5
	v_mov_b32_e32 v9, 0
	v_readfirstlane_b32 s11, v11
	v_readfirstlane_b32 s10, v10
	s_mov_b32 s5, exec_lo
	s_clause 0x1
	global_load_dwordx2 v[12:13], v9, s[6:7] offset:40
	global_load_dwordx4 v[0:3], v9, s[6:7]
	s_waitcnt vmcnt(1)
	v_readfirstlane_b32 s12, v12
	v_readfirstlane_b32 s13, v13
	s_and_b64 s[12:13], s[12:13], s[10:11]
	s_mul_i32 s14, s13, 24
	s_mul_hi_u32 s15, s12, 24
	s_mul_i32 s16, s12, 24
	s_add_i32 s15, s15, s14
	s_waitcnt vmcnt(0)
	v_add_co_u32 v10, vcc_lo, v0, s16
	v_add_co_ci_u32_e64 v11, null, s15, v1, vcc_lo
	s_and_saveexec_b32 s14, s4
	s_cbranch_execz .LBB1_257
; %bb.256:
	v_mov_b32_e32 v8, s5
	v_mov_b32_e32 v13, v9
	;; [unrolled: 1-line block ×5, first 2 shown]
	global_store_dwordx4 v[10:11], v[12:15], off offset:8
.LBB1_257:
	s_or_b32 exec_lo, exec_lo, s14
	s_lshl_b64 s[12:13], s[12:13], 12
	v_and_or_b32 v6, 0xffffff1f, v6, 32
	v_add_co_u32 v2, vcc_lo, v2, s12
	v_add_co_ci_u32_e64 v3, null, s13, v3, vcc_lo
	s_mov_b32 s12, 0
	v_add_co_u32 v12, vcc_lo, v2, v33
	s_mov_b32 s15, s12
	s_mov_b32 s13, s12
	;; [unrolled: 1-line block ×3, first 2 shown]
	v_mov_b32_e32 v8, 0x331
	v_readfirstlane_b32 s16, v2
	v_readfirstlane_b32 s17, v3
	v_mov_b32_e32 v17, s15
	v_add_co_ci_u32_e64 v13, null, 0, v3, vcc_lo
	v_mov_b32_e32 v16, s14
	v_mov_b32_e32 v15, s13
	;; [unrolled: 1-line block ×3, first 2 shown]
	global_store_dwordx4 v33, v[6:9], s[16:17]
	global_store_dwordx4 v33, v[14:17], s[16:17] offset:16
	global_store_dwordx4 v33, v[14:17], s[16:17] offset:32
	;; [unrolled: 1-line block ×3, first 2 shown]
	s_and_saveexec_b32 s5, s4
	s_cbranch_execz .LBB1_265
; %bb.258:
	v_mov_b32_e32 v8, 0
	v_mov_b32_e32 v14, s10
	;; [unrolled: 1-line block ×3, first 2 shown]
	s_clause 0x1
	global_load_dwordx2 v[16:17], v8, s[6:7] offset:32 glc dlc
	global_load_dwordx2 v[2:3], v8, s[6:7] offset:40
	s_waitcnt vmcnt(0)
	v_readfirstlane_b32 s12, v2
	v_readfirstlane_b32 s13, v3
	s_and_b64 s[12:13], s[12:13], s[10:11]
	s_mul_i32 s13, s13, 24
	s_mul_hi_u32 s14, s12, 24
	s_mul_i32 s12, s12, 24
	s_add_i32 s14, s14, s13
	v_add_co_u32 v6, vcc_lo, v0, s12
	v_add_co_ci_u32_e64 v7, null, s14, v1, vcc_lo
	s_mov_b32 s12, exec_lo
	global_store_dwordx2 v[6:7], v[16:17], off
	s_waitcnt_vscnt null, 0x0
	global_atomic_cmpswap_x2 v[2:3], v8, v[14:17], s[6:7] offset:32 glc
	s_waitcnt vmcnt(0)
	v_cmpx_ne_u64_e64 v[2:3], v[16:17]
	s_cbranch_execz .LBB1_261
; %bb.259:
	s_mov_b32 s13, 0
.LBB1_260:                              ; =>This Inner Loop Header: Depth=1
	v_mov_b32_e32 v0, s10
	v_mov_b32_e32 v1, s11
	s_sleep 1
	global_store_dwordx2 v[6:7], v[2:3], off
	s_waitcnt_vscnt null, 0x0
	global_atomic_cmpswap_x2 v[0:1], v8, v[0:3], s[6:7] offset:32 glc
	s_waitcnt vmcnt(0)
	v_cmp_eq_u64_e32 vcc_lo, v[0:1], v[2:3]
	v_mov_b32_e32 v3, v1
	v_mov_b32_e32 v2, v0
	s_or_b32 s13, vcc_lo, s13
	s_andn2_b32 exec_lo, exec_lo, s13
	s_cbranch_execnz .LBB1_260
.LBB1_261:
	s_or_b32 exec_lo, exec_lo, s12
	v_mov_b32_e32 v3, 0
	s_mov_b32 s13, exec_lo
	s_mov_b32 s12, exec_lo
	v_mbcnt_lo_u32_b32 v2, s13, 0
	global_load_dwordx2 v[0:1], v3, s[6:7] offset:16
	v_cmpx_eq_u32_e32 0, v2
	s_cbranch_execz .LBB1_263
; %bb.262:
	s_bcnt1_i32_b32 s13, s13
	v_mov_b32_e32 v2, s13
	s_waitcnt vmcnt(0)
	global_atomic_add_x2 v[0:1], v[2:3], off offset:8
.LBB1_263:
	s_or_b32 exec_lo, exec_lo, s12
	s_waitcnt vmcnt(0)
	global_load_dwordx2 v[2:3], v[0:1], off offset:16
	s_waitcnt vmcnt(0)
	v_cmp_eq_u64_e32 vcc_lo, 0, v[2:3]
	s_cbranch_vccnz .LBB1_265
; %bb.264:
	global_load_dword v0, v[0:1], off offset:24
	v_mov_b32_e32 v1, 0
	s_waitcnt vmcnt(0)
	v_readfirstlane_b32 s12, v0
	s_waitcnt_vscnt null, 0x0
	global_store_dwordx2 v[2:3], v[0:1], off
	s_and_b32 m0, s12, 0x7fffff
	s_sendmsg sendmsg(MSG_INTERRUPT)
.LBB1_265:
	s_or_b32 exec_lo, exec_lo, s5
	s_branch .LBB1_269
	.p2align	6
.LBB1_266:                              ;   in Loop: Header=BB1_269 Depth=1
	s_or_b32 exec_lo, exec_lo, s5
	v_readfirstlane_b32 s5, v0
	s_cmp_eq_u32 s5, 0
	s_cbranch_scc1 .LBB1_268
; %bb.267:                              ;   in Loop: Header=BB1_269 Depth=1
	s_sleep 1
	s_cbranch_execnz .LBB1_269
	s_branch .LBB1_271
	.p2align	6
.LBB1_268:
	s_branch .LBB1_271
.LBB1_269:                              ; =>This Inner Loop Header: Depth=1
	v_mov_b32_e32 v0, 1
	s_and_saveexec_b32 s5, s4
	s_cbranch_execz .LBB1_266
; %bb.270:                              ;   in Loop: Header=BB1_269 Depth=1
	global_load_dword v0, v[10:11], off offset:20 glc dlc
	s_waitcnt vmcnt(0)
	buffer_gl1_inv
	buffer_gl0_inv
	v_and_b32_e32 v0, 1, v0
	s_branch .LBB1_266
.LBB1_271:
	global_load_dwordx2 v[0:1], v[12:13], off
	s_and_saveexec_b32 s12, s4
	s_cbranch_execz .LBB1_275
; %bb.272:
	v_mov_b32_e32 v10, 0
	s_clause 0x2
	global_load_dwordx2 v[2:3], v10, s[6:7] offset:40
	global_load_dwordx2 v[13:14], v10, s[6:7] offset:24 glc dlc
	global_load_dwordx2 v[6:7], v10, s[6:7]
	s_waitcnt vmcnt(2)
	v_readfirstlane_b32 s14, v2
	v_readfirstlane_b32 s15, v3
	s_add_u32 s13, s14, 1
	s_addc_u32 s16, s15, 0
	s_add_u32 s4, s13, s10
	s_addc_u32 s5, s16, s11
	s_cmp_eq_u64 s[4:5], 0
	s_cselect_b32 s5, s16, s5
	s_cselect_b32 s4, s13, s4
	v_mov_b32_e32 v12, s5
	s_and_b64 s[10:11], s[4:5], s[14:15]
	v_mov_b32_e32 v11, s4
	s_mul_i32 s11, s11, 24
	s_mul_hi_u32 s13, s10, 24
	s_mul_i32 s10, s10, 24
	s_add_i32 s13, s13, s11
	s_waitcnt vmcnt(0)
	v_add_co_u32 v2, vcc_lo, v6, s10
	v_add_co_ci_u32_e64 v3, null, s13, v7, vcc_lo
	global_store_dwordx2 v[2:3], v[13:14], off
	s_waitcnt_vscnt null, 0x0
	global_atomic_cmpswap_x2 v[8:9], v10, v[11:14], s[6:7] offset:24 glc
	s_waitcnt vmcnt(0)
	v_cmp_ne_u64_e32 vcc_lo, v[8:9], v[13:14]
	s_and_b32 exec_lo, exec_lo, vcc_lo
	s_cbranch_execz .LBB1_275
; %bb.273:
	s_mov_b32 s10, 0
.LBB1_274:                              ; =>This Inner Loop Header: Depth=1
	v_mov_b32_e32 v6, s4
	v_mov_b32_e32 v7, s5
	s_sleep 1
	global_store_dwordx2 v[2:3], v[8:9], off
	s_waitcnt_vscnt null, 0x0
	global_atomic_cmpswap_x2 v[6:7], v10, v[6:9], s[6:7] offset:24 glc
	s_waitcnt vmcnt(0)
	v_cmp_eq_u64_e32 vcc_lo, v[6:7], v[8:9]
	v_mov_b32_e32 v9, v7
	v_mov_b32_e32 v8, v6
	s_or_b32 s10, vcc_lo, s10
	s_andn2_b32 exec_lo, exec_lo, s10
	s_cbranch_execnz .LBB1_274
.LBB1_275:
	s_or_b32 exec_lo, exec_lo, s12
	v_mov_b32_e32 v7, v5
	v_mov_b32_e32 v6, v4
	s_mov_b32 s4, 0
.LBB1_276:                              ; =>This Inner Loop Header: Depth=1
	global_load_ubyte v8, v[6:7], off
	v_add_co_u32 v2, vcc_lo, v6, 1
	v_add_co_ci_u32_e64 v3, null, 0, v7, vcc_lo
	v_mov_b32_e32 v7, v3
	v_mov_b32_e32 v6, v2
	s_waitcnt vmcnt(0)
	v_cmp_eq_u16_e32 vcc_lo, 0, v8
	s_or_b32 s4, vcc_lo, s4
	s_andn2_b32 exec_lo, exec_lo, s4
	s_cbranch_execnz .LBB1_276
; %bb.277:
	s_or_b32 exec_lo, exec_lo, s4
	s_mov_b32 s4, exec_lo
	v_cmpx_ne_u64_e32 0, v[4:5]
	s_xor_b32 s14, exec_lo, s4
	s_cbranch_execz .LBB1_363
; %bb.278:
	v_sub_nc_u32_e32 v26, v2, v4
	v_and_b32_e32 v34, 2, v0
	v_mov_b32_e32 v7, 0
	v_and_b32_e32 v0, -3, v0
	v_mov_b32_e32 v8, 2
	v_ashrrev_i32_e32 v27, 31, v26
	v_mov_b32_e32 v9, 1
	s_mov_b32 s16, 0
	s_mov_b32 s15, 0
	s_branch .LBB1_280
.LBB1_279:                              ;   in Loop: Header=BB1_280 Depth=1
	s_or_b32 exec_lo, exec_lo, s12
	v_sub_co_u32 v26, vcc_lo, v26, v28
	v_sub_co_ci_u32_e64 v27, null, v27, v29, vcc_lo
	v_add_co_u32 v4, s4, v4, v28
	v_add_co_ci_u32_e64 v5, null, v5, v29, s4
	v_cmp_eq_u64_e32 vcc_lo, 0, v[26:27]
	s_or_b32 s15, vcc_lo, s15
	s_andn2_b32 exec_lo, exec_lo, s15
	s_cbranch_execz .LBB1_362
.LBB1_280:                              ; =>This Loop Header: Depth=1
                                        ;     Child Loop BB1_283 Depth 2
                                        ;     Child Loop BB1_291 Depth 2
	;; [unrolled: 1-line block ×11, first 2 shown]
	v_cmp_gt_u64_e32 vcc_lo, 56, v[26:27]
	s_mov_b32 s5, exec_lo
	v_cndmask_b32_e32 v29, 0, v27, vcc_lo
	v_cndmask_b32_e32 v28, 56, v26, vcc_lo
	v_add_co_u32 v12, vcc_lo, v4, 8
	v_add_co_ci_u32_e64 v13, null, 0, v5, vcc_lo
	v_cmpx_gt_u64_e32 8, v[26:27]
	s_xor_b32 s5, exec_lo, s5
	s_cbranch_execz .LBB1_286
; %bb.281:                              ;   in Loop: Header=BB1_280 Depth=1
	v_mov_b32_e32 v2, 0
	v_mov_b32_e32 v3, 0
	s_mov_b32 s12, exec_lo
	v_cmpx_ne_u64_e32 0, v[26:27]
	s_cbranch_execz .LBB1_285
; %bb.282:                              ;   in Loop: Header=BB1_280 Depth=1
	v_lshlrev_b64 v[10:11], 3, v[28:29]
	v_mov_b32_e32 v2, 0
	v_mov_b32_e32 v12, v5
	;; [unrolled: 1-line block ×4, first 2 shown]
	s_mov_b64 s[10:11], 0
	s_mov_b32 s13, 0
	.p2align	6
.LBB1_283:                              ;   Parent Loop BB1_280 Depth=1
                                        ; =>  This Inner Loop Header: Depth=2
	global_load_ubyte v6, v[11:12], off
	v_mov_b32_e32 v14, s16
	v_add_co_u32 v11, vcc_lo, v11, 1
	v_add_co_ci_u32_e64 v12, null, 0, v12, vcc_lo
	s_waitcnt vmcnt(0)
	v_and_b32_e32 v13, 0xffff, v6
	v_lshlrev_b64 v[13:14], s10, v[13:14]
	s_add_u32 s10, s10, 8
	s_addc_u32 s11, s11, 0
	v_cmp_eq_u32_e64 s4, s10, v10
	v_or_b32_e32 v3, v14, v3
	v_or_b32_e32 v2, v13, v2
	s_or_b32 s13, s4, s13
	s_andn2_b32 exec_lo, exec_lo, s13
	s_cbranch_execnz .LBB1_283
; %bb.284:                              ;   in Loop: Header=BB1_280 Depth=1
	s_or_b32 exec_lo, exec_lo, s13
.LBB1_285:                              ;   in Loop: Header=BB1_280 Depth=1
	s_or_b32 exec_lo, exec_lo, s12
	v_mov_b32_e32 v13, v5
	v_mov_b32_e32 v12, v4
.LBB1_286:                              ;   in Loop: Header=BB1_280 Depth=1
	s_or_saveexec_b32 s4, s5
	v_mov_b32_e32 v6, 0
	s_xor_b32 exec_lo, exec_lo, s4
	s_cbranch_execz .LBB1_288
; %bb.287:                              ;   in Loop: Header=BB1_280 Depth=1
	global_load_dwordx2 v[2:3], v[4:5], off
	v_add_nc_u32_e32 v6, -8, v28
.LBB1_288:                              ;   in Loop: Header=BB1_280 Depth=1
	s_or_b32 exec_lo, exec_lo, s4
	v_add_co_u32 v14, s4, v12, 8
	v_add_co_ci_u32_e64 v15, null, 0, v13, s4
                                        ; implicit-def: $vgpr10_vgpr11
	s_mov_b32 s4, exec_lo
	v_cmpx_gt_u32_e32 8, v6
	s_xor_b32 s12, exec_lo, s4
	s_cbranch_execz .LBB1_294
; %bb.289:                              ;   in Loop: Header=BB1_280 Depth=1
	v_mov_b32_e32 v10, 0
	v_mov_b32_e32 v11, 0
	s_mov_b32 s13, exec_lo
	v_cmpx_ne_u32_e32 0, v6
	s_cbranch_execz .LBB1_293
; %bb.290:                              ;   in Loop: Header=BB1_280 Depth=1
	v_mov_b32_e32 v10, 0
	v_mov_b32_e32 v11, 0
	s_mov_b64 s[4:5], 0
	s_mov_b32 s17, 0
	s_mov_b64 s[10:11], 0
	.p2align	6
.LBB1_291:                              ;   Parent Loop BB1_280 Depth=1
                                        ; =>  This Inner Loop Header: Depth=2
	v_add_co_u32 v14, vcc_lo, v12, s10
	v_add_co_ci_u32_e64 v15, null, s11, v13, vcc_lo
	s_add_u32 s10, s10, 1
	s_addc_u32 s11, s11, 0
	v_cmp_eq_u32_e32 vcc_lo, s10, v6
	global_load_ubyte v14, v[14:15], off
	v_mov_b32_e32 v15, s16
	s_waitcnt vmcnt(0)
	v_and_b32_e32 v14, 0xffff, v14
	v_lshlrev_b64 v[14:15], s4, v[14:15]
	s_add_u32 s4, s4, 8
	s_addc_u32 s5, s5, 0
	s_or_b32 s17, vcc_lo, s17
	v_or_b32_e32 v11, v15, v11
	v_or_b32_e32 v10, v14, v10
	s_andn2_b32 exec_lo, exec_lo, s17
	s_cbranch_execnz .LBB1_291
; %bb.292:                              ;   in Loop: Header=BB1_280 Depth=1
	s_or_b32 exec_lo, exec_lo, s17
.LBB1_293:                              ;   in Loop: Header=BB1_280 Depth=1
	s_or_b32 exec_lo, exec_lo, s13
	v_mov_b32_e32 v15, v13
	v_mov_b32_e32 v14, v12
                                        ; implicit-def: $vgpr6
.LBB1_294:                              ;   in Loop: Header=BB1_280 Depth=1
	s_or_saveexec_b32 s4, s12
	v_mov_b32_e32 v18, 0
	s_xor_b32 exec_lo, exec_lo, s4
	s_cbranch_execz .LBB1_296
; %bb.295:                              ;   in Loop: Header=BB1_280 Depth=1
	global_load_dwordx2 v[10:11], v[12:13], off
	v_add_nc_u32_e32 v18, -8, v6
.LBB1_296:                              ;   in Loop: Header=BB1_280 Depth=1
	s_or_b32 exec_lo, exec_lo, s4
	v_add_co_u32 v16, s4, v14, 8
	v_add_co_ci_u32_e64 v17, null, 0, v15, s4
	s_mov_b32 s4, exec_lo
	v_cmpx_gt_u32_e32 8, v18
	s_xor_b32 s12, exec_lo, s4
	s_cbranch_execz .LBB1_302
; %bb.297:                              ;   in Loop: Header=BB1_280 Depth=1
	v_mov_b32_e32 v12, 0
	v_mov_b32_e32 v13, 0
	s_mov_b32 s13, exec_lo
	v_cmpx_ne_u32_e32 0, v18
	s_cbranch_execz .LBB1_301
; %bb.298:                              ;   in Loop: Header=BB1_280 Depth=1
	v_mov_b32_e32 v12, 0
	v_mov_b32_e32 v13, 0
	s_mov_b64 s[4:5], 0
	s_mov_b32 s17, 0
	s_mov_b64 s[10:11], 0
	.p2align	6
.LBB1_299:                              ;   Parent Loop BB1_280 Depth=1
                                        ; =>  This Inner Loop Header: Depth=2
	v_add_co_u32 v16, vcc_lo, v14, s10
	v_add_co_ci_u32_e64 v17, null, s11, v15, vcc_lo
	s_add_u32 s10, s10, 1
	s_addc_u32 s11, s11, 0
	v_cmp_eq_u32_e32 vcc_lo, s10, v18
	global_load_ubyte v6, v[16:17], off
	v_mov_b32_e32 v17, s16
	s_waitcnt vmcnt(0)
	v_and_b32_e32 v16, 0xffff, v6
	v_lshlrev_b64 v[16:17], s4, v[16:17]
	s_add_u32 s4, s4, 8
	s_addc_u32 s5, s5, 0
	s_or_b32 s17, vcc_lo, s17
	v_or_b32_e32 v13, v17, v13
	v_or_b32_e32 v12, v16, v12
	s_andn2_b32 exec_lo, exec_lo, s17
	s_cbranch_execnz .LBB1_299
; %bb.300:                              ;   in Loop: Header=BB1_280 Depth=1
	s_or_b32 exec_lo, exec_lo, s17
.LBB1_301:                              ;   in Loop: Header=BB1_280 Depth=1
	s_or_b32 exec_lo, exec_lo, s13
	v_mov_b32_e32 v17, v15
	v_mov_b32_e32 v16, v14
                                        ; implicit-def: $vgpr18
.LBB1_302:                              ;   in Loop: Header=BB1_280 Depth=1
	s_or_saveexec_b32 s4, s12
	v_mov_b32_e32 v6, 0
	s_xor_b32 exec_lo, exec_lo, s4
	s_cbranch_execz .LBB1_304
; %bb.303:                              ;   in Loop: Header=BB1_280 Depth=1
	global_load_dwordx2 v[12:13], v[14:15], off
	v_add_nc_u32_e32 v6, -8, v18
.LBB1_304:                              ;   in Loop: Header=BB1_280 Depth=1
	s_or_b32 exec_lo, exec_lo, s4
	v_add_co_u32 v18, s4, v16, 8
	v_add_co_ci_u32_e64 v19, null, 0, v17, s4
                                        ; implicit-def: $vgpr14_vgpr15
	s_mov_b32 s4, exec_lo
	v_cmpx_gt_u32_e32 8, v6
	s_xor_b32 s12, exec_lo, s4
	s_cbranch_execz .LBB1_310
; %bb.305:                              ;   in Loop: Header=BB1_280 Depth=1
	v_mov_b32_e32 v14, 0
	v_mov_b32_e32 v15, 0
	s_mov_b32 s13, exec_lo
	v_cmpx_ne_u32_e32 0, v6
	s_cbranch_execz .LBB1_309
; %bb.306:                              ;   in Loop: Header=BB1_280 Depth=1
	v_mov_b32_e32 v14, 0
	v_mov_b32_e32 v15, 0
	s_mov_b64 s[4:5], 0
	s_mov_b32 s17, 0
	s_mov_b64 s[10:11], 0
	.p2align	6
.LBB1_307:                              ;   Parent Loop BB1_280 Depth=1
                                        ; =>  This Inner Loop Header: Depth=2
	v_add_co_u32 v18, vcc_lo, v16, s10
	v_add_co_ci_u32_e64 v19, null, s11, v17, vcc_lo
	s_add_u32 s10, s10, 1
	s_addc_u32 s11, s11, 0
	v_cmp_eq_u32_e32 vcc_lo, s10, v6
	global_load_ubyte v18, v[18:19], off
	v_mov_b32_e32 v19, s16
	s_waitcnt vmcnt(0)
	v_and_b32_e32 v18, 0xffff, v18
	v_lshlrev_b64 v[18:19], s4, v[18:19]
	s_add_u32 s4, s4, 8
	s_addc_u32 s5, s5, 0
	s_or_b32 s17, vcc_lo, s17
	v_or_b32_e32 v15, v19, v15
	v_or_b32_e32 v14, v18, v14
	s_andn2_b32 exec_lo, exec_lo, s17
	s_cbranch_execnz .LBB1_307
; %bb.308:                              ;   in Loop: Header=BB1_280 Depth=1
	s_or_b32 exec_lo, exec_lo, s17
.LBB1_309:                              ;   in Loop: Header=BB1_280 Depth=1
	s_or_b32 exec_lo, exec_lo, s13
	v_mov_b32_e32 v19, v17
	v_mov_b32_e32 v18, v16
                                        ; implicit-def: $vgpr6
.LBB1_310:                              ;   in Loop: Header=BB1_280 Depth=1
	s_or_saveexec_b32 s4, s12
	v_mov_b32_e32 v22, 0
	s_xor_b32 exec_lo, exec_lo, s4
	s_cbranch_execz .LBB1_312
; %bb.311:                              ;   in Loop: Header=BB1_280 Depth=1
	global_load_dwordx2 v[14:15], v[16:17], off
	v_add_nc_u32_e32 v22, -8, v6
.LBB1_312:                              ;   in Loop: Header=BB1_280 Depth=1
	s_or_b32 exec_lo, exec_lo, s4
	v_add_co_u32 v20, s4, v18, 8
	v_add_co_ci_u32_e64 v21, null, 0, v19, s4
	s_mov_b32 s4, exec_lo
	v_cmpx_gt_u32_e32 8, v22
	s_xor_b32 s12, exec_lo, s4
	s_cbranch_execz .LBB1_318
; %bb.313:                              ;   in Loop: Header=BB1_280 Depth=1
	v_mov_b32_e32 v16, 0
	v_mov_b32_e32 v17, 0
	s_mov_b32 s13, exec_lo
	v_cmpx_ne_u32_e32 0, v22
	s_cbranch_execz .LBB1_317
; %bb.314:                              ;   in Loop: Header=BB1_280 Depth=1
	v_mov_b32_e32 v16, 0
	v_mov_b32_e32 v17, 0
	s_mov_b64 s[4:5], 0
	s_mov_b32 s17, 0
	s_mov_b64 s[10:11], 0
	.p2align	6
.LBB1_315:                              ;   Parent Loop BB1_280 Depth=1
                                        ; =>  This Inner Loop Header: Depth=2
	v_add_co_u32 v20, vcc_lo, v18, s10
	v_add_co_ci_u32_e64 v21, null, s11, v19, vcc_lo
	s_add_u32 s10, s10, 1
	s_addc_u32 s11, s11, 0
	v_cmp_eq_u32_e32 vcc_lo, s10, v22
	global_load_ubyte v6, v[20:21], off
	v_mov_b32_e32 v21, s16
	s_waitcnt vmcnt(0)
	v_and_b32_e32 v20, 0xffff, v6
	v_lshlrev_b64 v[20:21], s4, v[20:21]
	s_add_u32 s4, s4, 8
	s_addc_u32 s5, s5, 0
	s_or_b32 s17, vcc_lo, s17
	v_or_b32_e32 v17, v21, v17
	v_or_b32_e32 v16, v20, v16
	s_andn2_b32 exec_lo, exec_lo, s17
	s_cbranch_execnz .LBB1_315
; %bb.316:                              ;   in Loop: Header=BB1_280 Depth=1
	s_or_b32 exec_lo, exec_lo, s17
.LBB1_317:                              ;   in Loop: Header=BB1_280 Depth=1
	s_or_b32 exec_lo, exec_lo, s13
	v_mov_b32_e32 v21, v19
	v_mov_b32_e32 v20, v18
                                        ; implicit-def: $vgpr22
.LBB1_318:                              ;   in Loop: Header=BB1_280 Depth=1
	s_or_saveexec_b32 s4, s12
	v_mov_b32_e32 v6, 0
	s_xor_b32 exec_lo, exec_lo, s4
	s_cbranch_execz .LBB1_320
; %bb.319:                              ;   in Loop: Header=BB1_280 Depth=1
	global_load_dwordx2 v[16:17], v[18:19], off
	v_add_nc_u32_e32 v6, -8, v22
.LBB1_320:                              ;   in Loop: Header=BB1_280 Depth=1
	s_or_b32 exec_lo, exec_lo, s4
	v_add_co_u32 v22, s4, v20, 8
	v_add_co_ci_u32_e64 v23, null, 0, v21, s4
                                        ; implicit-def: $vgpr18_vgpr19
	s_mov_b32 s4, exec_lo
	v_cmpx_gt_u32_e32 8, v6
	s_xor_b32 s12, exec_lo, s4
	s_cbranch_execz .LBB1_326
; %bb.321:                              ;   in Loop: Header=BB1_280 Depth=1
	v_mov_b32_e32 v18, 0
	v_mov_b32_e32 v19, 0
	s_mov_b32 s13, exec_lo
	v_cmpx_ne_u32_e32 0, v6
	s_cbranch_execz .LBB1_325
; %bb.322:                              ;   in Loop: Header=BB1_280 Depth=1
	v_mov_b32_e32 v18, 0
	v_mov_b32_e32 v19, 0
	s_mov_b64 s[4:5], 0
	s_mov_b32 s17, 0
	s_mov_b64 s[10:11], 0
	.p2align	6
.LBB1_323:                              ;   Parent Loop BB1_280 Depth=1
                                        ; =>  This Inner Loop Header: Depth=2
	v_add_co_u32 v22, vcc_lo, v20, s10
	v_add_co_ci_u32_e64 v23, null, s11, v21, vcc_lo
	s_add_u32 s10, s10, 1
	s_addc_u32 s11, s11, 0
	v_cmp_eq_u32_e32 vcc_lo, s10, v6
	global_load_ubyte v22, v[22:23], off
	v_mov_b32_e32 v23, s16
	s_waitcnt vmcnt(0)
	v_and_b32_e32 v22, 0xffff, v22
	v_lshlrev_b64 v[22:23], s4, v[22:23]
	s_add_u32 s4, s4, 8
	s_addc_u32 s5, s5, 0
	s_or_b32 s17, vcc_lo, s17
	v_or_b32_e32 v19, v23, v19
	v_or_b32_e32 v18, v22, v18
	s_andn2_b32 exec_lo, exec_lo, s17
	s_cbranch_execnz .LBB1_323
; %bb.324:                              ;   in Loop: Header=BB1_280 Depth=1
	s_or_b32 exec_lo, exec_lo, s17
.LBB1_325:                              ;   in Loop: Header=BB1_280 Depth=1
	s_or_b32 exec_lo, exec_lo, s13
	v_mov_b32_e32 v23, v21
	v_mov_b32_e32 v22, v20
                                        ; implicit-def: $vgpr6
.LBB1_326:                              ;   in Loop: Header=BB1_280 Depth=1
	s_or_saveexec_b32 s4, s12
	v_mov_b32_e32 v24, 0
	s_xor_b32 exec_lo, exec_lo, s4
	s_cbranch_execz .LBB1_328
; %bb.327:                              ;   in Loop: Header=BB1_280 Depth=1
	global_load_dwordx2 v[18:19], v[20:21], off
	v_add_nc_u32_e32 v24, -8, v6
.LBB1_328:                              ;   in Loop: Header=BB1_280 Depth=1
	s_or_b32 exec_lo, exec_lo, s4
	s_mov_b32 s4, exec_lo
	v_cmpx_gt_u32_e32 8, v24
	s_xor_b32 s10, exec_lo, s4
	s_cbranch_execz .LBB1_334
; %bb.329:                              ;   in Loop: Header=BB1_280 Depth=1
	v_mov_b32_e32 v20, 0
	v_mov_b32_e32 v21, 0
	s_mov_b32 s11, exec_lo
	v_cmpx_ne_u32_e32 0, v24
	s_cbranch_execz .LBB1_333
; %bb.330:                              ;   in Loop: Header=BB1_280 Depth=1
	v_mov_b32_e32 v20, 0
	v_mov_b32_e32 v21, 0
	s_mov_b64 s[4:5], 0
	s_mov_b32 s12, 0
	.p2align	6
.LBB1_331:                              ;   Parent Loop BB1_280 Depth=1
                                        ; =>  This Inner Loop Header: Depth=2
	global_load_ubyte v6, v[22:23], off
	v_mov_b32_e32 v31, s16
	v_add_nc_u32_e32 v24, -1, v24
	v_add_co_u32 v22, vcc_lo, v22, 1
	v_add_co_ci_u32_e64 v23, null, 0, v23, vcc_lo
	v_cmp_eq_u32_e32 vcc_lo, 0, v24
	s_waitcnt vmcnt(0)
	v_and_b32_e32 v30, 0xffff, v6
	v_lshlrev_b64 v[30:31], s4, v[30:31]
	s_add_u32 s4, s4, 8
	s_addc_u32 s5, s5, 0
	s_or_b32 s12, vcc_lo, s12
	v_or_b32_e32 v21, v31, v21
	v_or_b32_e32 v20, v30, v20
	s_andn2_b32 exec_lo, exec_lo, s12
	s_cbranch_execnz .LBB1_331
; %bb.332:                              ;   in Loop: Header=BB1_280 Depth=1
	s_or_b32 exec_lo, exec_lo, s12
.LBB1_333:                              ;   in Loop: Header=BB1_280 Depth=1
	s_or_b32 exec_lo, exec_lo, s11
                                        ; implicit-def: $vgpr22_vgpr23
.LBB1_334:                              ;   in Loop: Header=BB1_280 Depth=1
	s_andn2_saveexec_b32 s4, s10
	s_cbranch_execz .LBB1_336
; %bb.335:                              ;   in Loop: Header=BB1_280 Depth=1
	global_load_dwordx2 v[20:21], v[22:23], off
.LBB1_336:                              ;   in Loop: Header=BB1_280 Depth=1
	s_or_b32 exec_lo, exec_lo, s4
	v_readfirstlane_b32 s4, v32
	v_mov_b32_e32 v30, 0
	v_mov_b32_e32 v31, 0
	v_cmp_eq_u32_e64 s4, s4, v32
	s_and_saveexec_b32 s5, s4
	s_cbranch_execz .LBB1_342
; %bb.337:                              ;   in Loop: Header=BB1_280 Depth=1
	global_load_dwordx2 v[24:25], v7, s[6:7] offset:24 glc dlc
	s_waitcnt vmcnt(0)
	buffer_gl1_inv
	buffer_gl0_inv
	s_clause 0x1
	global_load_dwordx2 v[22:23], v7, s[6:7] offset:40
	global_load_dwordx2 v[30:31], v7, s[6:7]
	s_mov_b32 s10, exec_lo
	s_waitcnt vmcnt(1)
	v_and_b32_e32 v6, v23, v25
	v_and_b32_e32 v22, v22, v24
	v_mul_lo_u32 v6, v6, 24
	v_mul_hi_u32 v23, v22, 24
	v_mul_lo_u32 v22, v22, 24
	v_add_nc_u32_e32 v6, v23, v6
	s_waitcnt vmcnt(0)
	v_add_co_u32 v22, vcc_lo, v30, v22
	v_add_co_ci_u32_e64 v23, null, v31, v6, vcc_lo
	global_load_dwordx2 v[22:23], v[22:23], off glc dlc
	s_waitcnt vmcnt(0)
	global_atomic_cmpswap_x2 v[30:31], v7, v[22:25], s[6:7] offset:24 glc
	s_waitcnt vmcnt(0)
	buffer_gl1_inv
	buffer_gl0_inv
	v_cmpx_ne_u64_e64 v[30:31], v[24:25]
	s_cbranch_execz .LBB1_341
; %bb.338:                              ;   in Loop: Header=BB1_280 Depth=1
	s_mov_b32 s11, 0
	.p2align	6
.LBB1_339:                              ;   Parent Loop BB1_280 Depth=1
                                        ; =>  This Inner Loop Header: Depth=2
	s_sleep 1
	s_clause 0x1
	global_load_dwordx2 v[22:23], v7, s[6:7] offset:40
	global_load_dwordx2 v[35:36], v7, s[6:7]
	v_mov_b32_e32 v24, v30
	v_mov_b32_e32 v25, v31
	s_waitcnt vmcnt(1)
	v_and_b32_e32 v6, v22, v24
	v_and_b32_e32 v22, v23, v25
	s_waitcnt vmcnt(0)
	v_mad_u64_u32 v[30:31], null, v6, 24, v[35:36]
	v_mov_b32_e32 v6, v31
	v_mad_u64_u32 v[22:23], null, v22, 24, v[6:7]
	v_mov_b32_e32 v31, v22
	global_load_dwordx2 v[22:23], v[30:31], off glc dlc
	s_waitcnt vmcnt(0)
	global_atomic_cmpswap_x2 v[30:31], v7, v[22:25], s[6:7] offset:24 glc
	s_waitcnt vmcnt(0)
	buffer_gl1_inv
	buffer_gl0_inv
	v_cmp_eq_u64_e32 vcc_lo, v[30:31], v[24:25]
	s_or_b32 s11, vcc_lo, s11
	s_andn2_b32 exec_lo, exec_lo, s11
	s_cbranch_execnz .LBB1_339
; %bb.340:                              ;   in Loop: Header=BB1_280 Depth=1
	s_or_b32 exec_lo, exec_lo, s11
.LBB1_341:                              ;   in Loop: Header=BB1_280 Depth=1
	s_or_b32 exec_lo, exec_lo, s10
.LBB1_342:                              ;   in Loop: Header=BB1_280 Depth=1
	s_or_b32 exec_lo, exec_lo, s5
	s_clause 0x1
	global_load_dwordx2 v[35:36], v7, s[6:7] offset:40
	global_load_dwordx4 v[22:25], v7, s[6:7]
	v_readfirstlane_b32 s11, v31
	v_readfirstlane_b32 s10, v30
	s_mov_b32 s5, exec_lo
	s_waitcnt vmcnt(1)
	v_readfirstlane_b32 s12, v35
	v_readfirstlane_b32 s13, v36
	s_and_b64 s[12:13], s[12:13], s[10:11]
	s_mul_i32 s17, s13, 24
	s_mul_hi_u32 s18, s12, 24
	s_mul_i32 s19, s12, 24
	s_add_i32 s18, s18, s17
	s_waitcnt vmcnt(0)
	v_add_co_u32 v30, vcc_lo, v22, s19
	v_add_co_ci_u32_e64 v31, null, s18, v23, vcc_lo
	s_and_saveexec_b32 s17, s4
	s_cbranch_execz .LBB1_344
; %bb.343:                              ;   in Loop: Header=BB1_280 Depth=1
	v_mov_b32_e32 v6, s5
	global_store_dwordx4 v[30:31], v[6:9], off offset:8
.LBB1_344:                              ;   in Loop: Header=BB1_280 Depth=1
	s_or_b32 exec_lo, exec_lo, s17
	v_cmp_gt_u64_e32 vcc_lo, 57, v[26:27]
	s_lshl_b64 s[12:13], s[12:13], 12
	v_and_b32_e32 v0, 0xffffff1f, v0
	v_lshl_add_u32 v35, v28, 2, 28
	v_cndmask_b32_e32 v6, 0, v34, vcc_lo
	v_add_co_u32 v24, vcc_lo, v24, s12
	v_add_co_ci_u32_e64 v25, null, s13, v25, vcc_lo
	v_or_b32_e32 v0, v0, v6
	v_readfirstlane_b32 s12, v24
	v_readfirstlane_b32 s13, v25
	v_and_or_b32 v0, 0x1e0, v35, v0
	global_store_dwordx4 v33, v[10:13], s[12:13] offset:16
	global_store_dwordx4 v33, v[14:17], s[12:13] offset:32
	global_store_dwordx4 v33, v[0:3], s[12:13]
	global_store_dwordx4 v33, v[18:21], s[12:13] offset:48
	s_and_saveexec_b32 s5, s4
	s_cbranch_execz .LBB1_352
; %bb.345:                              ;   in Loop: Header=BB1_280 Depth=1
	s_clause 0x1
	global_load_dwordx2 v[14:15], v7, s[6:7] offset:32 glc dlc
	global_load_dwordx2 v[0:1], v7, s[6:7] offset:40
	v_mov_b32_e32 v12, s10
	v_mov_b32_e32 v13, s11
	s_waitcnt vmcnt(0)
	v_readfirstlane_b32 s12, v0
	v_readfirstlane_b32 s13, v1
	s_and_b64 s[12:13], s[12:13], s[10:11]
	s_mul_i32 s13, s13, 24
	s_mul_hi_u32 s17, s12, 24
	s_mul_i32 s12, s12, 24
	s_add_i32 s17, s17, s13
	v_add_co_u32 v10, vcc_lo, v22, s12
	v_add_co_ci_u32_e64 v11, null, s17, v23, vcc_lo
	s_mov_b32 s12, exec_lo
	global_store_dwordx2 v[10:11], v[14:15], off
	s_waitcnt_vscnt null, 0x0
	global_atomic_cmpswap_x2 v[2:3], v7, v[12:15], s[6:7] offset:32 glc
	s_waitcnt vmcnt(0)
	v_cmpx_ne_u64_e64 v[2:3], v[14:15]
	s_cbranch_execz .LBB1_348
; %bb.346:                              ;   in Loop: Header=BB1_280 Depth=1
	s_mov_b32 s13, 0
.LBB1_347:                              ;   Parent Loop BB1_280 Depth=1
                                        ; =>  This Inner Loop Header: Depth=2
	v_mov_b32_e32 v0, s10
	v_mov_b32_e32 v1, s11
	s_sleep 1
	global_store_dwordx2 v[10:11], v[2:3], off
	s_waitcnt_vscnt null, 0x0
	global_atomic_cmpswap_x2 v[0:1], v7, v[0:3], s[6:7] offset:32 glc
	s_waitcnt vmcnt(0)
	v_cmp_eq_u64_e32 vcc_lo, v[0:1], v[2:3]
	v_mov_b32_e32 v3, v1
	v_mov_b32_e32 v2, v0
	s_or_b32 s13, vcc_lo, s13
	s_andn2_b32 exec_lo, exec_lo, s13
	s_cbranch_execnz .LBB1_347
.LBB1_348:                              ;   in Loop: Header=BB1_280 Depth=1
	s_or_b32 exec_lo, exec_lo, s12
	global_load_dwordx2 v[0:1], v7, s[6:7] offset:16
	s_mov_b32 s13, exec_lo
	s_mov_b32 s12, exec_lo
	v_mbcnt_lo_u32_b32 v2, s13, 0
	v_cmpx_eq_u32_e32 0, v2
	s_cbranch_execz .LBB1_350
; %bb.349:                              ;   in Loop: Header=BB1_280 Depth=1
	s_bcnt1_i32_b32 s13, s13
	v_mov_b32_e32 v6, s13
	s_waitcnt vmcnt(0)
	global_atomic_add_x2 v[0:1], v[6:7], off offset:8
.LBB1_350:                              ;   in Loop: Header=BB1_280 Depth=1
	s_or_b32 exec_lo, exec_lo, s12
	s_waitcnt vmcnt(0)
	global_load_dwordx2 v[2:3], v[0:1], off offset:16
	s_waitcnt vmcnt(0)
	v_cmp_eq_u64_e32 vcc_lo, 0, v[2:3]
	s_cbranch_vccnz .LBB1_352
; %bb.351:                              ;   in Loop: Header=BB1_280 Depth=1
	global_load_dword v6, v[0:1], off offset:24
	s_waitcnt vmcnt(0)
	v_readfirstlane_b32 s12, v6
	s_waitcnt_vscnt null, 0x0
	global_store_dwordx2 v[2:3], v[6:7], off
	s_and_b32 m0, s12, 0x7fffff
	s_sendmsg sendmsg(MSG_INTERRUPT)
.LBB1_352:                              ;   in Loop: Header=BB1_280 Depth=1
	s_or_b32 exec_lo, exec_lo, s5
	v_add_co_u32 v0, vcc_lo, v24, v33
	v_add_co_ci_u32_e64 v1, null, 0, v25, vcc_lo
	s_branch .LBB1_356
	.p2align	6
.LBB1_353:                              ;   in Loop: Header=BB1_356 Depth=2
	s_or_b32 exec_lo, exec_lo, s5
	v_readfirstlane_b32 s5, v2
	s_cmp_eq_u32 s5, 0
	s_cbranch_scc1 .LBB1_355
; %bb.354:                              ;   in Loop: Header=BB1_356 Depth=2
	s_sleep 1
	s_cbranch_execnz .LBB1_356
	s_branch .LBB1_358
	.p2align	6
.LBB1_355:                              ;   in Loop: Header=BB1_280 Depth=1
	s_branch .LBB1_358
.LBB1_356:                              ;   Parent Loop BB1_280 Depth=1
                                        ; =>  This Inner Loop Header: Depth=2
	v_mov_b32_e32 v2, 1
	s_and_saveexec_b32 s5, s4
	s_cbranch_execz .LBB1_353
; %bb.357:                              ;   in Loop: Header=BB1_356 Depth=2
	global_load_dword v2, v[30:31], off offset:20 glc dlc
	s_waitcnt vmcnt(0)
	buffer_gl1_inv
	buffer_gl0_inv
	v_and_b32_e32 v2, 1, v2
	s_branch .LBB1_353
.LBB1_358:                              ;   in Loop: Header=BB1_280 Depth=1
	global_load_dwordx2 v[0:1], v[0:1], off
	s_and_saveexec_b32 s12, s4
	s_cbranch_execz .LBB1_279
; %bb.359:                              ;   in Loop: Header=BB1_280 Depth=1
	s_clause 0x2
	global_load_dwordx2 v[2:3], v7, s[6:7] offset:40
	global_load_dwordx2 v[14:15], v7, s[6:7] offset:24 glc dlc
	global_load_dwordx2 v[10:11], v7, s[6:7]
	s_waitcnt vmcnt(2)
	v_readfirstlane_b32 s18, v2
	v_readfirstlane_b32 s19, v3
	s_add_u32 s13, s18, 1
	s_addc_u32 s17, s19, 0
	s_add_u32 s4, s13, s10
	s_addc_u32 s5, s17, s11
	s_cmp_eq_u64 s[4:5], 0
	s_cselect_b32 s5, s17, s5
	s_cselect_b32 s4, s13, s4
	v_mov_b32_e32 v13, s5
	s_and_b64 s[10:11], s[4:5], s[18:19]
	v_mov_b32_e32 v12, s4
	s_mul_i32 s11, s11, 24
	s_mul_hi_u32 s13, s10, 24
	s_mul_i32 s10, s10, 24
	s_add_i32 s13, s13, s11
	s_waitcnt vmcnt(0)
	v_add_co_u32 v2, vcc_lo, v10, s10
	v_add_co_ci_u32_e64 v3, null, s13, v11, vcc_lo
	global_store_dwordx2 v[2:3], v[14:15], off
	s_waitcnt_vscnt null, 0x0
	global_atomic_cmpswap_x2 v[12:13], v7, v[12:15], s[6:7] offset:24 glc
	s_waitcnt vmcnt(0)
	v_cmp_ne_u64_e32 vcc_lo, v[12:13], v[14:15]
	s_and_b32 exec_lo, exec_lo, vcc_lo
	s_cbranch_execz .LBB1_279
; %bb.360:                              ;   in Loop: Header=BB1_280 Depth=1
	s_mov_b32 s10, 0
.LBB1_361:                              ;   Parent Loop BB1_280 Depth=1
                                        ; =>  This Inner Loop Header: Depth=2
	v_mov_b32_e32 v10, s4
	v_mov_b32_e32 v11, s5
	s_sleep 1
	global_store_dwordx2 v[2:3], v[12:13], off
	s_waitcnt_vscnt null, 0x0
	global_atomic_cmpswap_x2 v[10:11], v7, v[10:13], s[6:7] offset:24 glc
	s_waitcnt vmcnt(0)
	v_cmp_eq_u64_e32 vcc_lo, v[10:11], v[12:13]
	v_mov_b32_e32 v13, v11
	v_mov_b32_e32 v12, v10
	s_or_b32 s10, vcc_lo, s10
	s_andn2_b32 exec_lo, exec_lo, s10
	s_cbranch_execnz .LBB1_361
	s_branch .LBB1_279
.LBB1_362:
	s_or_b32 exec_lo, exec_lo, s15
                                        ; implicit-def: $vgpr33
                                        ; implicit-def: $vgpr32
.LBB1_363:
	s_andn2_saveexec_b32 s14, s14
	s_cbranch_execz .LBB1_391
; %bb.364:
	v_readfirstlane_b32 s4, v32
	v_mov_b32_e32 v8, 0
	v_mov_b32_e32 v9, 0
	v_cmp_eq_u32_e64 s4, s4, v32
	s_and_saveexec_b32 s5, s4
	s_cbranch_execz .LBB1_370
; %bb.365:
	v_mov_b32_e32 v2, 0
	s_mov_b32 s10, exec_lo
	global_load_dwordx2 v[5:6], v2, s[6:7] offset:24 glc dlc
	s_waitcnt vmcnt(0)
	buffer_gl1_inv
	buffer_gl0_inv
	s_clause 0x1
	global_load_dwordx2 v[3:4], v2, s[6:7] offset:40
	global_load_dwordx2 v[7:8], v2, s[6:7]
	s_waitcnt vmcnt(1)
	v_and_b32_e32 v4, v4, v6
	v_and_b32_e32 v3, v3, v5
	v_mul_lo_u32 v4, v4, 24
	v_mul_hi_u32 v9, v3, 24
	v_mul_lo_u32 v3, v3, 24
	v_add_nc_u32_e32 v4, v9, v4
	s_waitcnt vmcnt(0)
	v_add_co_u32 v3, vcc_lo, v7, v3
	v_add_co_ci_u32_e64 v4, null, v8, v4, vcc_lo
	global_load_dwordx2 v[3:4], v[3:4], off glc dlc
	s_waitcnt vmcnt(0)
	global_atomic_cmpswap_x2 v[8:9], v2, v[3:6], s[6:7] offset:24 glc
	s_waitcnt vmcnt(0)
	buffer_gl1_inv
	buffer_gl0_inv
	v_cmpx_ne_u64_e64 v[8:9], v[5:6]
	s_cbranch_execz .LBB1_369
; %bb.366:
	s_mov_b32 s11, 0
	.p2align	6
.LBB1_367:                              ; =>This Inner Loop Header: Depth=1
	s_sleep 1
	s_clause 0x1
	global_load_dwordx2 v[3:4], v2, s[6:7] offset:40
	global_load_dwordx2 v[10:11], v2, s[6:7]
	v_mov_b32_e32 v5, v8
	v_mov_b32_e32 v6, v9
	s_waitcnt vmcnt(1)
	v_and_b32_e32 v3, v3, v5
	v_and_b32_e32 v4, v4, v6
	s_waitcnt vmcnt(0)
	v_mad_u64_u32 v[7:8], null, v3, 24, v[10:11]
	v_mov_b32_e32 v3, v8
	v_mad_u64_u32 v[3:4], null, v4, 24, v[3:4]
	v_mov_b32_e32 v8, v3
	global_load_dwordx2 v[3:4], v[7:8], off glc dlc
	s_waitcnt vmcnt(0)
	global_atomic_cmpswap_x2 v[8:9], v2, v[3:6], s[6:7] offset:24 glc
	s_waitcnt vmcnt(0)
	buffer_gl1_inv
	buffer_gl0_inv
	v_cmp_eq_u64_e32 vcc_lo, v[8:9], v[5:6]
	s_or_b32 s11, vcc_lo, s11
	s_andn2_b32 exec_lo, exec_lo, s11
	s_cbranch_execnz .LBB1_367
; %bb.368:
	s_or_b32 exec_lo, exec_lo, s11
.LBB1_369:
	s_or_b32 exec_lo, exec_lo, s10
.LBB1_370:
	s_or_b32 exec_lo, exec_lo, s5
	v_mov_b32_e32 v2, 0
	v_readfirstlane_b32 s11, v9
	v_readfirstlane_b32 s10, v8
	s_mov_b32 s5, exec_lo
	s_clause 0x1
	global_load_dwordx2 v[10:11], v2, s[6:7] offset:40
	global_load_dwordx4 v[4:7], v2, s[6:7]
	s_waitcnt vmcnt(1)
	v_readfirstlane_b32 s12, v10
	v_readfirstlane_b32 s13, v11
	s_and_b64 s[12:13], s[12:13], s[10:11]
	s_mul_i32 s15, s13, 24
	s_mul_hi_u32 s16, s12, 24
	s_mul_i32 s17, s12, 24
	s_add_i32 s16, s16, s15
	s_waitcnt vmcnt(0)
	v_add_co_u32 v8, vcc_lo, v4, s17
	v_add_co_ci_u32_e64 v9, null, s16, v5, vcc_lo
	s_and_saveexec_b32 s15, s4
	s_cbranch_execz .LBB1_372
; %bb.371:
	v_mov_b32_e32 v10, s5
	v_mov_b32_e32 v11, v2
	;; [unrolled: 1-line block ×4, first 2 shown]
	global_store_dwordx4 v[8:9], v[10:13], off offset:8
.LBB1_372:
	s_or_b32 exec_lo, exec_lo, s15
	s_lshl_b64 s[12:13], s[12:13], 12
	s_mov_b32 s16, 0
	v_add_co_u32 v6, vcc_lo, v6, s12
	v_add_co_ci_u32_e64 v7, null, s13, v7, vcc_lo
	s_mov_b32 s17, s16
	v_readfirstlane_b32 s12, v6
	v_add_co_u32 v6, vcc_lo, v6, v33
	s_mov_b32 s18, s16
	s_mov_b32 s19, s16
	v_and_or_b32 v0, 0xffffff1f, v0, 32
	v_mov_b32_e32 v3, v2
	v_readfirstlane_b32 s13, v7
	v_mov_b32_e32 v10, s16
	v_add_co_ci_u32_e64 v7, null, 0, v7, vcc_lo
	v_mov_b32_e32 v11, s17
	v_mov_b32_e32 v12, s18
	;; [unrolled: 1-line block ×3, first 2 shown]
	global_store_dwordx4 v33, v[0:3], s[12:13]
	global_store_dwordx4 v33, v[10:13], s[12:13] offset:16
	global_store_dwordx4 v33, v[10:13], s[12:13] offset:32
	;; [unrolled: 1-line block ×3, first 2 shown]
	s_and_saveexec_b32 s5, s4
	s_cbranch_execz .LBB1_380
; %bb.373:
	v_mov_b32_e32 v10, 0
	v_mov_b32_e32 v11, s10
	;; [unrolled: 1-line block ×3, first 2 shown]
	s_clause 0x1
	global_load_dwordx2 v[13:14], v10, s[6:7] offset:32 glc dlc
	global_load_dwordx2 v[0:1], v10, s[6:7] offset:40
	s_waitcnt vmcnt(0)
	v_readfirstlane_b32 s12, v0
	v_readfirstlane_b32 s13, v1
	s_and_b64 s[12:13], s[12:13], s[10:11]
	s_mul_i32 s13, s13, 24
	s_mul_hi_u32 s15, s12, 24
	s_mul_i32 s12, s12, 24
	s_add_i32 s15, s15, s13
	v_add_co_u32 v4, vcc_lo, v4, s12
	v_add_co_ci_u32_e64 v5, null, s15, v5, vcc_lo
	s_mov_b32 s12, exec_lo
	global_store_dwordx2 v[4:5], v[13:14], off
	s_waitcnt_vscnt null, 0x0
	global_atomic_cmpswap_x2 v[2:3], v10, v[11:14], s[6:7] offset:32 glc
	s_waitcnt vmcnt(0)
	v_cmpx_ne_u64_e64 v[2:3], v[13:14]
	s_cbranch_execz .LBB1_376
; %bb.374:
	s_mov_b32 s13, 0
.LBB1_375:                              ; =>This Inner Loop Header: Depth=1
	v_mov_b32_e32 v0, s10
	v_mov_b32_e32 v1, s11
	s_sleep 1
	global_store_dwordx2 v[4:5], v[2:3], off
	s_waitcnt_vscnt null, 0x0
	global_atomic_cmpswap_x2 v[0:1], v10, v[0:3], s[6:7] offset:32 glc
	s_waitcnt vmcnt(0)
	v_cmp_eq_u64_e32 vcc_lo, v[0:1], v[2:3]
	v_mov_b32_e32 v3, v1
	v_mov_b32_e32 v2, v0
	s_or_b32 s13, vcc_lo, s13
	s_andn2_b32 exec_lo, exec_lo, s13
	s_cbranch_execnz .LBB1_375
.LBB1_376:
	s_or_b32 exec_lo, exec_lo, s12
	v_mov_b32_e32 v3, 0
	s_mov_b32 s13, exec_lo
	s_mov_b32 s12, exec_lo
	v_mbcnt_lo_u32_b32 v2, s13, 0
	global_load_dwordx2 v[0:1], v3, s[6:7] offset:16
	v_cmpx_eq_u32_e32 0, v2
	s_cbranch_execz .LBB1_378
; %bb.377:
	s_bcnt1_i32_b32 s13, s13
	v_mov_b32_e32 v2, s13
	s_waitcnt vmcnt(0)
	global_atomic_add_x2 v[0:1], v[2:3], off offset:8
.LBB1_378:
	s_or_b32 exec_lo, exec_lo, s12
	s_waitcnt vmcnt(0)
	global_load_dwordx2 v[2:3], v[0:1], off offset:16
	s_waitcnt vmcnt(0)
	v_cmp_eq_u64_e32 vcc_lo, 0, v[2:3]
	s_cbranch_vccnz .LBB1_380
; %bb.379:
	global_load_dword v0, v[0:1], off offset:24
	v_mov_b32_e32 v1, 0
	s_waitcnt vmcnt(0)
	v_readfirstlane_b32 s12, v0
	s_waitcnt_vscnt null, 0x0
	global_store_dwordx2 v[2:3], v[0:1], off
	s_and_b32 m0, s12, 0x7fffff
	s_sendmsg sendmsg(MSG_INTERRUPT)
.LBB1_380:
	s_or_b32 exec_lo, exec_lo, s5
	s_branch .LBB1_384
	.p2align	6
.LBB1_381:                              ;   in Loop: Header=BB1_384 Depth=1
	s_or_b32 exec_lo, exec_lo, s5
	v_readfirstlane_b32 s5, v0
	s_cmp_eq_u32 s5, 0
	s_cbranch_scc1 .LBB1_383
; %bb.382:                              ;   in Loop: Header=BB1_384 Depth=1
	s_sleep 1
	s_cbranch_execnz .LBB1_384
	s_branch .LBB1_386
	.p2align	6
.LBB1_383:
	s_branch .LBB1_386
.LBB1_384:                              ; =>This Inner Loop Header: Depth=1
	v_mov_b32_e32 v0, 1
	s_and_saveexec_b32 s5, s4
	s_cbranch_execz .LBB1_381
; %bb.385:                              ;   in Loop: Header=BB1_384 Depth=1
	global_load_dword v0, v[8:9], off offset:20 glc dlc
	s_waitcnt vmcnt(0)
	buffer_gl1_inv
	buffer_gl0_inv
	v_and_b32_e32 v0, 1, v0
	s_branch .LBB1_381
.LBB1_386:
	global_load_dwordx2 v[0:1], v[6:7], off
	s_and_saveexec_b32 s12, s4
	s_cbranch_execz .LBB1_390
; %bb.387:
	v_mov_b32_e32 v8, 0
	s_clause 0x2
	global_load_dwordx2 v[2:3], v8, s[6:7] offset:40
	global_load_dwordx2 v[11:12], v8, s[6:7] offset:24 glc dlc
	global_load_dwordx2 v[4:5], v8, s[6:7]
	s_waitcnt vmcnt(2)
	v_readfirstlane_b32 s16, v2
	v_readfirstlane_b32 s17, v3
	s_add_u32 s13, s16, 1
	s_addc_u32 s15, s17, 0
	s_add_u32 s4, s13, s10
	s_addc_u32 s5, s15, s11
	s_cmp_eq_u64 s[4:5], 0
	s_cselect_b32 s5, s15, s5
	s_cselect_b32 s4, s13, s4
	v_mov_b32_e32 v10, s5
	s_and_b64 s[10:11], s[4:5], s[16:17]
	v_mov_b32_e32 v9, s4
	s_mul_i32 s11, s11, 24
	s_mul_hi_u32 s13, s10, 24
	s_mul_i32 s10, s10, 24
	s_add_i32 s13, s13, s11
	s_waitcnt vmcnt(0)
	v_add_co_u32 v6, vcc_lo, v4, s10
	v_add_co_ci_u32_e64 v7, null, s13, v5, vcc_lo
	global_store_dwordx2 v[6:7], v[11:12], off
	s_waitcnt_vscnt null, 0x0
	global_atomic_cmpswap_x2 v[4:5], v8, v[9:12], s[6:7] offset:24 glc
	s_waitcnt vmcnt(0)
	v_cmp_ne_u64_e32 vcc_lo, v[4:5], v[11:12]
	s_and_b32 exec_lo, exec_lo, vcc_lo
	s_cbranch_execz .LBB1_390
; %bb.388:
	s_mov_b32 s10, 0
.LBB1_389:                              ; =>This Inner Loop Header: Depth=1
	v_mov_b32_e32 v2, s4
	v_mov_b32_e32 v3, s5
	s_sleep 1
	global_store_dwordx2 v[6:7], v[4:5], off
	s_waitcnt_vscnt null, 0x0
	global_atomic_cmpswap_x2 v[2:3], v8, v[2:5], s[6:7] offset:24 glc
	s_waitcnt vmcnt(0)
	v_cmp_eq_u64_e32 vcc_lo, v[2:3], v[4:5]
	v_mov_b32_e32 v5, v3
	v_mov_b32_e32 v4, v2
	s_or_b32 s10, vcc_lo, s10
	s_andn2_b32 exec_lo, exec_lo, s10
	s_cbranch_execnz .LBB1_389
.LBB1_390:
	s_or_b32 exec_lo, exec_lo, s12
.LBB1_391:
	s_or_b32 exec_lo, exec_lo, s14
	s_getpc_b64 s[4:5]
	s_add_u32 s4, s4, .str.3@rel32@lo+4
	s_addc_u32 s5, s5, .str.3@rel32@hi+12
	s_getpc_b64 s[6:7]
	s_add_u32 s6, s6, .str.3@rel32@lo+32
	s_addc_u32 s7, s7, .str.3@rel32@hi+40
	s_sub_i32 s10, s6, s4
	s_getpc_b64 s[6:7]
	s_add_u32 s6, s6, __ockl_fprintf_append_string_n@rel32@lo+4
	s_addc_u32 s7, s7, __ockl_fprintf_append_string_n@rel32@hi+12
	s_ashr_i32 s11, s10, 31
	v_mov_b32_e32 v2, s4
	v_mov_b32_e32 v3, s5
	;; [unrolled: 1-line block ×5, first 2 shown]
	s_swappc_b64 s[30:31], s[6:7]
	s_trap 2
.Lfunc_end1:
	.size	__assert_fail, .Lfunc_end1-__assert_fail
                                        ; -- End function
	.set .L__assert_fail.num_vgpr, max(40, .L__ockl_fprintf_append_string_n.num_vgpr)
	.set .L__assert_fail.num_agpr, max(0, .L__ockl_fprintf_append_string_n.num_agpr)
	.set .L__assert_fail.numbered_sgpr, max(34, .L__ockl_fprintf_append_string_n.numbered_sgpr)
	.set .L__assert_fail.num_named_barrier, max(0, .L__ockl_fprintf_append_string_n.num_named_barrier)
	.set .L__assert_fail.private_seg_size, 64+max(.L__ockl_fprintf_append_string_n.private_seg_size)
	.set .L__assert_fail.uses_vcc, or(1, .L__ockl_fprintf_append_string_n.uses_vcc)
	.set .L__assert_fail.uses_flat_scratch, or(0, .L__ockl_fprintf_append_string_n.uses_flat_scratch)
	.set .L__assert_fail.has_dyn_sized_stack, or(0, .L__ockl_fprintf_append_string_n.has_dyn_sized_stack)
	.set .L__assert_fail.has_recursion, or(0, .L__ockl_fprintf_append_string_n.has_recursion)
	.set .L__assert_fail.has_indirect_call, or(0, .L__ockl_fprintf_append_string_n.has_indirect_call)
	.section	.AMDGPU.csdata,"",@progbits
; Function info:
; codeLenInByte = 15432
; TotalNumSgprs: 36
; NumVgprs: 40
; ScratchSize: 64
; MemoryBound: 0
	.text
	.p2align	2                               ; -- Begin function _ZN12_GLOBAL__N_17runRingI12rccl_bfloat813FuncPreMulSumIS1_E11ProtoSimpleILi2ELi2ELi0ELi1ELi0ELi0EELi0ELi0ELi1ELi0EEEviiP15ncclDevWorkColl
	.type	_ZN12_GLOBAL__N_17runRingI12rccl_bfloat813FuncPreMulSumIS1_E11ProtoSimpleILi2ELi2ELi0ELi1ELi0ELi0EELi0ELi0ELi1ELi0EEEviiP15ncclDevWorkColl,@function
_ZN12_GLOBAL__N_17runRingI12rccl_bfloat813FuncPreMulSumIS1_E11ProtoSimpleILi2ELi2ELi0ELi1ELi0ELi0EELi0ELi0ELi1ELi0EEEviiP15ncclDevWorkColl: ; @_ZN12_GLOBAL__N_17runRingI12rccl_bfloat813FuncPreMulSumIS1_E11ProtoSimpleILi2ELi2ELi0ELi1ELi0ELi0EELi0ELi0ELi1ELi0EEEviiP15ncclDevWorkColl
; %bb.0:
	s_waitcnt vmcnt(0) expcnt(0) lgkmcnt(0)
	s_mov_b32 s88, s33
	s_mov_b32 s33, s32
	s_or_saveexec_b32 s4, -1
	buffer_store_dword v122, off, s[0:3], s33 offset:168 ; 4-byte Folded Spill
	s_mov_b32 exec_lo, s4
	s_addk_i32 s32, 0x1600
	buffer_store_dword v40, off, s[0:3], s33 offset:164 ; 4-byte Folded Spill
	buffer_store_dword v41, off, s[0:3], s33 offset:160 ; 4-byte Folded Spill
	;; [unrolled: 1-line block ×41, first 2 shown]
	buffer_store_dword v121, off, s[0:3], s33 ; 4-byte Folded Spill
	v_writelane_b32 v122, s30, 0
	v_writelane_b32 v122, s31, 1
	s_trap 2
	flat_load_dword v9, v[2:3]
	ds_read_b32 v6, v0
                                        ; implicit-def: $vgpr28_vgpr29
                                        ; implicit-def: $vgpr14_vgpr15
                                        ; implicit-def: $vgpr4_vgpr5
	s_waitcnt lgkmcnt(0)
	v_readfirstlane_b32 s25, v6
	s_waitcnt vmcnt(0)
	v_cmp_ne_u32_sdwa s4, v6, v9 src0_sel:DWORD src1_sel:BYTE_0
	s_and_saveexec_b32 s5, s4
	s_xor_b32 s4, exec_lo, s5
	s_cbranch_execz .LBB2_6
; %bb.1:
	v_not_b32_sdwa v8, v9 dst_sel:DWORD dst_unused:UNUSED_PAD src0_sel:BYTE_0
	v_cmp_ne_u32_sdwa s5, v6, v9 src0_sel:DWORD src1_sel:BYTE_1
                                        ; implicit-def: $vgpr28_vgpr29
                                        ; implicit-def: $vgpr14_vgpr15
                                        ; implicit-def: $vgpr4_vgpr5
	s_and_saveexec_b32 s6, s5
	s_xor_b32 s5, exec_lo, s6
	s_cbranch_execz .LBB2_3
; %bb.2:
	s_clause 0x1
	flat_load_dwordx4 v[9:12], v[2:3] offset:72
	flat_load_dwordx2 v[4:5], v[2:3] offset:96
	v_add_nc_u32_e32 v6, v6, v8
                                        ; implicit-def: $vgpr8
	v_ashrrev_i32_e32 v7, 31, v6
	s_waitcnt vmcnt(1) lgkmcnt(1)
	v_mul_lo_u32 v7, v11, v7
	v_mad_u64_u32 v[14:15], null, v11, v6, v[9:10]
	v_mul_lo_u32 v6, v12, v6
	s_waitcnt vmcnt(0) lgkmcnt(0)
	v_lshrrev_b64 v[28:29], 12, v[4:5]
	v_mov_b32_e32 v4, v11
	v_mov_b32_e32 v5, v12
                                        ; implicit-def: $vgpr9
	v_add3_u32 v15, v6, v15, v7
.LBB2_3:
	s_andn2_saveexec_b32 s5, s5
	s_cbranch_execz .LBB2_5
; %bb.4:
	s_clause 0x1
	flat_load_dwordx4 v[10:13], v[2:3] offset:72
	flat_load_dwordx4 v[4:7], v[2:3] offset:88
	s_waitcnt vmcnt(0) lgkmcnt(0)
	v_add_nc_u32_sdwa v6, v9, v8 dst_sel:DWORD dst_unused:UNUSED_PAD src0_sel:BYTE_1 src1_sel:DWORD
	v_ashrrev_i32_e32 v8, 31, v6
	v_mul_lo_u32 v8, v12, v8
	v_mad_u64_u32 v[14:15], null, v12, v6, v[10:11]
	v_mul_lo_u32 v6, v13, v6
	v_lshrrev_b32_e32 v28, 1, v7
	v_add3_u32 v15, v6, v15, v8
.LBB2_5:
	s_or_b32 exec_lo, exec_lo, s5
.LBB2_6:
	s_andn2_saveexec_b32 s4, s4
	s_cbranch_execz .LBB2_8
; %bb.7:
	s_clause 0x1
	flat_load_dwordx2 v[6:7], v[2:3] offset:96
	flat_load_dwordx2 v[4:5], v[2:3] offset:72
	v_mov_b32_e32 v14, 0
	v_mov_b32_e32 v15, 0
	s_waitcnt vmcnt(1) lgkmcnt(1)
	v_lshlrev_b64 v[28:29], 9, v[6:7]
.LBB2_8:
	s_or_b32 exec_lo, exec_lo, s4
	s_trap 2
	ds_read_b64 v[6:7], v0
	s_mov_b32 s5, exec_lo
	s_waitcnt lgkmcnt(0)
	v_cmp_ne_u32_e32 vcc_lo, -1, v6
	v_cndmask_b32_e64 v34, 0, 1, vcc_lo
	v_cmp_ne_u32_e32 vcc_lo, -1, v7
	v_add_co_ci_u32_e64 v8, null, 0, v34, vcc_lo
	v_lshlrev_b32_e32 v6, 1, v8
	v_cmpx_le_u32_e64 v6, v1
	s_xor_b32 s24, exec_lo, s5
	s_cbranch_execnz .LBB2_9
; %bb.7207:
	s_getpc_b64 s[34:35]
.Lpost_getpc0:
	s_add_u32 s34, s34, (.LBB2_7204-.Lpost_getpc0)&4294967295
	s_addc_u32 s35, s35, (.LBB2_7204-.Lpost_getpc0)>>32
	s_setpc_b64 s[34:35]
.LBB2_9:
	s_clause 0x3
	flat_load_dwordx4 v[10:13], v[2:3] offset:16
	flat_load_dwordx2 v[29:30], v[2:3] offset:104
	flat_load_ushort v7, v[2:3] offset:8
	flat_load_dword v6, v[2:3] offset:4
	s_trap 2
	s_load_dword s4, s[8:9], 0x0
	v_mov_b32_e32 v9, 0
	v_mov_b32_e32 v81, 4
	s_waitcnt lgkmcnt(0)
	s_cmp_lt_u32 s12, s4
	s_cselect_b32 s4, 12, 18
	s_add_u32 s4, s8, s4
	s_addc_u32 s5, s9, 0
	global_load_ushort v80, v9, s[4:5]
	ds_read_b32 v9, v0
	s_mov_b32 s5, exec_lo
	s_waitcnt lgkmcnt(0)
	v_readfirstlane_b32 s15, v9
	v_cmpx_ge_u32_e64 v0, v34
	s_cbranch_execz .LBB2_19
; %bb.10:
	v_cmp_ge_u32_e64 s4, v0, v8
                                        ; implicit-def: $vgpr81
	s_and_saveexec_b32 s6, s4
	s_xor_b32 s4, exec_lo, s6
	s_cbranch_execz .LBB2_16
; %bb.11:
	v_cndmask_b32_e64 v9, 0, 1, vcc_lo
	s_mov_b32 s6, exec_lo
	v_sub_nc_u32_e32 v9, v1, v9
	v_cmpx_ge_u32_e64 v0, v9
	s_xor_b32 s6, exec_lo, s6
; %bb.12:
                                        ; implicit-def: $vgpr8
; %bb.13:
	s_or_saveexec_b32 s6, s6
	v_mov_b32_e32 v81, 16
	s_xor_b32 exec_lo, exec_lo, s6
; %bb.14:
	v_sub_nc_u32_e32 v8, v1, v8
	v_cmp_lt_i32_e32 vcc_lo, v0, v8
	v_cndmask_b32_e64 v81, 32, 0, vcc_lo
; %bb.15:
	s_or_b32 exec_lo, exec_lo, s6
.LBB2_16:
	s_andn2_saveexec_b32 s4, s4
; %bb.17:
	v_mov_b32_e32 v81, 8
; %bb.18:
	s_or_b32 exec_lo, exec_lo, s4
.LBB2_19:
	s_or_b32 exec_lo, exec_lo, s5
	v_and_b32_e32 v8, 36, v81
	v_cmp_ne_u32_e32 vcc_lo, 0, v8
	v_mov_b32_e32 v8, -1
	s_and_saveexec_b32 s4, vcc_lo
	s_cbranch_execz .LBB2_21
; %bb.20:
	s_trap 2
	ds_read_b32 v8, v0
.LBB2_21:
	s_or_b32 exec_lo, exec_lo, s4
	v_and_b32_e32 v9, 24, v81
	s_mov_b32 s5, exec_lo
	v_cmpx_ne_u32_e32 0, v9
	s_cbranch_execz .LBB2_23
; %bb.22:
	s_trap 2
	s_waitcnt lgkmcnt(0)
	ds_read_b32 v8, v0
.LBB2_23:
	s_or_b32 exec_lo, exec_lo, s5
	s_waitcnt vmcnt(1)
	v_lshrrev_b64 v[6:7], 31, v[6:7]
	v_mov_b32_e32 v18, 0
	v_mov_b32_e32 v19, 0
	s_waitcnt lgkmcnt(0)
	v_ashrrev_i32_e32 v9, 31, v8
                                        ; implicit-def: $vgpr82
                                        ; implicit-def: $vgpr38_vgpr39
                                        ; implicit-def: $vgpr22_vgpr23
                                        ; implicit-def: $vgpr26_vgpr27
                                        ; implicit-def: $vgpr20_vgpr21
	v_and_b32_e32 v16, 3, v6
	v_mov_b32_e32 v6, 0
	v_mov_b32_e32 v7, 0
	v_and_b32_e32 v32, 0xffff, v16
                                        ; implicit-def: $vgpr16_vgpr17
	s_and_saveexec_b32 s4, vcc_lo
	s_cbranch_execz .LBB2_33
; %bb.24:
	s_trap 2
	ds_read_b64 v[6:7], v0
	v_lshlrev_b64 v[16:17], 3, v[8:9]
	s_mov_b32 s5, exec_lo
	s_waitcnt lgkmcnt(0)
	v_add_co_u32 v6, vcc_lo, v6, v16
	v_add_co_ci_u32_e64 v7, null, v7, v17, vcc_lo
                                        ; implicit-def: $vgpr16_vgpr17
	flat_load_dwordx2 v[6:7], v[6:7]
	s_waitcnt vmcnt(0) lgkmcnt(0)
	v_mad_u64_u32 v[24:25], null, 0xa8, v32, v[6:7]
	flat_load_dword v6, v[24:25] offset:640
	s_waitcnt vmcnt(0) lgkmcnt(0)
	v_cmpx_eq_u32_e32 1, v6
	s_cbranch_execz .LBB2_26
; %bb.25:
	flat_load_dwordx2 v[16:17], v[24:25] offset:648
	v_or_b32_e32 v81, 0x2000, v81
	s_waitcnt vmcnt(0) lgkmcnt(0)
	flat_load_dwordx2 v[6:7], v[16:17]
	s_trap 2
	s_waitcnt vmcnt(0) lgkmcnt(0)
	ds_write_b64 v0, v[6:7]
	flat_load_dwordx2 v[6:7], v[16:17] offset:8
	s_waitcnt vmcnt(0) lgkmcnt(0)
	ds_write_b64 v0, v[6:7]
	flat_load_dwordx2 v[6:7], v[16:17] offset:16
	s_waitcnt vmcnt(0) lgkmcnt(0)
	ds_write_b64 v0, v[6:7]
.LBB2_26:
	s_or_b32 exec_lo, exec_lo, s5
	flat_load_dwordx2 v[6:7], v[24:25] offset:608
	v_and_b32_e32 v18, 32, v81
	s_mov_b32 s5, exec_lo
                                        ; implicit-def: $vgpr20_vgpr21
	s_waitcnt vmcnt(0) lgkmcnt(0)
	v_add_co_u32 v6, vcc_lo, v6, 3
	v_add_co_ci_u32_e64 v39, null, 0, v7, vcc_lo
	v_and_b32_e32 v38, -4, v6
	v_cmpx_ne_u32_e32 0, v18
	s_cbranch_execz .LBB2_28
; %bb.27:
	flat_load_dwordx2 v[20:21], v[24:25] offset:560
	s_waitcnt vmcnt(0) lgkmcnt(0)
	s_waitcnt_vscnt null, 0x0
	flat_store_dwordx2 v[20:21], v[38:39]
.LBB2_28:
	s_or_b32 exec_lo, exec_lo, s5
	v_and_b32_e32 v22, 4, v81
	v_add_co_u32 v18, vcc_lo, 0x1f8, v24
	v_mov_b32_e32 v6, 0
	v_add_co_ci_u32_e64 v19, null, 0, v25, vcc_lo
	v_mov_b32_e32 v7, 0
	v_cmp_ne_u32_e32 vcc_lo, 0, v22
                                        ; implicit-def: $vgpr82
                                        ; implicit-def: $vgpr22_vgpr23
                                        ; implicit-def: $vgpr26_vgpr27
	s_and_saveexec_b32 s5, vcc_lo
	s_cbranch_execz .LBB2_32
; %bb.29:
	v_and_b32_e32 v6, 0x800, v81
	s_mov_b32 s6, exec_lo
	v_cmpx_eq_u32_e32 0, v6
	s_cbranch_execz .LBB2_31
; %bb.30:
	s_trap 2
	ds_write_b64 v0, v[18:19]
.LBB2_31:
	s_or_b32 exec_lo, exec_lo, s6
	flat_load_dwordx2 v[20:21], v[24:25] offset:552
	s_waitcnt vmcnt(0) lgkmcnt(0)
	flat_load_dwordx2 v[26:27], v[20:21] glc dlc
	s_clause 0x2
	flat_load_dwordx2 v[6:7], v[24:25] offset:600
	flat_load_dword v82, v[24:25] offset:576
	flat_load_dwordx2 v[22:23], v[24:25] offset:520
	v_or_b32_e32 v24, 0x100, v81
	s_waitcnt vmcnt(2) lgkmcnt(2)
	v_cmp_eq_u64_e32 vcc_lo, 0, v[6:7]
	v_cndmask_b32_e32 v81, v24, v81, vcc_lo
.LBB2_32:
	s_or_b32 exec_lo, exec_lo, s5
.LBB2_33:
	s_or_b32 exec_lo, exec_lo, s4
	v_and_b32_e32 v24, 24, v81
	v_cmp_ne_u32_e32 vcc_lo, 0, v24
                                        ; implicit-def: $vgpr24_vgpr25
	s_and_saveexec_b32 s4, vcc_lo
	s_cbranch_execz .LBB2_41
; %bb.34:
	s_trap 2
	ds_read_b64 v[6:7], v0
	v_lshlrev_b64 v[8:9], 3, v[8:9]
	v_or_b32_e32 v24, 0x100, v81
	s_waitcnt lgkmcnt(0)
	v_add_co_u32 v6, vcc_lo, v6, v8
	v_add_co_ci_u32_e64 v7, null, v7, v9, vcc_lo
	flat_load_dwordx2 v[6:7], v[6:7]
	s_waitcnt vmcnt(0) lgkmcnt(0)
	v_mad_u64_u32 v[18:19], null, 0xa8, v32, v[6:7]
	flat_load_dwordx4 v[6:9], v[18:19] offset:96
	s_waitcnt vmcnt(0) lgkmcnt(0)
	v_cmp_eq_u64_e32 vcc_lo, 0, v[6:7]
	v_cndmask_b32_e32 v81, v24, v81, vcc_lo
	v_and_b32_e32 v24, 16, v81
	v_cmp_ne_u32_e32 vcc_lo, 0, v24
                                        ; implicit-def: $vgpr24_vgpr25
	s_and_saveexec_b32 s5, vcc_lo
	s_cbranch_execz .LBB2_36
; %bb.35:
	s_clause 0x2
	flat_load_dwordx2 v[20:21], v[18:19] offset:48
	flat_load_dwordx2 v[24:25], v[18:19] offset:120
	;; [unrolled: 1-line block ×3, first 2 shown]
.LBB2_36:
	s_or_b32 exec_lo, exec_lo, s5
	v_add_co_u32 v8, vcc_lo, v8, 3
	v_and_b32_e32 v32, 8, v81
	v_add_co_ci_u32_e64 v39, null, 0, v9, vcc_lo
	v_and_b32_e32 v38, -4, v8
	s_mov_b32 s5, exec_lo
	v_cmpx_ne_u32_e32 0, v32
	s_cbranch_execz .LBB2_40
; %bb.37:
	v_and_b32_e32 v8, 0x800, v81
	s_mov_b32 s6, exec_lo
	v_cmpx_eq_u32_e32 0, v8
	s_cbranch_execz .LBB2_39
; %bb.38:
	s_trap 2
	ds_write_b64 v0, v[18:19]
.LBB2_39:
	s_or_b32 exec_lo, exec_lo, s6
	s_waitcnt vmcnt(2) lgkmcnt(2)
	flat_load_dwordx2 v[20:21], v[18:19] offset:56
	s_waitcnt vmcnt(0) lgkmcnt(0)
	flat_load_dwordx2 v[26:27], v[20:21] glc dlc
	s_clause 0x1
	flat_load_dword v82, v[18:19] offset:72
	flat_load_dwordx2 v[22:23], v[18:19] offset:16
.LBB2_40:
	s_or_b32 exec_lo, exec_lo, s5
.LBB2_41:
	s_or_b32 exec_lo, exec_lo, s4
	v_cmp_eq_u32_e64 s4, 0, v0
	s_and_saveexec_b32 s5, s4
	s_cbranch_execz .LBB2_43
; %bb.42:
	flat_load_dwordx2 v[8:9], v[2:3] offset:32
	ds_write2_b64 v0, v[12:13], v[10:11] offset1:1
	s_trap 2
	s_waitcnt vmcnt(0) lgkmcnt(1)
	ds_write_b64 v0, v[8:9]
	ds_write_b64 v0, v[29:30]
.LBB2_43:
	s_or_b32 exec_lo, exec_lo, s5
	v_mov_b32_e32 v12, 0
	v_mov_b32_e32 v13, 0
	s_mov_b32 s26, exec_lo
	v_cmpx_lt_i64_e32 0, v[4:5]
	s_cbranch_execnz .LBB2_44
; %bb.7209:
	s_getpc_b64 s[34:35]
.Lpost_getpc1:
	s_add_u32 s34, s34, (.LBB2_7170-.Lpost_getpc1)&4294967295
	s_addc_u32 s35, s35, (.LBB2_7170-.Lpost_getpc1)>>32
	s_setpc_b64 s[34:35]
.LBB2_44:
	flat_load_dword v3, v[2:3] offset:4
	v_lshrrev_b32_e32 v83, 5, v1
	s_ashr_i32 s28, s25, 31
	s_add_u32 s40, s25, -1
	v_and_b32_e32 v86, 0x1fe0, v1
	s_addc_u32 s41, s28, -1
	s_add_i32 s42, s25, s25
	s_not_b32 s11, s25
	s_cmp_gt_i32 s25, 0
	v_lshlrev_b32_e32 v114, 9, v83
	s_cselect_b32 s16, s11, -1
	s_ashr_i32 s17, s15, 31
	v_subrev_nc_u32_e32 v116, 32, v86
	s_add_i32 s43, s16, s42
	s_lshr_b32 s16, s17, 25
	v_add_nc_u32_e32 v117, 0xfffffe00, v114
	s_add_i32 s15, s15, s16
	v_and_b32_e32 v8, 31, v31
	v_and_b32_e32 v84, 31, v0
	s_ashr_i32 s45, s15, 7
	v_and_b32_e32 v36, 0x3ffffe00, v28
	s_ashr_i32 s44, s43, 31
	v_ashrrev_i32_e32 v118, 31, v116
	s_cmp_gt_i32 s25, 2
	v_ashrrev_i32_e32 v119, 31, v117
	v_mov_b32_e32 v2, 0
	v_lshrrev_b32_e32 v85, 5, v0
	v_cmp_eq_u32_e64 s11, 0, v8
	v_lshlrev_b32_e32 v8, 4, v84
	s_cselect_b32 s46, -1, 0
	s_add_i32 s17, s25, 1
	v_add_co_u32 v40, s16, v116, 32
	v_mad_i64_i32 v[32:33], null, v36, s25, 0
	v_add_co_ci_u32_e64 v41, null, 0, v118, s16
	v_add_co_u32 v42, s16, 0x200, v117
	v_cmp_ge_u32_e32 vcc_lo, v0, v1
	v_mov_b32_e32 v28, 0
	s_waitcnt vmcnt(2) lgkmcnt(2)
	v_cmp_eq_u64_e64 s7, 0, v[24:25]
	v_cmp_ne_u64_e64 s10, 0, v[24:25]
	v_mov_b32_e32 v12, 0
	v_add_co_ci_u32_e64 v43, null, 0, v119, s16
	v_ashrrev_i32_e32 v30, 31, v82
	v_cmp_eq_u32_e64 s5, 32, v1
	v_cmp_ne_u32_e64 s6, 32, v1
	s_waitcnt vmcnt(1)
	v_cmp_ne_u32_sdwa s29, v1, v80 src0_sel:DWORD src1_sel:WORD_0
	v_mov_b32_e32 v29, 0
	v_lshlrev_b32_e32 v87, 4, v0
	v_mov_b32_e32 v96, 1
	v_mov_b32_e32 v97, 0x7f
	;; [unrolled: 1-line block ×11, first 2 shown]
	v_cmp_eq_u32_e64 s12, 0, v84
	v_cmp_lt_u32_e64 s13, v84, v34
	v_lshlrev_b32_e32 v113, 10, v83
	v_lshlrev_b32_e32 v115, 8, v83
	v_cmp_le_u32_e64 s14, v84, v34
	v_mov_b32_e32 v35, v2
	v_lshl_or_b32 v34, v85, 10, v8
	s_mov_b32 s27, 0
	s_trap 2
	s_waitcnt vmcnt(0) lgkmcnt(0)
	v_and_b32_e32 v3, 1, v3
	v_cmp_eq_u32_e64 s15, 1, v3
	s_xor_b32 s47, s15, -1
	s_cmp_ge_i32 s17, s25
	s_cselect_b32 s16, s25, 0
	s_add_i32 s56, s25, -2
	s_sub_i32 s58, s17, s16
	s_xor_b32 s57, vcc_lo, -1
	s_ashr_i32 s20, s28, 31
	s_ashr_i32 s59, s58, 31
	s_sub_i32 s60, 0, s25
	s_branch .LBB2_47
.LBB2_45:                               ;   in Loop: Header=BB2_47 Depth=1
	s_or_b32 exec_lo, exec_lo, s18
.LBB2_46:                               ;   in Loop: Header=BB2_47 Depth=1
	s_or_b32 exec_lo, exec_lo, s17
	v_add_co_u32 v28, vcc_lo, v28, v32
	v_add_co_ci_u32_e64 v29, null, v29, v33, vcc_lo
	v_cmp_ge_i64_e32 vcc_lo, v[28:29], v[4:5]
	s_or_b32 s27, vcc_lo, s27
	s_andn2_b32 exec_lo, exec_lo, s27
	s_cbranch_execnz .LBB2_47
; %bb.7211:
	s_getpc_b64 s[34:35]
.Lpost_getpc2:
	s_add_u32 s34, s34, (.LBB2_7169-.Lpost_getpc2)&4294967295
	s_addc_u32 s35, s35, (.LBB2_7169-.Lpost_getpc2)>>32
	s_setpc_b64 s[34:35]
.LBB2_47:                               ; =>This Loop Header: Depth=1
                                        ;     Child Loop BB2_57 Depth 2
                                        ;       Child Loop BB2_65 Depth 3
                                        ;       Child Loop BB2_89 Depth 3
	;; [unrolled: 1-line block ×9, first 2 shown]
                                        ;     Child Loop BB2_1141 Depth 2
                                        ;       Child Loop BB2_1147 Depth 3
                                        ;       Child Loop BB2_1171 Depth 3
	;; [unrolled: 1-line block ×3, first 2 shown]
                                        ;     Child Loop BB2_1213 Depth 2
                                        ;       Child Loop BB2_1216 Depth 3
                                        ;         Child Loop BB2_1224 Depth 4
                                        ;         Child Loop BB2_1252 Depth 4
	;; [unrolled: 1-line block ×9, first 2 shown]
                                        ;       Child Loop BB2_3032 Depth 3
                                        ;         Child Loop BB2_3038 Depth 4
                                        ;         Child Loop BB2_3066 Depth 4
	;; [unrolled: 1-line block ×3, first 2 shown]
                                        ;     Child Loop BB2_3107 Depth 2
                                        ;       Child Loop BB2_3115 Depth 3
                                        ;       Child Loop BB2_3143 Depth 3
	;; [unrolled: 1-line block ×4, first 2 shown]
                                        ;         Child Loop BB2_3738 Depth 4
                                        ;       Child Loop BB2_3840 Depth 3
                                        ;         Child Loop BB2_4393 Depth 4
                                        ;       Child Loop BB2_4499 Depth 3
                                        ;       Child Loop BB2_4829 Depth 3
                                        ;         Child Loop BB2_4872 Depth 4
                                        ;       Child Loop BB2_4894 Depth 3
                                        ;       Child Loop BB2_5547 Depth 3
	;; [unrolled: 1-line block ×6, first 2 shown]
                                        ;     Child Loop BB2_6630 Depth 2
                                        ;       Child Loop BB2_6636 Depth 3
                                        ;       Child Loop BB2_6664 Depth 3
	;; [unrolled: 1-line block ×3, first 2 shown]
                                        ;     Child Loop BB2_6705 Depth 2
                                        ;       Child Loop BB2_6708 Depth 3
                                        ;         Child Loop BB2_6716 Depth 4
                                        ;         Child Loop BB2_6744 Depth 4
	;; [unrolled: 1-line block ×4, first 2 shown]
                                        ;           Child Loop BB2_6787 Depth 5
                                        ;         Child Loop BB2_6793 Depth 4
                                        ;           Child Loop BB2_6794 Depth 5
                                        ;         Child Loop BB2_6801 Depth 4
                                        ;         Child Loop BB2_6806 Depth 4
                                        ;           Child Loop BB2_6807 Depth 5
                                        ;         Child Loop BB2_6819 Depth 4
                                        ;         Child Loop BB2_6824 Depth 4
	;; [unrolled: 1-line block ×6, first 2 shown]
                                        ;       Child Loop BB2_6887 Depth 3
                                        ;         Child Loop BB2_6893 Depth 4
                                        ;         Child Loop BB2_6921 Depth 4
	;; [unrolled: 1-line block ×3, first 2 shown]
                                        ;     Child Loop BB2_6965 Depth 2
                                        ;       Child Loop BB2_6973 Depth 3
                                        ;       Child Loop BB2_6997 Depth 3
	;; [unrolled: 1-line block ×9, first 2 shown]
                                        ;     Child Loop BB2_7103 Depth 2
                                        ;       Child Loop BB2_7109 Depth 3
                                        ;       Child Loop BB2_7133 Depth 3
	;; [unrolled: 1-line block ×3, first 2 shown]
	v_sub_co_u32 v48, vcc_lo, v4, v28
	v_sub_co_ci_u32_e64 v49, null, v5, v29, vcc_lo
	s_mov_b32 s17, exec_lo
	v_cmpx_lt_i64_e64 v[48:49], v[32:33]
	s_cbranch_execz .LBB2_53
; %bb.48:                               ;   in Loop: Header=BB2_47 Depth=1
	v_add_co_u32 v10, vcc_lo, s40, v48
	v_add_co_ci_u32_e64 v11, null, s41, v49, vcc_lo
                                        ; implicit-def: $vgpr8_vgpr9
	s_mov_b32 s16, exec_lo
	v_or_b32_e32 v3, s28, v11
	v_cmpx_ne_u64_e32 0, v[2:3]
	s_xor_b32 s22, exec_lo, s16
	s_cbranch_execz .LBB2_50
; %bb.49:                               ;   in Loop: Header=BB2_47 Depth=1
	s_add_u32 s18, s25, s20
	s_mov_b32 s21, s20
	s_addc_u32 s19, s28, s20
	v_ashrrev_i32_e32 v50, 31, v11
	s_xor_b64 s[18:19], s[18:19], s[20:21]
	v_cvt_f32_u32_e32 v3, s18
	v_cvt_f32_u32_e32 v8, s19
	s_sub_u32 s16, 0, s18
	s_subb_u32 s61, 0, s19
	v_add_co_u32 v9, vcc_lo, v10, v50
	v_fmac_f32_e32 v3, 0x4f800000, v8
	v_xor_b32_e32 v51, v9, v50
	v_rcp_f32_e32 v3, v3
	v_mul_f32_e32 v3, 0x5f7ffffc, v3
	v_mul_f32_e32 v8, 0x2f800000, v3
	v_trunc_f32_e32 v8, v8
	v_fmac_f32_e32 v3, 0xcf800000, v8
	v_cvt_u32_f32_e32 v8, v8
	v_cvt_u32_f32_e32 v3, v3
	v_readfirstlane_b32 s21, v8
	v_readfirstlane_b32 s23, v3
	s_mul_i32 s62, s16, s21
	v_add_co_ci_u32_e64 v3, null, v11, v50, vcc_lo
	s_mul_hi_u32 s72, s16, s23
	s_mul_i32 s63, s61, s23
	s_add_i32 s62, s72, s62
	s_mul_i32 s73, s16, s23
	s_add_i32 s62, s62, s63
	s_mul_hi_u32 s72, s23, s73
	s_mul_i32 s75, s23, s62
	s_mul_hi_u32 s74, s21, s73
	s_mul_i32 s63, s21, s73
	s_mul_hi_u32 s73, s23, s62
	s_add_u32 s72, s72, s75
	s_addc_u32 s73, 0, s73
	s_mul_hi_u32 s76, s21, s62
	s_add_u32 s63, s72, s63
	s_mul_i32 s62, s21, s62
	s_addc_u32 s63, s73, s74
	s_addc_u32 s72, s76, 0
	s_add_u32 s62, s63, s62
	s_addc_u32 s63, 0, s72
	s_add_u32 s23, s23, s62
	s_cselect_b32 s62, -1, 0
	s_mul_hi_u32 s72, s16, s23
	s_cmp_lg_u32 s62, 0
	s_mul_i32 s62, s16, s23
	s_addc_u32 s21, s21, s63
	s_mul_i32 s61, s61, s23
	s_mul_i32 s16, s16, s21
	s_mul_hi_u32 s63, s23, s62
	s_add_i32 s16, s72, s16
	s_mul_hi_u32 s72, s21, s62
	s_add_i32 s16, s16, s61
	s_mul_i32 s61, s21, s62
	s_mul_i32 s74, s23, s16
	s_mul_hi_u32 s73, s23, s16
	s_add_u32 s63, s63, s74
	s_addc_u32 s73, 0, s73
	s_mul_hi_u32 s62, s21, s16
	s_add_u32 s61, s63, s61
	s_mul_i32 s16, s21, s16
	s_addc_u32 s61, s73, s72
	s_addc_u32 s62, s62, 0
	s_add_u32 s16, s61, s16
	s_addc_u32 s61, 0, s62
	s_add_u32 s16, s23, s16
	s_cselect_b32 s23, -1, 0
	v_xor_b32_e32 v3, v3, v50
	s_cmp_lg_u32 s23, 0
	v_mul_hi_u32 v52, v51, s16
	s_addc_u32 s21, s21, s61
	v_mad_u64_u32 v[8:9], null, v51, s21, 0
	v_mad_u64_u32 v[10:11], null, v3, s16, 0
	;; [unrolled: 1-line block ×3, first 2 shown]
	v_add_co_u32 v8, vcc_lo, v52, v8
	v_add_co_ci_u32_e64 v9, null, 0, v9, vcc_lo
	v_add_co_u32 v8, vcc_lo, v8, v10
	v_add_co_ci_u32_e32 v8, vcc_lo, v9, v11, vcc_lo
	v_add_co_ci_u32_e32 v9, vcc_lo, 0, v37, vcc_lo
	v_add_co_u32 v10, vcc_lo, v8, v36
	v_add_co_ci_u32_e64 v11, null, 0, v9, vcc_lo
	v_mul_lo_u32 v36, s19, v10
	v_mad_u64_u32 v[8:9], null, s18, v10, 0
	v_mul_lo_u32 v37, s18, v11
	v_sub_co_u32 v8, vcc_lo, v51, v8
	v_add3_u32 v9, v9, v37, v36
	v_add_co_u32 v37, s16, v10, 2
	v_add_co_ci_u32_e64 v51, null, 0, v11, s16
	v_sub_nc_u32_e32 v36, v3, v9
	v_sub_co_u32 v52, s16, v8, s18
	v_sub_co_ci_u32_e64 v3, null, v3, v9, vcc_lo
	v_subrev_co_ci_u32_e64 v36, null, s19, v36, vcc_lo
	v_cmp_le_u32_e32 vcc_lo, s18, v52
	v_subrev_co_ci_u32_e64 v36, null, 0, v36, s16
	v_cndmask_b32_e64 v9, 0, -1, vcc_lo
	v_cmp_le_u32_e32 vcc_lo, s19, v36
	v_cndmask_b32_e64 v52, 0, -1, vcc_lo
	v_cmp_le_u32_e32 vcc_lo, s18, v8
	;; [unrolled: 2-line block ×3, first 2 shown]
	v_cndmask_b32_e64 v53, 0, -1, vcc_lo
	v_cmp_eq_u32_e32 vcc_lo, s19, v36
	v_cndmask_b32_e32 v9, v52, v9, vcc_lo
	v_add_co_u32 v36, vcc_lo, v10, 1
	v_add_co_ci_u32_e64 v52, null, 0, v11, vcc_lo
	v_cmp_eq_u32_e32 vcc_lo, s19, v3
	v_cndmask_b32_e32 v3, v53, v8, vcc_lo
	v_cmp_ne_u32_e32 vcc_lo, 0, v9
	v_xor_b32_e32 v9, s20, v50
	v_cmp_ne_u32_e64 s16, 0, v3
	v_cndmask_b32_e32 v3, v36, v37, vcc_lo
	v_cndmask_b32_e32 v8, v52, v51, vcc_lo
	v_cndmask_b32_e64 v3, v10, v3, s16
	v_cndmask_b32_e64 v8, v11, v8, s16
	v_xor_b32_e32 v3, v3, v9
	v_xor_b32_e32 v10, v8, v9
	v_sub_co_u32 v8, vcc_lo, v3, v9
	v_sub_co_ci_u32_e64 v9, null, v10, v9, vcc_lo
                                        ; implicit-def: $vgpr10
.LBB2_50:                               ;   in Loop: Header=BB2_47 Depth=1
	s_andn2_saveexec_b32 s16, s22
	s_cbranch_execz .LBB2_52
; %bb.51:                               ;   in Loop: Header=BB2_47 Depth=1
	v_cvt_f32_u32_e32 v3, s25
	v_rcp_iflag_f32_e32 v3, v3
	v_mul_f32_e32 v3, 0x4f7ffffe, v3
	v_cvt_u32_f32_e32 v3, v3
	v_mul_lo_u32 v8, s60, v3
	v_mul_hi_u32 v8, v3, v8
	v_add_nc_u32_e32 v3, v3, v8
	v_mul_hi_u32 v3, v10, v3
	v_mul_lo_u32 v8, v3, s25
	v_add_nc_u32_e32 v9, 1, v3
	v_sub_nc_u32_e32 v8, v10, v8
	v_subrev_nc_u32_e32 v10, s25, v8
	v_cmp_le_u32_e32 vcc_lo, s25, v8
	v_cndmask_b32_e32 v8, v8, v10, vcc_lo
	v_cndmask_b32_e32 v3, v3, v9, vcc_lo
	v_cmp_le_u32_e32 vcc_lo, s25, v8
	v_add_nc_u32_e32 v9, 1, v3
	v_cndmask_b32_e32 v8, v3, v9, vcc_lo
	v_mov_b32_e32 v9, v2
.LBB2_52:                               ;   in Loop: Header=BB2_47 Depth=1
	s_or_b32 exec_lo, exec_lo, s16
	v_add_co_u32 v3, vcc_lo, v8, 15
	v_add_co_ci_u32_e64 v37, null, 0, v9, vcc_lo
	v_and_b32_e32 v36, -16, v3
.LBB2_53:                               ;   in Loop: Header=BB2_47 Depth=1
	s_or_b32 exec_lo, exec_lo, s17
	v_mul_lo_u32 v3, v37, s43
	v_mul_lo_u32 v8, v36, s44
	v_mad_u64_u32 v[52:53], null, v36, s43, 0
	v_mov_b32_e32 v71, 0
	v_add3_u32 v53, v53, v8, v3
	v_sub_co_u32 v8, vcc_lo, v48, v52
	v_sub_co_ci_u32_e64 v9, null, v49, v53, vcc_lo
	v_cmp_lt_i64_e32 vcc_lo, v[36:37], v[8:9]
	v_cndmask_b32_e32 v8, v8, v36, vcc_lo
	v_add_co_u32 v44, vcc_lo, v28, v14
	v_add_co_ci_u32_e64 v45, null, v29, v15, vcc_lo
	v_max_i32_e32 v70, 0, v8
	v_cmp_lt_i32_e32 vcc_lo, 0, v8
	v_add_nc_u32_e32 v3, 31, v70
	s_and_b32 s16, s57, vcc_lo
	v_lshrrev_b32_e32 v3, 1, v3
	v_and_b32_e32 v9, 0x3ffffff0, v3
	v_mov_b32_e32 v3, 0
	v_max_i32_e32 v50, s45, v9
	s_and_saveexec_b32 s18, s16
	s_cbranch_execz .LBB2_1137
; %bb.54:                               ;   in Loop: Header=BB2_47 Depth=1
	v_mov_b32_e32 v71, 0
	s_mov_b32 s22, 1
	s_mov_b32 s21, -1
	s_mov_b32 s19, 0
	s_branch .LBB2_57
.LBB2_55:                               ;   in Loop: Header=BB2_57 Depth=2
	s_or_b32 exec_lo, exec_lo, s17
	v_add_co_u32 v38, vcc_lo, v38, 2
	v_add_co_ci_u32_e64 v39, null, 0, v39, vcc_lo
	s_waitcnt vmcnt(0) lgkmcnt(0)
	s_waitcnt_vscnt null, 0x0
	flat_store_dwordx2 v[20:21], v[38:39]
.LBB2_56:                               ;   in Loop: Header=BB2_57 Depth=2
	s_or_b32 exec_lo, exec_lo, s16
	v_add_nc_u32_e32 v71, v50, v71
	s_xor_b32 s16, s21, -1
	v_mov_b32_e32 v3, s22
	s_mov_b32 s21, 0
	s_mov_b32 s22, 2
	v_cmp_ge_i32_e32 vcc_lo, v71, v70
	s_or_b32 s16, s16, vcc_lo
	s_and_b32 s16, exec_lo, s16
	s_or_b32 s19, s16, s19
	s_andn2_b32 exec_lo, exec_lo, s19
	s_cbranch_execz .LBB2_1136
.LBB2_57:                               ;   Parent Loop BB2_47 Depth=1
                                        ; =>  This Loop Header: Depth=2
                                        ;       Child Loop BB2_65 Depth 3
                                        ;       Child Loop BB2_89 Depth 3
	;; [unrolled: 1-line block ×9, first 2 shown]
	s_and_saveexec_b32 s16, s4
	s_cbranch_execz .LBB2_59
; %bb.58:                               ;   in Loop: Header=BB2_57 Depth=2
	s_trap 2
	ds_read_b64 v[8:9], v0
	s_waitcnt lgkmcnt(0)
	v_add_co_u32 v3, vcc_lo, v8, v44
	v_add_co_ci_u32_e64 v8, null, v9, v45, vcc_lo
	v_ashrrev_i32_e32 v9, 31, v71
	v_add_co_u32 v3, vcc_lo, v3, v52
	v_add_co_ci_u32_e64 v10, null, v8, v53, vcc_lo
	v_add_co_u32 v8, vcc_lo, v3, v71
	v_add_co_ci_u32_e64 v9, null, v10, v9, vcc_lo
	v_mov_b32_e32 v3, v2
	ds_write_b64 v0, v[8:9]
	ds_write_b64 v0, v[2:3]
.LBB2_59:                               ;   in Loop: Header=BB2_57 Depth=2
	s_or_b32 exec_lo, exec_lo, s16
	v_sub_nc_u32_e32 v3, v70, v71
	v_and_b32_e32 v8, 8, v81
	s_mov_b32 s17, exec_lo
	v_min_i32_e32 v50, v50, v3
	v_cmpx_ne_u32_e32 0, v8
	s_cbranch_execz .LBB2_81
; %bb.60:                               ;   in Loop: Header=BB2_57 Depth=2
	s_waitcnt vmcnt(0) lgkmcnt(1)
	v_add_co_u32 v10, vcc_lo, v26, 8
	v_add_co_ci_u32_e64 v11, null, 0, v27, vcc_lo
	v_add_co_u32 v8, vcc_lo, v38, 2
	v_add_co_ci_u32_e64 v9, null, 0, v39, vcc_lo
	s_mov_b32 s23, exec_lo
	v_cmpx_lt_u64_e64 v[10:11], v[8:9]
	s_cbranch_execz .LBB2_72
; %bb.61:                               ;   in Loop: Header=BB2_57 Depth=2
	v_and_b32_e32 v3, 64, v81
	s_mov_b32 s61, 0
	s_mov_b32 s73, 0
                                        ; implicit-def: $sgpr62
                                        ; implicit-def: $sgpr63
                                        ; implicit-def: $sgpr72
	v_cmp_eq_u32_e32 vcc_lo, 0, v3
	s_branch .LBB2_65
.LBB2_62:                               ;   in Loop: Header=BB2_65 Depth=3
	s_waitcnt vmcnt(0) lgkmcnt(0)
	v_add_co_u32 v10, s16, v26, 8
	v_add_co_ci_u32_e64 v11, null, 0, v27, s16
	s_or_b32 s76, s76, exec_lo
	v_cmp_ge_u64_e64 s16, v[10:11], v[8:9]
	s_orn2_b32 s75, s16, exec_lo
.LBB2_63:                               ;   in Loop: Header=BB2_65 Depth=3
	s_or_b32 exec_lo, exec_lo, s78
	s_andn2_b32 s16, s72, exec_lo
	s_and_b32 s72, s76, exec_lo
	s_andn2_b32 s63, s63, exec_lo
	s_and_b32 s75, s75, exec_lo
	s_or_b32 s72, s16, s72
	s_or_b32 s63, s63, s75
.LBB2_64:                               ;   in Loop: Header=BB2_65 Depth=3
	s_or_b32 exec_lo, exec_lo, s74
	s_and_b32 s16, exec_lo, s63
	s_or_b32 s61, s16, s61
	s_andn2_b32 s16, s62, exec_lo
	s_and_b32 s62, s72, exec_lo
	s_or_b32 s62, s16, s62
	s_andn2_b32 exec_lo, exec_lo, s61
	s_cbranch_execz .LBB2_69
.LBB2_65:                               ;   Parent Loop BB2_47 Depth=1
                                        ;     Parent Loop BB2_57 Depth=2
                                        ; =>    This Inner Loop Header: Depth=3
	s_sleep 1
	s_waitcnt vmcnt(0) lgkmcnt(0)
	flat_load_dwordx2 v[26:27], v[20:21] glc dlc
	s_or_b32 s72, s72, exec_lo
	s_or_b32 s63, s63, exec_lo
                                        ; implicit-def: $vgpr3
	s_and_saveexec_b32 s74, vcc_lo
	s_cbranch_execz .LBB2_64
; %bb.66:                               ;   in Loop: Header=BB2_65 Depth=3
	s_cmpk_lt_i32 s73, 0x270f
	s_mov_b32 s75, -1
	s_cselect_b32 s77, -1, 0
	s_cmpk_gt_i32 s73, 0x270e
	s_cbranch_scc0 .LBB2_68
; %bb.67:                               ;   in Loop: Header=BB2_65 Depth=3
	s_trap 2
	ds_read_b64 v[10:11], v0
	s_andn2_b32 s73, s77, exec_lo
	s_mov_b32 s76, 0
	s_waitcnt vmcnt(0) lgkmcnt(0)
	s_waitcnt_vscnt null, 0x0
	flat_load_dword v3, v[10:11] glc dlc
	s_waitcnt vmcnt(0) lgkmcnt(0)
	buffer_gl1_inv
	buffer_gl0_inv
	v_cmp_eq_u32_e64 s16, 0, v3
	s_and_b32 s16, s16, exec_lo
	s_or_b32 s77, s73, s16
	s_mov_b32 s73, 0
	s_and_saveexec_b32 s78, s77
	s_cbranch_execz .LBB2_63
	s_branch .LBB2_62
.LBB2_68:                               ;   in Loop: Header=BB2_65 Depth=3
	s_add_i32 s73, s73, 1
	s_mov_b32 s76, -1
                                        ; implicit-def: $vgpr3
	s_and_saveexec_b32 s78, s77
	s_cbranch_execz .LBB2_63
	s_branch .LBB2_62
.LBB2_69:                               ;   in Loop: Header=BB2_57 Depth=2
	s_or_b32 exec_lo, exec_lo, s61
	s_xor_b32 s16, s62, -1
	s_and_saveexec_b32 s61, s16
	s_xor_b32 s16, exec_lo, s61
	s_cbranch_execz .LBB2_71
; %bb.70:                               ;   in Loop: Header=BB2_57 Depth=2
	v_or_b32_e32 v81, 64, v81
	s_waitcnt vmcnt(0) lgkmcnt(0)
	s_waitcnt_vscnt null, 0x0
	ds_write_b32 v0, v3
	s_trap 2
.LBB2_71:                               ;   in Loop: Header=BB2_57 Depth=2
	s_or_b32 exec_lo, exec_lo, s16
.LBB2_72:                               ;   in Loop: Header=BB2_57 Depth=2
	s_or_b32 exec_lo, exec_lo, s23
	v_and_b32_e32 v3, 0x100, v81
	s_mov_b32 s16, -1
	;;#ASMSTART
	s_wakeup
	;;#ASMEND
                                        ; implicit-def: $vgpr10_vgpr11
	v_cmp_ne_u32_e32 vcc_lo, 0, v3
	v_and_b32_e32 v3, 7, v38
	s_and_saveexec_b32 s23, vcc_lo
	s_cbranch_execz .LBB2_76
; %bb.73:                               ;   in Loop: Header=BB2_57 Depth=2
	v_mad_u64_u32 v[38:39], null, v3, 24, v[6:7]
	v_ashrrev_i32_e32 v51, 31, v50
	flat_load_dword v10, v[38:39]
	flat_store_dwordx2 v[38:39], v[50:51] offset:8
	s_waitcnt vmcnt(0) lgkmcnt(1)
	v_cmp_eq_u32_e64 s16, 1, v10
	v_cmp_ne_u32_e32 vcc_lo, 1, v10
                                        ; implicit-def: $vgpr10_vgpr11
	s_and_saveexec_b32 s61, s16
	s_cbranch_execz .LBB2_75
; %bb.74:                               ;   in Loop: Header=BB2_57 Depth=2
	flat_load_dword v10, v[38:39] offset:4 glc dlc
	s_waitcnt vmcnt(0) lgkmcnt(0)
	v_ashrrev_i32_e32 v11, 31, v10
.LBB2_75:                               ;   in Loop: Header=BB2_57 Depth=2
	s_or_b32 exec_lo, exec_lo, s61
	s_orn2_b32 s16, vcc_lo, exec_lo
.LBB2_76:                               ;   in Loop: Header=BB2_57 Depth=2
	s_or_b32 exec_lo, exec_lo, s23
	s_and_saveexec_b32 s23, s16
; %bb.77:                               ;   in Loop: Header=BB2_57 Depth=2
	v_mad_i64_i32 v[10:11], null, v3, v82, 0
; %bb.78:                               ;   in Loop: Header=BB2_57 Depth=2
	s_or_b32 exec_lo, exec_lo, s23
	v_add_co_u32 v10, vcc_lo, v22, v10
	v_and_b32_e32 v3, 0x2000, v81
	v_add_co_ci_u32_e64 v11, null, v23, v11, vcc_lo
	s_mov_b32 s16, exec_lo
	ds_write_b64 v0, v[10:11] offset:784
	v_cmpx_ne_u32_e32 0, v3
	s_cbranch_execz .LBB2_80
; %bb.79:                               ;   in Loop: Header=BB2_57 Depth=2
	ds_read_b64 v[10:11], v0 offset:872
	s_waitcnt lgkmcnt(0)
	v_add_co_u32 v10, vcc_lo, v10, 1
	v_add_co_ci_u32_e64 v11, null, 0, v11, vcc_lo
	ds_write_b64 v0, v[10:11] offset:872
.LBB2_80:                               ;   in Loop: Header=BB2_57 Depth=2
	s_or_b32 exec_lo, exec_lo, s16
	v_mov_b32_e32 v39, v9
	v_mov_b32_e32 v38, v8
.LBB2_81:                               ;   in Loop: Header=BB2_57 Depth=2
	s_or_b32 exec_lo, exec_lo, s17
	s_and_saveexec_b32 s16, s6
	s_cbranch_execz .LBB2_100
; %bb.82:                               ;   in Loop: Header=BB2_57 Depth=2
	s_and_saveexec_b32 s17, s29
	s_xor_b32 s17, exec_lo, s17
	s_cbranch_execz .LBB2_97
; %bb.83:                               ;   in Loop: Header=BB2_57 Depth=2
	s_and_saveexec_b32 s23, s11
	s_cbranch_execz .LBB2_96
; %bb.84:                               ;   in Loop: Header=BB2_57 Depth=2
	s_mov_b32 s62, exec_lo
	s_mov_b32 s61, exec_lo
	v_mbcnt_lo_u32_b32 v3, s62, 0
	s_waitcnt vmcnt(0) lgkmcnt(0)
	s_waitcnt_vscnt null, 0x0
	buffer_gl1_inv
	buffer_gl0_inv
	v_cmpx_eq_u32_e32 0, v3
	s_cbranch_execz .LBB2_86
; %bb.85:                               ;   in Loop: Header=BB2_57 Depth=2
	s_bcnt1_i32_b32 s62, s62
	v_mov_b32_e32 v9, v2
	v_mov_b32_e32 v8, s62
	ds_add_u64 v0, v[8:9]
	s_trap 2
.LBB2_86:                               ;   in Loop: Header=BB2_57 Depth=2
	s_or_b32 exec_lo, exec_lo, s61
	s_trap 2
	ds_read_b64 v[8:9], v0
	s_waitcnt lgkmcnt(0)
	buffer_gl0_inv
	v_add_co_u32 v12, vcc_lo, v12, v83
	v_add_co_ci_u32_e64 v13, null, 0, v13, vcc_lo
	s_mov_b32 s61, exec_lo
	v_cmpx_lt_u64_e64 v[8:9], v[12:13]
	s_cbranch_execz .LBB2_95
; %bb.87:                               ;   in Loop: Header=BB2_57 Depth=2
	s_mov_b32 s62, 0
	s_mov_b32 s73, 0
                                        ; implicit-def: $sgpr63
                                        ; implicit-def: $sgpr72
	s_inst_prefetch 0x1
	s_branch .LBB2_89
	.p2align	6
.LBB2_88:                               ;   in Loop: Header=BB2_89 Depth=3
	s_or_b32 exec_lo, exec_lo, s75
	s_and_b32 s74, exec_lo, s76
	s_or_b32 s62, s74, s62
	s_andn2_b32 s63, s63, exec_lo
	s_and_b32 s74, s72, exec_lo
	s_or_b32 s63, s63, s74
	s_andn2_b32 exec_lo, exec_lo, s62
	s_cbranch_execz .LBB2_93
.LBB2_89:                               ;   Parent Loop BB2_47 Depth=1
                                        ;     Parent Loop BB2_57 Depth=2
                                        ; =>    This Inner Loop Header: Depth=3
	s_add_i32 s73, s73, 1
	s_cmpk_lg_i32 s73, 0x2710
	s_cselect_b32 s74, -1, 0
	s_and_b32 vcc_lo, exec_lo, s74
	s_cbranch_vccz .LBB2_91
; %bb.90:                               ;   in Loop: Header=BB2_89 Depth=3
	s_mov_b32 s76, -1
	s_or_b32 s72, s72, exec_lo
	s_and_saveexec_b32 s75, s74
	s_cbranch_execz .LBB2_88
	s_branch .LBB2_92
	.p2align	6
.LBB2_91:                               ;   in Loop: Header=BB2_89 Depth=3
	s_trap 2
	ds_read_b64 v[8:9], v0
	s_andn2_b32 s74, s74, exec_lo
	s_mov_b32 s73, 0
	s_waitcnt lgkmcnt(0)
	flat_load_dword v3, v[8:9] glc dlc
	s_waitcnt vmcnt(0) lgkmcnt(0)
	buffer_gl1_inv
	buffer_gl0_inv
	v_cmp_eq_u32_e32 vcc_lo, 0, v3
	s_and_b32 s75, vcc_lo, exec_lo
	s_or_b32 s74, s74, s75
	s_mov_b32 s76, -1
	s_or_b32 s72, s72, exec_lo
	s_and_saveexec_b32 s75, s74
	s_cbranch_execz .LBB2_88
.LBB2_92:                               ;   in Loop: Header=BB2_89 Depth=3
	s_sleep 1
	s_trap 2
	ds_read_b64 v[8:9], v0
	s_waitcnt lgkmcnt(0)
	buffer_gl0_inv
	s_andn2_b32 s72, s72, exec_lo
	v_cmp_ge_u64_e32 vcc_lo, v[8:9], v[12:13]
	s_orn2_b32 s76, vcc_lo, exec_lo
	s_branch .LBB2_88
.LBB2_93:                               ;   in Loop: Header=BB2_57 Depth=2
	s_inst_prefetch 0x2
	s_or_b32 exec_lo, exec_lo, s62
	s_and_saveexec_b32 s62, s63
	s_xor_b32 s62, exec_lo, s62
	s_cbranch_execz .LBB2_95
; %bb.94:                               ;   in Loop: Header=BB2_57 Depth=2
	ds_write_b32 v0, v96
	s_trap 2
.LBB2_95:                               ;   in Loop: Header=BB2_57 Depth=2
	s_or_b32 exec_lo, exec_lo, s61
	;;#ASMSTART
	s_wakeup
	;;#ASMEND
.LBB2_96:                               ;   in Loop: Header=BB2_57 Depth=2
	s_or_b32 exec_lo, exec_lo, s23
.LBB2_97:                               ;   in Loop: Header=BB2_57 Depth=2
	s_andn2_saveexec_b32 s17, s17
	s_cbranch_execz .LBB2_99
; %bb.98:                               ;   in Loop: Header=BB2_57 Depth=2
	s_waitcnt vmcnt(0) lgkmcnt(0)
	s_waitcnt_vscnt null, 0x0
	buffer_gl1_inv
	buffer_gl0_inv
	s_barrier
.LBB2_99:                               ;   in Loop: Header=BB2_57 Depth=2
	s_or_b32 exec_lo, exec_lo, s17
.LBB2_100:                              ;   in Loop: Header=BB2_57 Depth=2
	s_or_b32 exec_lo, exec_lo, s16
	s_trap 2
	ds_read_b32 v3, v0
	v_and_b32_e32 v8, 0x4000, v81
	s_xor_b32 s16, s5, -1
	v_cmp_ne_u32_e32 vcc_lo, 0, v8
	s_and_b32 s17, s16, vcc_lo
	s_and_saveexec_b32 s16, s17
	s_cbranch_execz .LBB2_119
; %bb.101:                              ;   in Loop: Header=BB2_57 Depth=2
	s_and_saveexec_b32 s17, s29
	s_xor_b32 s17, exec_lo, s17
	s_cbranch_execz .LBB2_116
; %bb.102:                              ;   in Loop: Header=BB2_57 Depth=2
	s_and_saveexec_b32 s23, s11
	s_cbranch_execz .LBB2_115
; %bb.103:                              ;   in Loop: Header=BB2_57 Depth=2
	s_mov_b32 s62, exec_lo
	s_mov_b32 s61, exec_lo
	v_mbcnt_lo_u32_b32 v8, s62, 0
	s_waitcnt vmcnt(0) lgkmcnt(0)
	s_waitcnt_vscnt null, 0x0
	buffer_gl1_inv
	buffer_gl0_inv
	v_cmpx_eq_u32_e32 0, v8
	s_cbranch_execz .LBB2_105
; %bb.104:                              ;   in Loop: Header=BB2_57 Depth=2
	s_bcnt1_i32_b32 s62, s62
	v_mov_b32_e32 v9, v2
	v_mov_b32_e32 v8, s62
	ds_add_u64 v0, v[8:9]
	s_trap 2
.LBB2_105:                              ;   in Loop: Header=BB2_57 Depth=2
	s_or_b32 exec_lo, exec_lo, s61
	s_trap 2
	ds_read_b64 v[8:9], v0
	s_waitcnt lgkmcnt(0)
	buffer_gl0_inv
	v_add_co_u32 v12, vcc_lo, v12, v83
	v_add_co_ci_u32_e64 v13, null, 0, v13, vcc_lo
	s_mov_b32 s61, exec_lo
	v_cmpx_lt_u64_e64 v[8:9], v[12:13]
	s_cbranch_execz .LBB2_114
; %bb.106:                              ;   in Loop: Header=BB2_57 Depth=2
	s_mov_b32 s62, 0
	s_mov_b32 s73, 0
                                        ; implicit-def: $sgpr63
                                        ; implicit-def: $sgpr72
	s_inst_prefetch 0x1
	s_branch .LBB2_108
	.p2align	6
.LBB2_107:                              ;   in Loop: Header=BB2_108 Depth=3
	s_or_b32 exec_lo, exec_lo, s75
	s_and_b32 s74, exec_lo, s76
	s_or_b32 s62, s74, s62
	s_andn2_b32 s63, s63, exec_lo
	s_and_b32 s74, s72, exec_lo
	s_or_b32 s63, s63, s74
	s_andn2_b32 exec_lo, exec_lo, s62
	s_cbranch_execz .LBB2_112
.LBB2_108:                              ;   Parent Loop BB2_47 Depth=1
                                        ;     Parent Loop BB2_57 Depth=2
                                        ; =>    This Inner Loop Header: Depth=3
	s_add_i32 s73, s73, 1
	s_cmpk_lg_i32 s73, 0x2710
	s_cselect_b32 s74, -1, 0
	s_and_b32 vcc_lo, exec_lo, s74
	s_cbranch_vccz .LBB2_110
; %bb.109:                              ;   in Loop: Header=BB2_108 Depth=3
	s_mov_b32 s76, -1
	s_or_b32 s72, s72, exec_lo
	s_and_saveexec_b32 s75, s74
	s_cbranch_execz .LBB2_107
	s_branch .LBB2_111
	.p2align	6
.LBB2_110:                              ;   in Loop: Header=BB2_108 Depth=3
	s_trap 2
	ds_read_b64 v[8:9], v0
	s_andn2_b32 s74, s74, exec_lo
	s_mov_b32 s73, 0
	s_waitcnt lgkmcnt(0)
	flat_load_dword v8, v[8:9] glc dlc
	s_waitcnt vmcnt(0) lgkmcnt(0)
	buffer_gl1_inv
	buffer_gl0_inv
	v_cmp_eq_u32_e32 vcc_lo, 0, v8
	s_and_b32 s75, vcc_lo, exec_lo
	s_or_b32 s74, s74, s75
	s_mov_b32 s76, -1
	s_or_b32 s72, s72, exec_lo
	s_and_saveexec_b32 s75, s74
	s_cbranch_execz .LBB2_107
.LBB2_111:                              ;   in Loop: Header=BB2_108 Depth=3
	s_sleep 1
	s_trap 2
	ds_read_b64 v[8:9], v0
	s_waitcnt lgkmcnt(0)
	buffer_gl0_inv
	s_andn2_b32 s72, s72, exec_lo
	v_cmp_ge_u64_e32 vcc_lo, v[8:9], v[12:13]
	s_orn2_b32 s76, vcc_lo, exec_lo
	s_branch .LBB2_107
.LBB2_112:                              ;   in Loop: Header=BB2_57 Depth=2
	s_inst_prefetch 0x2
	s_or_b32 exec_lo, exec_lo, s62
	s_and_saveexec_b32 s62, s63
	s_xor_b32 s62, exec_lo, s62
	s_cbranch_execz .LBB2_114
; %bb.113:                              ;   in Loop: Header=BB2_57 Depth=2
	ds_write_b32 v0, v96
	s_trap 2
.LBB2_114:                              ;   in Loop: Header=BB2_57 Depth=2
	s_or_b32 exec_lo, exec_lo, s61
	;;#ASMSTART
	s_wakeup
	;;#ASMEND
.LBB2_115:                              ;   in Loop: Header=BB2_57 Depth=2
	s_or_b32 exec_lo, exec_lo, s23
.LBB2_116:                              ;   in Loop: Header=BB2_57 Depth=2
	s_andn2_saveexec_b32 s17, s17
	s_cbranch_execz .LBB2_118
; %bb.117:                              ;   in Loop: Header=BB2_57 Depth=2
	s_waitcnt vmcnt(0) lgkmcnt(0)
	s_waitcnt_vscnt null, 0x0
	buffer_gl1_inv
	buffer_gl0_inv
	s_barrier
.LBB2_118:                              ;   in Loop: Header=BB2_57 Depth=2
	s_or_b32 exec_lo, exec_lo, s17
.LBB2_119:                              ;   in Loop: Header=BB2_57 Depth=2
	s_or_b32 exec_lo, exec_lo, s16
	s_trap 2
	ds_read_b64 v[54:55], v0
	s_waitcnt lgkmcnt(0)
	v_cmp_eq_u64_e32 vcc_lo, 0, v[54:55]
	s_cbranch_vccnz .LBB2_127
; %bb.120:                              ;   in Loop: Header=BB2_57 Depth=2
	s_trap 2
	ds_read_b64 v[64:65], v0
	s_waitcnt lgkmcnt(0)
	v_cmp_eq_u64_e32 vcc_lo, 0, v[64:65]
	s_cbranch_vccnz .LBB2_127
; %bb.121:                              ;   in Loop: Header=BB2_57 Depth=2
	s_mov_b32 s16, -1
	s_and_saveexec_b32 s17, s12
	s_cbranch_execz .LBB2_123
; %bb.122:                              ;   in Loop: Header=BB2_57 Depth=2
	ds_read_b32 v8, v0 offset:720
	s_waitcnt lgkmcnt(0)
	v_and_b32_e32 v8, 15, v8
	v_cmp_eq_u32_e32 vcc_lo, 0, v8
	s_orn2_b32 s16, vcc_lo, exec_lo
.LBB2_123:                              ;   in Loop: Header=BB2_57 Depth=2
	s_or_b32 exec_lo, exec_lo, s17
	s_and_saveexec_b32 s17, s13
	s_cbranch_execz .LBB2_125
; %bb.124:                              ;   in Loop: Header=BB2_57 Depth=2
	ds_read_b32 v8, v0 offset:784
	s_waitcnt lgkmcnt(0)
	v_and_b32_e32 v8, 15, v8
	v_cmp_eq_u32_e32 vcc_lo, 0, v8
	s_and_b32 s23, s16, vcc_lo
	s_andn2_b32 s16, s16, exec_lo
	s_and_b32 s23, s23, exec_lo
	s_or_b32 s16, s16, s23
.LBB2_125:                              ;   in Loop: Header=BB2_57 Depth=2
	s_or_b32 exec_lo, exec_lo, s17
	v_cmp_eq_u32_e32 vcc_lo, 0, v3
	s_xor_b32 s16, s16, -1
	v_mov_b32_e32 v10, 0
	v_cndmask_b32_e64 v8, 0, 1, s16
	v_mov_b32_e32 v67, v0
	v_cndmask_b32_e32 v3, 0, v50, vcc_lo
	s_mov_b32 s16, -1
	v_cmp_ne_u32_e32 vcc_lo, 0, v8
	v_mov_b32_e32 v11, v3
	s_cbranch_vccz .LBB2_128
; %bb.126:                              ;   in Loop: Header=BB2_57 Depth=2
	s_and_saveexec_b32 s17, s16
	s_cbranch_execnz .LBB2_923
	s_branch .LBB2_1091
.LBB2_127:                              ;   in Loop: Header=BB2_57 Depth=2
	s_mov_b32 s16, 0
	s_and_saveexec_b32 s17, s6
	s_cbranch_execnz .LBB2_1092
	s_branch .LBB2_1110
.LBB2_128:                              ;   in Loop: Header=BB2_57 Depth=2
	v_ashrrev_i32_e32 v8, 31, v3
	s_mov_b32 s17, exec_lo
	v_lshrrev_b32_e32 v8, 22, v8
	v_add_nc_u32_e32 v8, v3, v8
	v_ashrrev_i32_e32 v46, 10, v8
	v_sub_nc_u32_e32 v51, v46, v85
	v_cmpx_lt_i32_e32 0, v51
	s_cbranch_execz .LBB2_652
; %bb.129:                              ;   in Loop: Header=BB2_57 Depth=2
	s_trap 2
	ds_read_b64 v[8:9], v0
	v_mov_b32_e32 v67, v35
	v_mov_b32_e32 v66, v34
	s_waitcnt lgkmcnt(0)
	v_readfirstlane_b32 s16, v8
	s_and_b32 s23, s16, 3
	s_bfe_u32 s63, s16, 0x50002
	s_flbit_i32_b32 s61, s23
	s_min_u32 s61, s61, 32
	s_sub_i32 s62, s61, 29
	s_sub_i32 s61, 30, s61
	s_lshl_b32 s62, s16, s62
	s_and_b32 s62, s62, 3
	s_cmp_eq_u32 s63, 0
	s_cselect_b32 s61, s61, s63
	s_cselect_b32 s23, s62, s23
	s_lshl_b32 s62, s16, 24
	s_lshl_b32 s61, s61, 23
	s_and_b32 s62, s62, 0x80000000
	s_add_i32 s61, s61, 0x37800000
	s_lshl_b32 s63, s23, 21
	s_or_b32 s61, s62, s61
	s_mov_b32 s23, 0
	s_or_b32 s61, s61, s63
	s_and_b32 s62, s16, 0xff
	s_branch .LBB2_133
.LBB2_130:                              ;   in Loop: Header=BB2_133 Depth=3
	s_or_b32 exec_lo, exec_lo, s16
	v_lshrrev_b32_e32 v106, 21, v106
	v_min_i32_e32 v107, 31, v105
	v_cmp_gt_i32_e32 vcc_lo, 32, v105
	v_and_b32_sdwa v11, v11, v98 dst_sel:DWORD dst_unused:UNUSED_PAD src0_sel:BYTE_3 src1_sel:DWORD
	v_lshlrev_b32_e32 v107, 2, v107
	v_cndmask_b32_e32 v106, 3, v106, vcc_lo
	v_and_b32_e32 v107, 0xfc, v107
	v_and_b32_e32 v108, 3, v106
	v_or_b32_e32 v105, v105, v106
	v_or3_b32 v11, v11, v107, v108
	v_cmp_ne_u32_e32 vcc_lo, 0, v105
	v_lshlrev_b32_e32 v11, 8, v11
	v_cndmask_b32_e32 v105, 0, v11, vcc_lo
.LBB2_131:                              ;   in Loop: Header=BB2_133 Depth=3
	s_or_b32 exec_lo, exec_lo, s72
.LBB2_132:                              ;   in Loop: Header=BB2_133 Depth=3
	s_or_b32 exec_lo, exec_lo, s63
	v_or_b32_sdwa v11, v62, v61 dst_sel:WORD_1 dst_unused:UNUSED_PAD src0_sel:DWORD src1_sel:DWORD
	v_or_b32_sdwa v58, v58, v57 dst_sel:WORD_1 dst_unused:UNUSED_PAD src0_sel:DWORD src1_sel:DWORD
	;; [unrolled: 1-line block ×3, first 2 shown]
	v_sub_nc_u32_e32 v51, v51, v83
	v_or_b32_sdwa v62, v78, v77 dst_sel:WORD_1 dst_unused:UNUSED_PAD src0_sel:DWORD src1_sel:DWORD
	v_or3_b32 v57, v60, v59, v11
	v_add_co_u32 v60, vcc_lo, v64, v66
	v_or_b32_sdwa v9, v9, v90 dst_sel:WORD_1 dst_unused:UNUSED_PAD src0_sel:DWORD src1_sel:DWORD
	v_or_b32_sdwa v8, v8, v79 dst_sel:WORD_1 dst_unused:UNUSED_PAD src0_sel:DWORD src1_sel:DWORD
	;; [unrolled: 1-line block ×4, first 2 shown]
	v_or3_b32 v56, v56, v47, v58
	v_or3_b32 v58, v72, v63, v61
	v_add_co_ci_u32_e64 v61, null, v65, v67, vcc_lo
	v_cmp_gt_i32_e32 vcc_lo, 1, v51
	v_add_co_u32 v66, s16, v66, v113
	v_or3_b32 v59, v76, v75, v62
	v_add_co_ci_u32_e64 v67, null, 0, v67, s16
	v_or3_b32 v9, v89, v88, v9
	v_or3_b32 v8, v69, v68, v8
	;; [unrolled: 1-line block ×4, first 2 shown]
	s_or_b32 s23, vcc_lo, s23
	global_store_dwordx4 v[60:61], v[56:59], off glc slc
	global_store_dwordx4 v[60:61], v[8:11], off offset:512 glc slc
	s_andn2_b32 exec_lo, exec_lo, s23
	s_cbranch_execz .LBB2_651
.LBB2_133:                              ;   Parent Loop BB2_47 Depth=1
                                        ;     Parent Loop BB2_57 Depth=2
                                        ; =>    This Inner Loop Header: Depth=3
	s_cmpk_lt_i32 s62, 0x80
	s_cbranch_scc1 .LBB2_137
; %bb.134:                              ;   in Loop: Header=BB2_133 Depth=3
	s_and_b32 s16, 0xffff, s62
	s_cmpk_eq_i32 s16, 0x80
	s_mov_b32 s16, -1
	s_cbranch_scc0 .LBB2_136
; %bb.135:                              ;   in Loop: Header=BB2_133 Depth=3
	s_mov_b32 s16, 0
.LBB2_136:                              ;   in Loop: Header=BB2_133 Depth=3
	s_mov_b32 s63, 0x7f800001
	s_branch .LBB2_139
.LBB2_137:                              ;   in Loop: Header=BB2_133 Depth=3
	s_mov_b32 s16, 0
	s_mov_b32 s63, 0x7f800001
	s_cbranch_execz .LBB2_139
; %bb.138:                              ;   in Loop: Header=BB2_133 Depth=3
	s_and_b32 s16, 0xffff, s62
	s_mov_b32 s63, 0
	s_cmp_lg_u32 s16, 0
	s_cselect_b32 s16, -1, 0
.LBB2_139:                              ;   in Loop: Header=BB2_133 Depth=3
	s_andn2_b32 vcc_lo, exec_lo, s16
	s_cbranch_vccnz .LBB2_141
; %bb.140:                              ;   in Loop: Header=BB2_133 Depth=3
	s_mov_b32 s63, s61
.LBB2_141:                              ;   in Loop: Header=BB2_133 Depth=3
	v_add_co_u32 v68, vcc_lo, v54, v66
	v_add_co_ci_u32_e64 v69, null, v55, v67, vcc_lo
	s_mov_b32 s16, 0
	global_load_dwordx4 v[8:11], v[68:69], off slc
	s_waitcnt vmcnt(0)
	v_cmp_gt_i16_sdwa s72, v8, v97 src0_sel:BYTE_0 src1_sel:DWORD
	s_and_saveexec_b32 s73, s72
	s_xor_b32 s72, exec_lo, s73
	s_cbranch_execz .LBB2_587
; %bb.142:                              ;   in Loop: Header=BB2_133 Depth=3
	v_cmp_eq_u16_sdwa s74, v8, v98 src0_sel:BYTE_0 src1_sel:DWORD
	s_mov_b32 s16, -1
	s_and_saveexec_b32 s73, s74
; %bb.143:                              ;   in Loop: Header=BB2_133 Depth=3
	s_xor_b32 s16, exec_lo, -1
; %bb.144:                              ;   in Loop: Header=BB2_133 Depth=3
	s_or_b32 exec_lo, exec_lo, s73
	s_and_b32 s16, s16, exec_lo
	s_or_saveexec_b32 s72, s72
	v_mov_b32_e32 v47, 0x7f800001
	s_xor_b32 exec_lo, exec_lo, s72
	s_cbranch_execnz .LBB2_588
.LBB2_145:                              ;   in Loop: Header=BB2_133 Depth=3
	s_or_b32 exec_lo, exec_lo, s72
	s_and_saveexec_b32 s72, s16
	s_cbranch_execz .LBB2_147
.LBB2_146:                              ;   in Loop: Header=BB2_133 Depth=3
	v_and_b32_e32 v47, 3, v8
	v_bfe_u32 v58, v8, 2, 5
	v_lshlrev_b32_e32 v59, 24, v8
	v_ffbh_u32_e32 v56, v47
	v_cmp_eq_u32_e32 vcc_lo, 0, v58
	v_min_u32_e32 v56, 32, v56
	v_subrev_nc_u32_e32 v57, 29, v56
	v_sub_nc_u32_e32 v56, 30, v56
	v_lshlrev_b32_e32 v57, v57, v8
	v_cndmask_b32_e32 v56, v58, v56, vcc_lo
	v_and_b32_e32 v57, 3, v57
	v_lshl_add_u32 v56, v56, 23, 0x37800000
	v_cndmask_b32_e32 v47, v47, v57, vcc_lo
	v_and_b32_e32 v57, 0x80000000, v59
	v_lshlrev_b32_e32 v47, 21, v47
	v_or3_b32 v47, v57, v56, v47
.LBB2_147:                              ;   in Loop: Header=BB2_133 Depth=3
	s_or_b32 exec_lo, exec_lo, s72
	v_mul_f32_e32 v56, s63, v47
	v_and_b32_e32 v47, 0x7f800000, v56
	v_cmp_ne_u32_e32 vcc_lo, 0x7f800000, v47
	v_mov_b32_e32 v47, 0x80
	s_and_saveexec_b32 s72, vcc_lo
	s_cbranch_execz .LBB2_155
; %bb.148:                              ;   in Loop: Header=BB2_133 Depth=3
	v_mov_b32_e32 v47, 0
	s_mov_b32 s73, exec_lo
	v_cmpx_ne_u32_e32 0, v56
	s_cbranch_execz .LBB2_154
; %bb.149:                              ;   in Loop: Header=BB2_133 Depth=3
	v_bfe_u32 v47, v56, 23, 8
	v_and_b32_e32 v57, 0x7fffff, v56
	v_sub_nc_u32_e32 v58, 0x70, v47
	v_cmp_gt_u32_e32 vcc_lo, 0x71, v47
	v_or_b32_e32 v59, 0x800000, v57
	v_cndmask_b32_e32 v58, 0, v58, vcc_lo
	v_cmp_eq_u32_e32 vcc_lo, 0, v47
	v_add_nc_u32_e32 v47, 0xffffff91, v47
	v_cndmask_b32_e64 v58, v58, 0x6f, vcc_lo
	v_cndmask_b32_e32 v57, v59, v57, vcc_lo
	v_cndmask_b32_e64 v47, v47, 0xffffff92, vcc_lo
	v_lshl_add_u32 v59, 0x200000, v58, -1
	v_lshrrev_b32_e32 v60, v58, v57
	v_lshlrev_b32_e64 v62, v58, 0x100000
	v_add_nc_u32_e32 v58, v58, v47
	v_and_b32_e32 v57, v59, v57
	v_bfe_u32 v61, v60, 21, 1
	v_cmp_eq_u32_e64 s16, v57, v62
	v_add_nc_u32_e32 v59, -1, v61
	v_cndmask_b32_e64 v57, 0, v59, s16
	v_lshrrev_b32_e32 v59, 23, v60
	s_mov_b32 s16, exec_lo
	v_add_nc_u32_e32 v57, v57, v60
	v_xor_b32_e32 v59, 1, v59
	v_and_b32_e32 v47, 0x1fffff, v57
	v_add_nc_u32_e32 v57, v47, v60
                                        ; implicit-def: $vgpr47
	v_cmpx_ne_u32_e64 v58, v59
	s_xor_b32 s16, exec_lo, s16
; %bb.150:                              ;   in Loop: Header=BB2_133 Depth=3
	v_cmp_lt_u32_e32 vcc_lo, 0xffffff, v57
	v_sub_nc_u32_e32 v47, v58, v59
	v_cndmask_b32_e64 v58, 0, 1, vcc_lo
	v_add_co_ci_u32_e64 v47, null, 0, v47, vcc_lo
	v_lshrrev_b32_e32 v57, v58, v57
; %bb.151:                              ;   in Loop: Header=BB2_133 Depth=3
	s_andn2_saveexec_b32 s16, s16
; %bb.152:                              ;   in Loop: Header=BB2_133 Depth=3
	v_bfe_u32 v47, v57, 23, 1
; %bb.153:                              ;   in Loop: Header=BB2_133 Depth=3
	s_or_b32 exec_lo, exec_lo, s16
	v_lshrrev_b32_e32 v57, 21, v57
	v_min_i32_e32 v58, 31, v47
	v_cmp_gt_i32_e32 vcc_lo, 32, v47
	v_and_b32_sdwa v56, v56, v98 dst_sel:DWORD dst_unused:UNUSED_PAD src0_sel:BYTE_3 src1_sel:DWORD
	v_lshlrev_b32_e32 v58, 2, v58
	v_cndmask_b32_e32 v57, 3, v57, vcc_lo
	v_and_b32_e32 v58, 0xfc, v58
	v_and_b32_e32 v59, 3, v57
	v_or_b32_e32 v47, v47, v57
	v_or3_b32 v56, v58, v56, v59
	v_cmp_ne_u32_e32 vcc_lo, 0, v47
	v_cndmask_b32_e32 v47, 0, v56, vcc_lo
.LBB2_154:                              ;   in Loop: Header=BB2_133 Depth=3
	s_or_b32 exec_lo, exec_lo, s73
.LBB2_155:                              ;   in Loop: Header=BB2_133 Depth=3
	s_or_b32 exec_lo, exec_lo, s72
	v_cmp_gt_i16_sdwa s72, v8, v97 src0_sel:BYTE_1 src1_sel:DWORD
	s_mov_b32 s16, 0
	s_and_saveexec_b32 s73, s72
	s_xor_b32 s72, exec_lo, s73
	s_cbranch_execz .LBB2_589
; %bb.156:                              ;   in Loop: Header=BB2_133 Depth=3
	v_cmp_eq_u16_sdwa s74, v8, v98 src0_sel:BYTE_1 src1_sel:DWORD
	s_mov_b32 s16, -1
	s_and_saveexec_b32 s73, s74
; %bb.157:                              ;   in Loop: Header=BB2_133 Depth=3
	s_xor_b32 s16, exec_lo, -1
; %bb.158:                              ;   in Loop: Header=BB2_133 Depth=3
	s_or_b32 exec_lo, exec_lo, s73
	s_and_b32 s16, s16, exec_lo
	s_or_saveexec_b32 s72, s72
	v_mov_b32_e32 v56, 0x7f800001
	s_xor_b32 exec_lo, exec_lo, s72
	s_cbranch_execnz .LBB2_590
.LBB2_159:                              ;   in Loop: Header=BB2_133 Depth=3
	s_or_b32 exec_lo, exec_lo, s72
	s_and_saveexec_b32 s72, s16
	s_cbranch_execz .LBB2_161
.LBB2_160:                              ;   in Loop: Header=BB2_133 Depth=3
	v_and_b32_sdwa v56, v99, v8 dst_sel:DWORD dst_unused:UNUSED_PAD src0_sel:DWORD src1_sel:BYTE_1
	v_and_b32_e32 v57, 3, v56
	v_bfe_u32 v60, v56, 2, 5
	v_ffbh_u32_e32 v58, v57
	v_cmp_eq_u32_e32 vcc_lo, 0, v60
	v_min_u32_e32 v58, 32, v58
	v_subrev_nc_u32_e32 v59, 29, v58
	v_sub_nc_u32_e32 v58, 30, v58
	v_lshlrev_b32_e32 v56, v59, v56
	v_lshlrev_b32_sdwa v59, v100, v8 dst_sel:DWORD dst_unused:UNUSED_PAD src0_sel:DWORD src1_sel:BYTE_1
	v_cndmask_b32_e32 v58, v60, v58, vcc_lo
	v_and_b32_e32 v56, 3, v56
	v_lshl_add_u32 v58, v58, 23, 0x37800000
	v_cndmask_b32_e32 v56, v57, v56, vcc_lo
	v_and_b32_e32 v57, 0x80000000, v59
	v_lshlrev_b32_e32 v56, 21, v56
	v_or3_b32 v56, v57, v58, v56
.LBB2_161:                              ;   in Loop: Header=BB2_133 Depth=3
	s_or_b32 exec_lo, exec_lo, s72
	v_mul_f32_e32 v57, s63, v56
	v_and_b32_e32 v56, 0x7f800000, v57
	v_cmp_ne_u32_e32 vcc_lo, 0x7f800000, v56
	v_mov_b32_e32 v56, 0x8000
	s_and_saveexec_b32 s72, vcc_lo
	s_cbranch_execz .LBB2_169
; %bb.162:                              ;   in Loop: Header=BB2_133 Depth=3
	v_mov_b32_e32 v56, 0
	s_mov_b32 s73, exec_lo
	v_cmpx_ne_u32_e32 0, v57
	s_cbranch_execz .LBB2_168
; %bb.163:                              ;   in Loop: Header=BB2_133 Depth=3
	v_bfe_u32 v56, v57, 23, 8
	v_and_b32_e32 v58, 0x7fffff, v57
	v_sub_nc_u32_e32 v59, 0x70, v56
	v_cmp_gt_u32_e32 vcc_lo, 0x71, v56
	v_or_b32_e32 v60, 0x800000, v58
	v_cndmask_b32_e32 v59, 0, v59, vcc_lo
	v_cmp_eq_u32_e32 vcc_lo, 0, v56
	v_add_nc_u32_e32 v56, 0xffffff91, v56
	v_cndmask_b32_e64 v59, v59, 0x6f, vcc_lo
	v_cndmask_b32_e32 v58, v60, v58, vcc_lo
	v_cndmask_b32_e64 v56, v56, 0xffffff92, vcc_lo
	v_lshl_add_u32 v60, 0x200000, v59, -1
	v_lshrrev_b32_e32 v61, v59, v58
	v_lshlrev_b32_e64 v63, v59, 0x100000
	v_add_nc_u32_e32 v59, v59, v56
	v_and_b32_e32 v58, v60, v58
	v_bfe_u32 v62, v61, 21, 1
	v_cmp_eq_u32_e64 s16, v58, v63
	v_add_nc_u32_e32 v60, -1, v62
	v_cndmask_b32_e64 v58, 0, v60, s16
	v_lshrrev_b32_e32 v60, 23, v61
	s_mov_b32 s16, exec_lo
	v_add_nc_u32_e32 v58, v58, v61
	v_xor_b32_e32 v60, 1, v60
	v_and_b32_e32 v56, 0x1fffff, v58
	v_add_nc_u32_e32 v58, v56, v61
                                        ; implicit-def: $vgpr56
	v_cmpx_ne_u32_e64 v59, v60
	s_xor_b32 s16, exec_lo, s16
; %bb.164:                              ;   in Loop: Header=BB2_133 Depth=3
	v_cmp_lt_u32_e32 vcc_lo, 0xffffff, v58
	v_sub_nc_u32_e32 v56, v59, v60
	v_cndmask_b32_e64 v59, 0, 1, vcc_lo
	v_add_co_ci_u32_e64 v56, null, 0, v56, vcc_lo
	v_lshrrev_b32_e32 v58, v59, v58
; %bb.165:                              ;   in Loop: Header=BB2_133 Depth=3
	s_andn2_saveexec_b32 s16, s16
; %bb.166:                              ;   in Loop: Header=BB2_133 Depth=3
	v_bfe_u32 v56, v58, 23, 1
; %bb.167:                              ;   in Loop: Header=BB2_133 Depth=3
	s_or_b32 exec_lo, exec_lo, s16
	v_lshrrev_b32_e32 v58, 21, v58
	v_min_i32_e32 v59, 31, v56
	v_cmp_gt_i32_e32 vcc_lo, 32, v56
	v_and_b32_sdwa v57, v57, v98 dst_sel:DWORD dst_unused:UNUSED_PAD src0_sel:BYTE_3 src1_sel:DWORD
	v_lshlrev_b32_e32 v59, 2, v59
	v_cndmask_b32_e32 v58, 3, v58, vcc_lo
	v_and_b32_e32 v59, 0xfc, v59
	v_and_b32_e32 v60, 3, v58
	v_or_b32_e32 v56, v56, v58
	v_or3_b32 v57, v57, v59, v60
	v_cmp_ne_u32_e32 vcc_lo, 0, v56
	v_lshlrev_b32_e32 v57, 8, v57
	v_cndmask_b32_e32 v56, 0, v57, vcc_lo
.LBB2_168:                              ;   in Loop: Header=BB2_133 Depth=3
	s_or_b32 exec_lo, exec_lo, s73
.LBB2_169:                              ;   in Loop: Header=BB2_133 Depth=3
	s_or_b32 exec_lo, exec_lo, s72
	v_and_b32_sdwa v58, v8, v101 dst_sel:DWORD dst_unused:UNUSED_PAD src0_sel:WORD_1 src1_sel:DWORD
	s_mov_b32 s16, 0
	s_mov_b32 s72, exec_lo
	v_cmpx_lt_i16_e32 0x7f, v58
	s_xor_b32 s72, exec_lo, s72
	s_cbranch_execz .LBB2_591
; %bb.170:                              ;   in Loop: Header=BB2_133 Depth=3
	s_mov_b32 s16, -1
	s_mov_b32 s73, exec_lo
	v_cmpx_eq_u16_e32 0x80, v58
; %bb.171:                              ;   in Loop: Header=BB2_133 Depth=3
	s_xor_b32 s16, exec_lo, -1
; %bb.172:                              ;   in Loop: Header=BB2_133 Depth=3
	s_or_b32 exec_lo, exec_lo, s73
	s_and_b32 s16, s16, exec_lo
                                        ; implicit-def: $vgpr58
	s_or_saveexec_b32 s72, s72
	v_mov_b32_e32 v57, 0x7f800001
	s_xor_b32 exec_lo, exec_lo, s72
	s_cbranch_execnz .LBB2_592
.LBB2_173:                              ;   in Loop: Header=BB2_133 Depth=3
	s_or_b32 exec_lo, exec_lo, s72
	s_and_saveexec_b32 s72, s16
	s_cbranch_execz .LBB2_175
.LBB2_174:                              ;   in Loop: Header=BB2_133 Depth=3
	v_bfe_u32 v57, v8, 16, 2
	v_bfe_u32 v60, v8, 18, 5
	v_lshlrev_b32_e32 v61, 8, v8
	v_ffbh_u32_e32 v58, v57
	v_cmp_eq_u32_e32 vcc_lo, 0, v60
	v_min_u32_e32 v58, 32, v58
	v_subrev_nc_u32_e32 v59, 29, v58
	v_sub_nc_u32_e32 v58, 30, v58
	v_lshlrev_b32_sdwa v59, v59, v8 dst_sel:DWORD dst_unused:UNUSED_PAD src0_sel:DWORD src1_sel:WORD_1
	v_cndmask_b32_e32 v58, v60, v58, vcc_lo
	v_and_b32_e32 v59, 3, v59
	v_lshl_add_u32 v58, v58, 23, 0x37800000
	v_cndmask_b32_e32 v57, v57, v59, vcc_lo
	v_and_b32_e32 v59, 0x80000000, v61
	v_lshlrev_b32_e32 v57, 21, v57
	v_or3_b32 v57, v59, v58, v57
.LBB2_175:                              ;   in Loop: Header=BB2_133 Depth=3
	s_or_b32 exec_lo, exec_lo, s72
	v_mul_f32_e32 v58, s63, v57
	v_and_b32_e32 v57, 0x7f800000, v58
	v_cmp_ne_u32_e32 vcc_lo, 0x7f800000, v57
	v_mov_b32_e32 v57, 0x80
	s_and_saveexec_b32 s72, vcc_lo
	s_cbranch_execz .LBB2_183
; %bb.176:                              ;   in Loop: Header=BB2_133 Depth=3
	v_mov_b32_e32 v57, 0
	s_mov_b32 s73, exec_lo
	v_cmpx_ne_u32_e32 0, v58
	s_cbranch_execz .LBB2_182
; %bb.177:                              ;   in Loop: Header=BB2_133 Depth=3
	v_bfe_u32 v57, v58, 23, 8
	v_and_b32_e32 v59, 0x7fffff, v58
	v_sub_nc_u32_e32 v60, 0x70, v57
	v_cmp_gt_u32_e32 vcc_lo, 0x71, v57
	v_or_b32_e32 v61, 0x800000, v59
	v_cndmask_b32_e32 v60, 0, v60, vcc_lo
	v_cmp_eq_u32_e32 vcc_lo, 0, v57
	v_add_nc_u32_e32 v57, 0xffffff91, v57
	v_cndmask_b32_e64 v60, v60, 0x6f, vcc_lo
	v_cndmask_b32_e32 v59, v61, v59, vcc_lo
	v_cndmask_b32_e64 v57, v57, 0xffffff92, vcc_lo
	v_lshl_add_u32 v61, 0x200000, v60, -1
	v_lshrrev_b32_e32 v62, v60, v59
	v_lshlrev_b32_e64 v72, v60, 0x100000
	v_add_nc_u32_e32 v60, v60, v57
	v_and_b32_e32 v59, v61, v59
	v_bfe_u32 v63, v62, 21, 1
	v_cmp_eq_u32_e64 s16, v59, v72
	v_add_nc_u32_e32 v61, -1, v63
	v_cndmask_b32_e64 v59, 0, v61, s16
	v_lshrrev_b32_e32 v61, 23, v62
	s_mov_b32 s16, exec_lo
	v_add_nc_u32_e32 v59, v59, v62
	v_xor_b32_e32 v61, 1, v61
	v_and_b32_e32 v57, 0x1fffff, v59
	v_add_nc_u32_e32 v59, v57, v62
                                        ; implicit-def: $vgpr57
	v_cmpx_ne_u32_e64 v60, v61
	s_xor_b32 s16, exec_lo, s16
; %bb.178:                              ;   in Loop: Header=BB2_133 Depth=3
	v_cmp_lt_u32_e32 vcc_lo, 0xffffff, v59
	v_sub_nc_u32_e32 v57, v60, v61
	v_cndmask_b32_e64 v60, 0, 1, vcc_lo
	v_add_co_ci_u32_e64 v57, null, 0, v57, vcc_lo
	v_lshrrev_b32_e32 v59, v60, v59
; %bb.179:                              ;   in Loop: Header=BB2_133 Depth=3
	s_andn2_saveexec_b32 s16, s16
; %bb.180:                              ;   in Loop: Header=BB2_133 Depth=3
	v_bfe_u32 v57, v59, 23, 1
; %bb.181:                              ;   in Loop: Header=BB2_133 Depth=3
	s_or_b32 exec_lo, exec_lo, s16
	v_lshrrev_b32_e32 v59, 21, v59
	v_min_i32_e32 v60, 31, v57
	v_cmp_gt_i32_e32 vcc_lo, 32, v57
	v_and_b32_sdwa v58, v58, v98 dst_sel:DWORD dst_unused:UNUSED_PAD src0_sel:BYTE_3 src1_sel:DWORD
	v_lshlrev_b32_e32 v60, 2, v60
	v_cndmask_b32_e32 v59, 3, v59, vcc_lo
	v_and_b32_e32 v60, 0xfc, v60
	v_and_b32_e32 v61, 3, v59
	v_or_b32_e32 v57, v57, v59
	v_or3_b32 v58, v60, v58, v61
	v_cmp_ne_u32_e32 vcc_lo, 0, v57
	v_cndmask_b32_e32 v57, 0, v58, vcc_lo
.LBB2_182:                              ;   in Loop: Header=BB2_133 Depth=3
	s_or_b32 exec_lo, exec_lo, s73
.LBB2_183:                              ;   in Loop: Header=BB2_133 Depth=3
	s_or_b32 exec_lo, exec_lo, s72
	v_cmp_gt_i16_sdwa s72, v8, v97 src0_sel:BYTE_3 src1_sel:DWORD
	s_mov_b32 s16, 0
	s_and_saveexec_b32 s73, s72
	s_xor_b32 s72, exec_lo, s73
	s_cbranch_execz .LBB2_593
; %bb.184:                              ;   in Loop: Header=BB2_133 Depth=3
	v_cmp_eq_u16_sdwa s74, v8, v98 src0_sel:BYTE_3 src1_sel:DWORD
	s_mov_b32 s16, -1
	s_and_saveexec_b32 s73, s74
; %bb.185:                              ;   in Loop: Header=BB2_133 Depth=3
	s_xor_b32 s16, exec_lo, -1
; %bb.186:                              ;   in Loop: Header=BB2_133 Depth=3
	s_or_b32 exec_lo, exec_lo, s73
	s_and_b32 s16, s16, exec_lo
	s_or_saveexec_b32 s72, s72
	v_mov_b32_e32 v58, 0x7f800001
	s_xor_b32 exec_lo, exec_lo, s72
	s_cbranch_execnz .LBB2_594
.LBB2_187:                              ;   in Loop: Header=BB2_133 Depth=3
	s_or_b32 exec_lo, exec_lo, s72
	s_and_saveexec_b32 s72, s16
	s_cbranch_execz .LBB2_189
.LBB2_188:                              ;   in Loop: Header=BB2_133 Depth=3
	v_bfe_u32 v58, v8, 24, 2
	v_bfe_u32 v61, v8, 26, 5
	v_ffbh_u32_e32 v59, v58
	v_cmp_eq_u32_e32 vcc_lo, 0, v61
	v_min_u32_e32 v59, 32, v59
	v_subrev_nc_u32_e32 v60, 29, v59
	v_sub_nc_u32_e32 v59, 30, v59
	v_lshlrev_b32_sdwa v60, v60, v8 dst_sel:DWORD dst_unused:UNUSED_PAD src0_sel:DWORD src1_sel:BYTE_3
	v_cndmask_b32_e32 v59, v61, v59, vcc_lo
	v_and_b32_e32 v8, 0x80000000, v8
	v_and_b32_e32 v60, 3, v60
	v_lshl_add_u32 v59, v59, 23, 0x37800000
	v_cndmask_b32_e32 v58, v58, v60, vcc_lo
	v_lshlrev_b32_e32 v58, 21, v58
	v_or3_b32 v58, v8, v59, v58
.LBB2_189:                              ;   in Loop: Header=BB2_133 Depth=3
	s_or_b32 exec_lo, exec_lo, s72
	v_mul_f32_e32 v8, s63, v58
	v_and_b32_e32 v58, 0x7f800000, v8
	v_cmp_ne_u32_e32 vcc_lo, 0x7f800000, v58
	v_mov_b32_e32 v58, 0x8000
	s_and_saveexec_b32 s72, vcc_lo
	s_cbranch_execz .LBB2_197
; %bb.190:                              ;   in Loop: Header=BB2_133 Depth=3
	v_mov_b32_e32 v58, 0
	s_mov_b32 s73, exec_lo
	v_cmpx_ne_u32_e32 0, v8
	s_cbranch_execz .LBB2_196
; %bb.191:                              ;   in Loop: Header=BB2_133 Depth=3
	v_bfe_u32 v58, v8, 23, 8
	v_and_b32_e32 v59, 0x7fffff, v8
	v_sub_nc_u32_e32 v60, 0x70, v58
	v_cmp_gt_u32_e32 vcc_lo, 0x71, v58
	v_or_b32_e32 v61, 0x800000, v59
	v_cndmask_b32_e32 v60, 0, v60, vcc_lo
	v_cmp_eq_u32_e32 vcc_lo, 0, v58
	v_add_nc_u32_e32 v58, 0xffffff91, v58
	v_cndmask_b32_e64 v60, v60, 0x6f, vcc_lo
	v_cndmask_b32_e32 v59, v61, v59, vcc_lo
	v_cndmask_b32_e64 v58, v58, 0xffffff92, vcc_lo
	v_lshl_add_u32 v61, 0x200000, v60, -1
	v_lshrrev_b32_e32 v62, v60, v59
	v_lshlrev_b32_e64 v72, v60, 0x100000
	v_add_nc_u32_e32 v60, v60, v58
	v_and_b32_e32 v59, v61, v59
	v_bfe_u32 v63, v62, 21, 1
	v_cmp_eq_u32_e64 s16, v59, v72
	v_add_nc_u32_e32 v61, -1, v63
	v_cndmask_b32_e64 v59, 0, v61, s16
	v_lshrrev_b32_e32 v61, 23, v62
	s_mov_b32 s16, exec_lo
	v_add_nc_u32_e32 v59, v59, v62
	v_xor_b32_e32 v61, 1, v61
	v_and_b32_e32 v58, 0x1fffff, v59
	v_add_nc_u32_e32 v59, v58, v62
                                        ; implicit-def: $vgpr58
	v_cmpx_ne_u32_e64 v60, v61
	s_xor_b32 s16, exec_lo, s16
; %bb.192:                              ;   in Loop: Header=BB2_133 Depth=3
	v_cmp_lt_u32_e32 vcc_lo, 0xffffff, v59
	v_sub_nc_u32_e32 v58, v60, v61
	v_cndmask_b32_e64 v60, 0, 1, vcc_lo
	v_add_co_ci_u32_e64 v58, null, 0, v58, vcc_lo
	v_lshrrev_b32_e32 v59, v60, v59
; %bb.193:                              ;   in Loop: Header=BB2_133 Depth=3
	s_andn2_saveexec_b32 s16, s16
; %bb.194:                              ;   in Loop: Header=BB2_133 Depth=3
	v_bfe_u32 v58, v59, 23, 1
; %bb.195:                              ;   in Loop: Header=BB2_133 Depth=3
	s_or_b32 exec_lo, exec_lo, s16
	v_lshrrev_b32_e32 v59, 21, v59
	v_min_i32_e32 v60, 31, v58
	v_cmp_gt_i32_e32 vcc_lo, 32, v58
	v_and_b32_sdwa v8, v8, v98 dst_sel:DWORD dst_unused:UNUSED_PAD src0_sel:BYTE_3 src1_sel:DWORD
	v_lshlrev_b32_e32 v60, 2, v60
	v_cndmask_b32_e32 v59, 3, v59, vcc_lo
	v_and_b32_e32 v60, 0xfc, v60
	v_and_b32_e32 v61, 3, v59
	v_or_b32_e32 v58, v58, v59
	v_or3_b32 v8, v8, v60, v61
	v_cmp_ne_u32_e32 vcc_lo, 0, v58
	v_lshlrev_b32_e32 v8, 8, v8
	v_cndmask_b32_e32 v58, 0, v8, vcc_lo
.LBB2_196:                              ;   in Loop: Header=BB2_133 Depth=3
	s_or_b32 exec_lo, exec_lo, s73
.LBB2_197:                              ;   in Loop: Header=BB2_133 Depth=3
	s_or_b32 exec_lo, exec_lo, s72
	v_cmp_gt_i16_sdwa s72, v9, v97 src0_sel:BYTE_0 src1_sel:DWORD
	s_mov_b32 s16, 0
	s_and_saveexec_b32 s73, s72
	s_xor_b32 s72, exec_lo, s73
	s_cbranch_execz .LBB2_595
; %bb.198:                              ;   in Loop: Header=BB2_133 Depth=3
	v_cmp_eq_u16_sdwa s74, v9, v98 src0_sel:BYTE_0 src1_sel:DWORD
	s_mov_b32 s16, -1
	s_and_saveexec_b32 s73, s74
; %bb.199:                              ;   in Loop: Header=BB2_133 Depth=3
	s_xor_b32 s16, exec_lo, -1
; %bb.200:                              ;   in Loop: Header=BB2_133 Depth=3
	s_or_b32 exec_lo, exec_lo, s73
	s_and_b32 s16, s16, exec_lo
	s_or_saveexec_b32 s72, s72
	v_mov_b32_e32 v8, 0x7f800001
	s_xor_b32 exec_lo, exec_lo, s72
	s_cbranch_execnz .LBB2_596
.LBB2_201:                              ;   in Loop: Header=BB2_133 Depth=3
	s_or_b32 exec_lo, exec_lo, s72
	s_and_saveexec_b32 s72, s16
	s_cbranch_execz .LBB2_203
.LBB2_202:                              ;   in Loop: Header=BB2_133 Depth=3
	v_and_b32_e32 v8, 3, v9
	v_bfe_u32 v61, v9, 2, 5
	v_lshlrev_b32_e32 v62, 24, v9
	v_ffbh_u32_e32 v59, v8
	v_cmp_eq_u32_e32 vcc_lo, 0, v61
	v_min_u32_e32 v59, 32, v59
	v_subrev_nc_u32_e32 v60, 29, v59
	v_sub_nc_u32_e32 v59, 30, v59
	v_lshlrev_b32_e32 v60, v60, v9
	v_cndmask_b32_e32 v59, v61, v59, vcc_lo
	v_and_b32_e32 v60, 3, v60
	v_lshl_add_u32 v59, v59, 23, 0x37800000
	v_cndmask_b32_e32 v8, v8, v60, vcc_lo
	v_and_b32_e32 v60, 0x80000000, v62
	v_lshlrev_b32_e32 v8, 21, v8
	v_or3_b32 v8, v60, v59, v8
.LBB2_203:                              ;   in Loop: Header=BB2_133 Depth=3
	s_or_b32 exec_lo, exec_lo, s72
	v_mul_f32_e32 v8, s63, v8
	v_and_b32_e32 v59, 0x7f800000, v8
	v_cmp_ne_u32_e32 vcc_lo, 0x7f800000, v59
	v_mov_b32_e32 v59, 0x80
	s_and_saveexec_b32 s72, vcc_lo
	s_cbranch_execz .LBB2_211
; %bb.204:                              ;   in Loop: Header=BB2_133 Depth=3
	v_mov_b32_e32 v59, 0
	s_mov_b32 s73, exec_lo
	v_cmpx_ne_u32_e32 0, v8
	s_cbranch_execz .LBB2_210
; %bb.205:                              ;   in Loop: Header=BB2_133 Depth=3
	v_bfe_u32 v59, v8, 23, 8
	v_and_b32_e32 v60, 0x7fffff, v8
	v_sub_nc_u32_e32 v61, 0x70, v59
	v_cmp_gt_u32_e32 vcc_lo, 0x71, v59
	v_or_b32_e32 v62, 0x800000, v60
	v_cndmask_b32_e32 v61, 0, v61, vcc_lo
	v_cmp_eq_u32_e32 vcc_lo, 0, v59
	v_add_nc_u32_e32 v59, 0xffffff91, v59
	v_cndmask_b32_e64 v61, v61, 0x6f, vcc_lo
	v_cndmask_b32_e32 v60, v62, v60, vcc_lo
	v_cndmask_b32_e64 v59, v59, 0xffffff92, vcc_lo
	v_lshl_add_u32 v62, 0x200000, v61, -1
	v_lshrrev_b32_e32 v63, v61, v60
	v_lshlrev_b32_e64 v73, v61, 0x100000
	v_add_nc_u32_e32 v61, v61, v59
	v_and_b32_e32 v60, v62, v60
	v_bfe_u32 v72, v63, 21, 1
	v_cmp_eq_u32_e64 s16, v60, v73
	v_add_nc_u32_e32 v62, -1, v72
	v_cndmask_b32_e64 v60, 0, v62, s16
	v_lshrrev_b32_e32 v62, 23, v63
	s_mov_b32 s16, exec_lo
	v_add_nc_u32_e32 v60, v60, v63
	v_xor_b32_e32 v62, 1, v62
	v_and_b32_e32 v59, 0x1fffff, v60
	v_add_nc_u32_e32 v60, v59, v63
                                        ; implicit-def: $vgpr59
	v_cmpx_ne_u32_e64 v61, v62
	s_xor_b32 s16, exec_lo, s16
; %bb.206:                              ;   in Loop: Header=BB2_133 Depth=3
	v_cmp_lt_u32_e32 vcc_lo, 0xffffff, v60
	v_sub_nc_u32_e32 v59, v61, v62
	v_cndmask_b32_e64 v61, 0, 1, vcc_lo
	v_add_co_ci_u32_e64 v59, null, 0, v59, vcc_lo
	v_lshrrev_b32_e32 v60, v61, v60
; %bb.207:                              ;   in Loop: Header=BB2_133 Depth=3
	s_andn2_saveexec_b32 s16, s16
; %bb.208:                              ;   in Loop: Header=BB2_133 Depth=3
	v_bfe_u32 v59, v60, 23, 1
; %bb.209:                              ;   in Loop: Header=BB2_133 Depth=3
	s_or_b32 exec_lo, exec_lo, s16
	v_lshrrev_b32_e32 v60, 21, v60
	v_min_i32_e32 v61, 31, v59
	v_cmp_gt_i32_e32 vcc_lo, 32, v59
	v_and_b32_sdwa v8, v8, v98 dst_sel:DWORD dst_unused:UNUSED_PAD src0_sel:BYTE_3 src1_sel:DWORD
	v_lshlrev_b32_e32 v61, 2, v61
	v_cndmask_b32_e32 v60, 3, v60, vcc_lo
	v_and_b32_e32 v61, 0xfc, v61
	v_and_b32_e32 v62, 3, v60
	v_or_b32_e32 v59, v59, v60
	v_or3_b32 v8, v61, v8, v62
	v_cmp_ne_u32_e32 vcc_lo, 0, v59
	v_cndmask_b32_e32 v59, 0, v8, vcc_lo
.LBB2_210:                              ;   in Loop: Header=BB2_133 Depth=3
	s_or_b32 exec_lo, exec_lo, s73
.LBB2_211:                              ;   in Loop: Header=BB2_133 Depth=3
	s_or_b32 exec_lo, exec_lo, s72
	v_cmp_gt_i16_sdwa s72, v9, v97 src0_sel:BYTE_1 src1_sel:DWORD
	s_mov_b32 s16, 0
	s_and_saveexec_b32 s73, s72
	s_xor_b32 s72, exec_lo, s73
	s_cbranch_execz .LBB2_597
; %bb.212:                              ;   in Loop: Header=BB2_133 Depth=3
	v_cmp_eq_u16_sdwa s74, v9, v98 src0_sel:BYTE_1 src1_sel:DWORD
	s_mov_b32 s16, -1
	s_and_saveexec_b32 s73, s74
; %bb.213:                              ;   in Loop: Header=BB2_133 Depth=3
	s_xor_b32 s16, exec_lo, -1
; %bb.214:                              ;   in Loop: Header=BB2_133 Depth=3
	s_or_b32 exec_lo, exec_lo, s73
	s_and_b32 s16, s16, exec_lo
	s_or_saveexec_b32 s72, s72
	v_mov_b32_e32 v8, 0x7f800001
	s_xor_b32 exec_lo, exec_lo, s72
	s_cbranch_execnz .LBB2_598
.LBB2_215:                              ;   in Loop: Header=BB2_133 Depth=3
	s_or_b32 exec_lo, exec_lo, s72
	s_and_saveexec_b32 s72, s16
	s_cbranch_execz .LBB2_217
.LBB2_216:                              ;   in Loop: Header=BB2_133 Depth=3
	v_and_b32_sdwa v8, v99, v9 dst_sel:DWORD dst_unused:UNUSED_PAD src0_sel:DWORD src1_sel:BYTE_1
	v_and_b32_e32 v60, 3, v8
	v_bfe_u32 v63, v8, 2, 5
	v_ffbh_u32_e32 v61, v60
	v_cmp_eq_u32_e32 vcc_lo, 0, v63
	v_min_u32_e32 v61, 32, v61
	v_subrev_nc_u32_e32 v62, 29, v61
	v_sub_nc_u32_e32 v61, 30, v61
	v_lshlrev_b32_e32 v8, v62, v8
	v_lshlrev_b32_sdwa v62, v100, v9 dst_sel:DWORD dst_unused:UNUSED_PAD src0_sel:DWORD src1_sel:BYTE_1
	v_cndmask_b32_e32 v61, v63, v61, vcc_lo
	v_and_b32_e32 v8, 3, v8
	v_lshl_add_u32 v61, v61, 23, 0x37800000
	v_cndmask_b32_e32 v8, v60, v8, vcc_lo
	v_and_b32_e32 v60, 0x80000000, v62
	v_lshlrev_b32_e32 v8, 21, v8
	v_or3_b32 v8, v60, v61, v8
.LBB2_217:                              ;   in Loop: Header=BB2_133 Depth=3
	s_or_b32 exec_lo, exec_lo, s72
	v_mul_f32_e32 v8, s63, v8
	v_and_b32_e32 v60, 0x7f800000, v8
	v_cmp_ne_u32_e32 vcc_lo, 0x7f800000, v60
	v_mov_b32_e32 v60, 0x8000
	s_and_saveexec_b32 s72, vcc_lo
	s_cbranch_execz .LBB2_225
; %bb.218:                              ;   in Loop: Header=BB2_133 Depth=3
	v_mov_b32_e32 v60, 0
	s_mov_b32 s73, exec_lo
	v_cmpx_ne_u32_e32 0, v8
	s_cbranch_execz .LBB2_224
; %bb.219:                              ;   in Loop: Header=BB2_133 Depth=3
	v_bfe_u32 v60, v8, 23, 8
	v_and_b32_e32 v61, 0x7fffff, v8
	v_sub_nc_u32_e32 v62, 0x70, v60
	v_cmp_gt_u32_e32 vcc_lo, 0x71, v60
	v_or_b32_e32 v63, 0x800000, v61
	v_cndmask_b32_e32 v62, 0, v62, vcc_lo
	v_cmp_eq_u32_e32 vcc_lo, 0, v60
	v_add_nc_u32_e32 v60, 0xffffff91, v60
	v_cndmask_b32_e64 v62, v62, 0x6f, vcc_lo
	v_cndmask_b32_e32 v61, v63, v61, vcc_lo
	v_cndmask_b32_e64 v60, v60, 0xffffff92, vcc_lo
	v_lshl_add_u32 v63, 0x200000, v62, -1
	v_lshrrev_b32_e32 v72, v62, v61
	v_lshlrev_b32_e64 v74, v62, 0x100000
	v_add_nc_u32_e32 v62, v62, v60
	v_and_b32_e32 v61, v63, v61
	v_bfe_u32 v73, v72, 21, 1
	v_cmp_eq_u32_e64 s16, v61, v74
	v_add_nc_u32_e32 v63, -1, v73
	v_cndmask_b32_e64 v61, 0, v63, s16
	v_lshrrev_b32_e32 v63, 23, v72
	s_mov_b32 s16, exec_lo
	v_add_nc_u32_e32 v61, v61, v72
	v_xor_b32_e32 v63, 1, v63
	v_and_b32_e32 v60, 0x1fffff, v61
	v_add_nc_u32_e32 v61, v60, v72
                                        ; implicit-def: $vgpr60
	v_cmpx_ne_u32_e64 v62, v63
	s_xor_b32 s16, exec_lo, s16
; %bb.220:                              ;   in Loop: Header=BB2_133 Depth=3
	v_cmp_lt_u32_e32 vcc_lo, 0xffffff, v61
	v_sub_nc_u32_e32 v60, v62, v63
	v_cndmask_b32_e64 v62, 0, 1, vcc_lo
	v_add_co_ci_u32_e64 v60, null, 0, v60, vcc_lo
	v_lshrrev_b32_e32 v61, v62, v61
; %bb.221:                              ;   in Loop: Header=BB2_133 Depth=3
	s_andn2_saveexec_b32 s16, s16
; %bb.222:                              ;   in Loop: Header=BB2_133 Depth=3
	v_bfe_u32 v60, v61, 23, 1
; %bb.223:                              ;   in Loop: Header=BB2_133 Depth=3
	s_or_b32 exec_lo, exec_lo, s16
	v_lshrrev_b32_e32 v61, 21, v61
	v_min_i32_e32 v62, 31, v60
	v_cmp_gt_i32_e32 vcc_lo, 32, v60
	v_and_b32_sdwa v8, v8, v98 dst_sel:DWORD dst_unused:UNUSED_PAD src0_sel:BYTE_3 src1_sel:DWORD
	v_lshlrev_b32_e32 v62, 2, v62
	v_cndmask_b32_e32 v61, 3, v61, vcc_lo
	v_and_b32_e32 v62, 0xfc, v62
	v_and_b32_e32 v63, 3, v61
	v_or_b32_e32 v60, v60, v61
	v_or3_b32 v8, v8, v62, v63
	v_cmp_ne_u32_e32 vcc_lo, 0, v60
	v_lshlrev_b32_e32 v8, 8, v8
	v_cndmask_b32_e32 v60, 0, v8, vcc_lo
.LBB2_224:                              ;   in Loop: Header=BB2_133 Depth=3
	s_or_b32 exec_lo, exec_lo, s73
.LBB2_225:                              ;   in Loop: Header=BB2_133 Depth=3
	s_or_b32 exec_lo, exec_lo, s72
	v_and_b32_sdwa v61, v9, v101 dst_sel:DWORD dst_unused:UNUSED_PAD src0_sel:WORD_1 src1_sel:DWORD
	s_mov_b32 s16, 0
	s_mov_b32 s72, exec_lo
	v_cmpx_lt_i16_e32 0x7f, v61
	s_xor_b32 s72, exec_lo, s72
	s_cbranch_execz .LBB2_599
; %bb.226:                              ;   in Loop: Header=BB2_133 Depth=3
	s_mov_b32 s16, -1
	s_mov_b32 s73, exec_lo
	v_cmpx_eq_u16_e32 0x80, v61
; %bb.227:                              ;   in Loop: Header=BB2_133 Depth=3
	s_xor_b32 s16, exec_lo, -1
; %bb.228:                              ;   in Loop: Header=BB2_133 Depth=3
	s_or_b32 exec_lo, exec_lo, s73
	s_and_b32 s16, s16, exec_lo
                                        ; implicit-def: $vgpr61
	s_or_saveexec_b32 s72, s72
	v_mov_b32_e32 v8, 0x7f800001
	s_xor_b32 exec_lo, exec_lo, s72
	s_cbranch_execnz .LBB2_600
.LBB2_229:                              ;   in Loop: Header=BB2_133 Depth=3
	s_or_b32 exec_lo, exec_lo, s72
	s_and_saveexec_b32 s72, s16
	s_cbranch_execz .LBB2_231
.LBB2_230:                              ;   in Loop: Header=BB2_133 Depth=3
	v_bfe_u32 v8, v9, 16, 2
	v_bfe_u32 v63, v9, 18, 5
	v_lshlrev_b32_e32 v72, 8, v9
	v_ffbh_u32_e32 v61, v8
	v_cmp_eq_u32_e32 vcc_lo, 0, v63
	v_min_u32_e32 v61, 32, v61
	v_subrev_nc_u32_e32 v62, 29, v61
	v_sub_nc_u32_e32 v61, 30, v61
	v_lshlrev_b32_sdwa v62, v62, v9 dst_sel:DWORD dst_unused:UNUSED_PAD src0_sel:DWORD src1_sel:WORD_1
	v_cndmask_b32_e32 v61, v63, v61, vcc_lo
	v_and_b32_e32 v62, 3, v62
	v_lshl_add_u32 v61, v61, 23, 0x37800000
	v_cndmask_b32_e32 v8, v8, v62, vcc_lo
	v_and_b32_e32 v62, 0x80000000, v72
	v_lshlrev_b32_e32 v8, 21, v8
	v_or3_b32 v8, v62, v61, v8
.LBB2_231:                              ;   in Loop: Header=BB2_133 Depth=3
	s_or_b32 exec_lo, exec_lo, s72
	v_mul_f32_e32 v8, s63, v8
	v_and_b32_e32 v61, 0x7f800000, v8
	v_cmp_ne_u32_e32 vcc_lo, 0x7f800000, v61
	v_mov_b32_e32 v61, 0x80
	s_and_saveexec_b32 s72, vcc_lo
	s_cbranch_execz .LBB2_239
; %bb.232:                              ;   in Loop: Header=BB2_133 Depth=3
	v_mov_b32_e32 v61, 0
	s_mov_b32 s73, exec_lo
	v_cmpx_ne_u32_e32 0, v8
	s_cbranch_execz .LBB2_238
; %bb.233:                              ;   in Loop: Header=BB2_133 Depth=3
	v_bfe_u32 v61, v8, 23, 8
	v_and_b32_e32 v62, 0x7fffff, v8
	v_sub_nc_u32_e32 v63, 0x70, v61
	v_cmp_gt_u32_e32 vcc_lo, 0x71, v61
	v_or_b32_e32 v72, 0x800000, v62
	v_cndmask_b32_e32 v63, 0, v63, vcc_lo
	v_cmp_eq_u32_e32 vcc_lo, 0, v61
	v_add_nc_u32_e32 v61, 0xffffff91, v61
	v_cndmask_b32_e64 v63, v63, 0x6f, vcc_lo
	v_cndmask_b32_e32 v62, v72, v62, vcc_lo
	v_cndmask_b32_e64 v61, v61, 0xffffff92, vcc_lo
	v_lshl_add_u32 v72, 0x200000, v63, -1
	v_lshrrev_b32_e32 v73, v63, v62
	v_lshlrev_b32_e64 v75, v63, 0x100000
	v_add_nc_u32_e32 v63, v63, v61
	v_and_b32_e32 v62, v72, v62
	v_bfe_u32 v74, v73, 21, 1
	v_cmp_eq_u32_e64 s16, v62, v75
	v_add_nc_u32_e32 v72, -1, v74
	v_cndmask_b32_e64 v62, 0, v72, s16
	v_lshrrev_b32_e32 v72, 23, v73
	s_mov_b32 s16, exec_lo
	v_add_nc_u32_e32 v62, v62, v73
	v_xor_b32_e32 v72, 1, v72
	v_and_b32_e32 v61, 0x1fffff, v62
	v_add_nc_u32_e32 v62, v61, v73
                                        ; implicit-def: $vgpr61
	v_cmpx_ne_u32_e64 v63, v72
	s_xor_b32 s16, exec_lo, s16
; %bb.234:                              ;   in Loop: Header=BB2_133 Depth=3
	v_cmp_lt_u32_e32 vcc_lo, 0xffffff, v62
	v_sub_nc_u32_e32 v61, v63, v72
	v_cndmask_b32_e64 v63, 0, 1, vcc_lo
	v_add_co_ci_u32_e64 v61, null, 0, v61, vcc_lo
	v_lshrrev_b32_e32 v62, v63, v62
; %bb.235:                              ;   in Loop: Header=BB2_133 Depth=3
	s_andn2_saveexec_b32 s16, s16
; %bb.236:                              ;   in Loop: Header=BB2_133 Depth=3
	v_bfe_u32 v61, v62, 23, 1
; %bb.237:                              ;   in Loop: Header=BB2_133 Depth=3
	s_or_b32 exec_lo, exec_lo, s16
	v_lshrrev_b32_e32 v62, 21, v62
	v_min_i32_e32 v63, 31, v61
	v_cmp_gt_i32_e32 vcc_lo, 32, v61
	v_and_b32_sdwa v8, v8, v98 dst_sel:DWORD dst_unused:UNUSED_PAD src0_sel:BYTE_3 src1_sel:DWORD
	v_lshlrev_b32_e32 v63, 2, v63
	v_cndmask_b32_e32 v62, 3, v62, vcc_lo
	v_and_b32_e32 v63, 0xfc, v63
	v_and_b32_e32 v72, 3, v62
	v_or_b32_e32 v61, v61, v62
	v_or3_b32 v8, v63, v8, v72
	v_cmp_ne_u32_e32 vcc_lo, 0, v61
	v_cndmask_b32_e32 v61, 0, v8, vcc_lo
.LBB2_238:                              ;   in Loop: Header=BB2_133 Depth=3
	s_or_b32 exec_lo, exec_lo, s73
.LBB2_239:                              ;   in Loop: Header=BB2_133 Depth=3
	s_or_b32 exec_lo, exec_lo, s72
	v_cmp_gt_i16_sdwa s72, v9, v97 src0_sel:BYTE_3 src1_sel:DWORD
	s_mov_b32 s16, 0
	s_and_saveexec_b32 s73, s72
	s_xor_b32 s72, exec_lo, s73
	s_cbranch_execz .LBB2_601
; %bb.240:                              ;   in Loop: Header=BB2_133 Depth=3
	v_cmp_eq_u16_sdwa s74, v9, v98 src0_sel:BYTE_3 src1_sel:DWORD
	s_mov_b32 s16, -1
	s_and_saveexec_b32 s73, s74
; %bb.241:                              ;   in Loop: Header=BB2_133 Depth=3
	s_xor_b32 s16, exec_lo, -1
; %bb.242:                              ;   in Loop: Header=BB2_133 Depth=3
	s_or_b32 exec_lo, exec_lo, s73
	s_and_b32 s16, s16, exec_lo
	s_or_saveexec_b32 s72, s72
	v_mov_b32_e32 v8, 0x7f800001
	s_xor_b32 exec_lo, exec_lo, s72
	s_cbranch_execnz .LBB2_602
.LBB2_243:                              ;   in Loop: Header=BB2_133 Depth=3
	s_or_b32 exec_lo, exec_lo, s72
	s_and_saveexec_b32 s72, s16
	s_cbranch_execz .LBB2_245
.LBB2_244:                              ;   in Loop: Header=BB2_133 Depth=3
	v_bfe_u32 v8, v9, 24, 2
	v_bfe_u32 v72, v9, 26, 5
	v_ffbh_u32_e32 v62, v8
	v_cmp_eq_u32_e32 vcc_lo, 0, v72
	v_min_u32_e32 v62, 32, v62
	v_subrev_nc_u32_e32 v63, 29, v62
	v_sub_nc_u32_e32 v62, 30, v62
	v_lshlrev_b32_sdwa v63, v63, v9 dst_sel:DWORD dst_unused:UNUSED_PAD src0_sel:DWORD src1_sel:BYTE_3
	v_cndmask_b32_e32 v62, v72, v62, vcc_lo
	v_and_b32_e32 v9, 0x80000000, v9
	v_and_b32_e32 v63, 3, v63
	v_lshl_add_u32 v62, v62, 23, 0x37800000
	v_cndmask_b32_e32 v8, v8, v63, vcc_lo
	v_lshlrev_b32_e32 v8, 21, v8
	v_or3_b32 v8, v9, v62, v8
.LBB2_245:                              ;   in Loop: Header=BB2_133 Depth=3
	s_or_b32 exec_lo, exec_lo, s72
	v_mul_f32_e32 v8, s63, v8
	v_mov_b32_e32 v62, 0x8000
	s_mov_b32 s72, exec_lo
	v_and_b32_e32 v9, 0x7f800000, v8
	v_cmpx_ne_u32_e32 0x7f800000, v9
	s_cbranch_execz .LBB2_253
; %bb.246:                              ;   in Loop: Header=BB2_133 Depth=3
	v_mov_b32_e32 v62, 0
	s_mov_b32 s73, exec_lo
	v_cmpx_ne_u32_e32 0, v8
	s_cbranch_execz .LBB2_252
; %bb.247:                              ;   in Loop: Header=BB2_133 Depth=3
	v_bfe_u32 v9, v8, 23, 8
	v_and_b32_e32 v62, 0x7fffff, v8
	v_sub_nc_u32_e32 v63, 0x70, v9
	v_cmp_gt_u32_e32 vcc_lo, 0x71, v9
	v_or_b32_e32 v72, 0x800000, v62
	v_cndmask_b32_e32 v63, 0, v63, vcc_lo
	v_cmp_eq_u32_e32 vcc_lo, 0, v9
	v_add_nc_u32_e32 v9, 0xffffff91, v9
	v_cndmask_b32_e64 v63, v63, 0x6f, vcc_lo
	v_cndmask_b32_e32 v62, v72, v62, vcc_lo
	v_cndmask_b32_e64 v9, v9, 0xffffff92, vcc_lo
	v_lshl_add_u32 v72, 0x200000, v63, -1
	v_lshrrev_b32_e32 v73, v63, v62
	v_lshlrev_b32_e64 v75, v63, 0x100000
	v_add_nc_u32_e32 v63, v63, v9
	v_and_b32_e32 v62, v72, v62
	v_bfe_u32 v74, v73, 21, 1
	v_cmp_eq_u32_e64 s16, v62, v75
	v_add_nc_u32_e32 v72, -1, v74
	v_cndmask_b32_e64 v62, 0, v72, s16
	v_lshrrev_b32_e32 v72, 23, v73
	s_mov_b32 s16, exec_lo
	v_add_nc_u32_e32 v62, v62, v73
	v_xor_b32_e32 v72, 1, v72
	v_and_b32_e32 v9, 0x1fffff, v62
	v_add_nc_u32_e32 v62, v9, v73
                                        ; implicit-def: $vgpr9
	v_cmpx_ne_u32_e64 v63, v72
	s_xor_b32 s16, exec_lo, s16
; %bb.248:                              ;   in Loop: Header=BB2_133 Depth=3
	v_cmp_lt_u32_e32 vcc_lo, 0xffffff, v62
	v_sub_nc_u32_e32 v9, v63, v72
	v_cndmask_b32_e64 v63, 0, 1, vcc_lo
	v_add_co_ci_u32_e64 v9, null, 0, v9, vcc_lo
	v_lshrrev_b32_e32 v62, v63, v62
; %bb.249:                              ;   in Loop: Header=BB2_133 Depth=3
	s_andn2_saveexec_b32 s16, s16
; %bb.250:                              ;   in Loop: Header=BB2_133 Depth=3
	v_bfe_u32 v9, v62, 23, 1
; %bb.251:                              ;   in Loop: Header=BB2_133 Depth=3
	s_or_b32 exec_lo, exec_lo, s16
	v_lshrrev_b32_e32 v62, 21, v62
	v_min_i32_e32 v63, 31, v9
	v_cmp_gt_i32_e32 vcc_lo, 32, v9
	v_and_b32_sdwa v8, v8, v98 dst_sel:DWORD dst_unused:UNUSED_PAD src0_sel:BYTE_3 src1_sel:DWORD
	v_lshlrev_b32_e32 v63, 2, v63
	v_cndmask_b32_e32 v62, 3, v62, vcc_lo
	v_and_b32_e32 v63, 0xfc, v63
	v_and_b32_e32 v72, 3, v62
	v_or_b32_e32 v9, v9, v62
	v_or3_b32 v8, v8, v63, v72
	v_cmp_ne_u32_e32 vcc_lo, 0, v9
	v_lshlrev_b32_e32 v8, 8, v8
	v_cndmask_b32_e32 v62, 0, v8, vcc_lo
.LBB2_252:                              ;   in Loop: Header=BB2_133 Depth=3
	s_or_b32 exec_lo, exec_lo, s73
.LBB2_253:                              ;   in Loop: Header=BB2_133 Depth=3
	s_or_b32 exec_lo, exec_lo, s72
	v_cmp_gt_i16_sdwa s72, v10, v97 src0_sel:BYTE_0 src1_sel:DWORD
	s_mov_b32 s16, 0
	s_and_saveexec_b32 s73, s72
	s_xor_b32 s72, exec_lo, s73
	s_cbranch_execz .LBB2_603
; %bb.254:                              ;   in Loop: Header=BB2_133 Depth=3
	v_cmp_eq_u16_sdwa s74, v10, v98 src0_sel:BYTE_0 src1_sel:DWORD
	s_mov_b32 s16, -1
	s_and_saveexec_b32 s73, s74
; %bb.255:                              ;   in Loop: Header=BB2_133 Depth=3
	s_xor_b32 s16, exec_lo, -1
; %bb.256:                              ;   in Loop: Header=BB2_133 Depth=3
	s_or_b32 exec_lo, exec_lo, s73
	s_and_b32 s16, s16, exec_lo
	s_or_saveexec_b32 s72, s72
	v_mov_b32_e32 v8, 0x7f800001
	s_xor_b32 exec_lo, exec_lo, s72
	s_cbranch_execnz .LBB2_604
.LBB2_257:                              ;   in Loop: Header=BB2_133 Depth=3
	s_or_b32 exec_lo, exec_lo, s72
	s_and_saveexec_b32 s72, s16
	s_cbranch_execz .LBB2_259
.LBB2_258:                              ;   in Loop: Header=BB2_133 Depth=3
	v_and_b32_e32 v8, 3, v10
	v_bfe_u32 v72, v10, 2, 5
	v_lshlrev_b32_e32 v73, 24, v10
	v_ffbh_u32_e32 v9, v8
	v_cmp_eq_u32_e32 vcc_lo, 0, v72
	v_min_u32_e32 v9, 32, v9
	v_subrev_nc_u32_e32 v63, 29, v9
	v_sub_nc_u32_e32 v9, 30, v9
	v_lshlrev_b32_e32 v63, v63, v10
	v_cndmask_b32_e32 v9, v72, v9, vcc_lo
	v_and_b32_e32 v63, 3, v63
	v_lshl_add_u32 v9, v9, 23, 0x37800000
	v_cndmask_b32_e32 v8, v8, v63, vcc_lo
	v_and_b32_e32 v63, 0x80000000, v73
	v_lshlrev_b32_e32 v8, 21, v8
	v_or3_b32 v8, v63, v9, v8
.LBB2_259:                              ;   in Loop: Header=BB2_133 Depth=3
	s_or_b32 exec_lo, exec_lo, s72
	v_mul_f32_e32 v8, s63, v8
	v_mov_b32_e32 v63, 0x80
	s_mov_b32 s72, exec_lo
	v_and_b32_e32 v9, 0x7f800000, v8
	v_cmpx_ne_u32_e32 0x7f800000, v9
	s_cbranch_execz .LBB2_267
; %bb.260:                              ;   in Loop: Header=BB2_133 Depth=3
	v_mov_b32_e32 v63, 0
	s_mov_b32 s73, exec_lo
	v_cmpx_ne_u32_e32 0, v8
	s_cbranch_execz .LBB2_266
; %bb.261:                              ;   in Loop: Header=BB2_133 Depth=3
	v_bfe_u32 v9, v8, 23, 8
	v_and_b32_e32 v63, 0x7fffff, v8
	v_sub_nc_u32_e32 v72, 0x70, v9
	v_cmp_gt_u32_e32 vcc_lo, 0x71, v9
	v_or_b32_e32 v73, 0x800000, v63
	v_cndmask_b32_e32 v72, 0, v72, vcc_lo
	v_cmp_eq_u32_e32 vcc_lo, 0, v9
	v_add_nc_u32_e32 v9, 0xffffff91, v9
	v_cndmask_b32_e64 v72, v72, 0x6f, vcc_lo
	v_cndmask_b32_e32 v63, v73, v63, vcc_lo
	v_cndmask_b32_e64 v9, v9, 0xffffff92, vcc_lo
	v_lshl_add_u32 v73, 0x200000, v72, -1
	v_lshrrev_b32_e32 v74, v72, v63
	v_lshlrev_b32_e64 v76, v72, 0x100000
	v_add_nc_u32_e32 v72, v72, v9
	v_and_b32_e32 v63, v73, v63
	v_bfe_u32 v75, v74, 21, 1
	v_cmp_eq_u32_e64 s16, v63, v76
	v_add_nc_u32_e32 v73, -1, v75
	v_cndmask_b32_e64 v63, 0, v73, s16
	v_lshrrev_b32_e32 v73, 23, v74
	s_mov_b32 s16, exec_lo
	v_add_nc_u32_e32 v63, v63, v74
	v_xor_b32_e32 v73, 1, v73
	v_and_b32_e32 v9, 0x1fffff, v63
	v_add_nc_u32_e32 v63, v9, v74
                                        ; implicit-def: $vgpr9
	v_cmpx_ne_u32_e64 v72, v73
	s_xor_b32 s16, exec_lo, s16
; %bb.262:                              ;   in Loop: Header=BB2_133 Depth=3
	v_cmp_lt_u32_e32 vcc_lo, 0xffffff, v63
	v_sub_nc_u32_e32 v9, v72, v73
	v_cndmask_b32_e64 v72, 0, 1, vcc_lo
	v_add_co_ci_u32_e64 v9, null, 0, v9, vcc_lo
	v_lshrrev_b32_e32 v63, v72, v63
; %bb.263:                              ;   in Loop: Header=BB2_133 Depth=3
	s_andn2_saveexec_b32 s16, s16
; %bb.264:                              ;   in Loop: Header=BB2_133 Depth=3
	v_bfe_u32 v9, v63, 23, 1
; %bb.265:                              ;   in Loop: Header=BB2_133 Depth=3
	s_or_b32 exec_lo, exec_lo, s16
	v_lshrrev_b32_e32 v63, 21, v63
	v_min_i32_e32 v72, 31, v9
	v_cmp_gt_i32_e32 vcc_lo, 32, v9
	v_and_b32_sdwa v8, v8, v98 dst_sel:DWORD dst_unused:UNUSED_PAD src0_sel:BYTE_3 src1_sel:DWORD
	v_lshlrev_b32_e32 v72, 2, v72
	v_cndmask_b32_e32 v63, 3, v63, vcc_lo
	v_and_b32_e32 v72, 0xfc, v72
	v_and_b32_e32 v73, 3, v63
	v_or_b32_e32 v9, v9, v63
	v_or3_b32 v8, v72, v8, v73
	v_cmp_ne_u32_e32 vcc_lo, 0, v9
	v_cndmask_b32_e32 v63, 0, v8, vcc_lo
.LBB2_266:                              ;   in Loop: Header=BB2_133 Depth=3
	s_or_b32 exec_lo, exec_lo, s73
.LBB2_267:                              ;   in Loop: Header=BB2_133 Depth=3
	s_or_b32 exec_lo, exec_lo, s72
	v_cmp_gt_i16_sdwa s72, v10, v97 src0_sel:BYTE_1 src1_sel:DWORD
	s_mov_b32 s16, 0
	s_and_saveexec_b32 s73, s72
	s_xor_b32 s72, exec_lo, s73
	s_cbranch_execz .LBB2_605
; %bb.268:                              ;   in Loop: Header=BB2_133 Depth=3
	v_cmp_eq_u16_sdwa s74, v10, v98 src0_sel:BYTE_1 src1_sel:DWORD
	s_mov_b32 s16, -1
	s_and_saveexec_b32 s73, s74
; %bb.269:                              ;   in Loop: Header=BB2_133 Depth=3
	s_xor_b32 s16, exec_lo, -1
; %bb.270:                              ;   in Loop: Header=BB2_133 Depth=3
	s_or_b32 exec_lo, exec_lo, s73
	s_and_b32 s16, s16, exec_lo
	s_or_saveexec_b32 s72, s72
	v_mov_b32_e32 v8, 0x7f800001
	s_xor_b32 exec_lo, exec_lo, s72
	s_cbranch_execnz .LBB2_606
.LBB2_271:                              ;   in Loop: Header=BB2_133 Depth=3
	s_or_b32 exec_lo, exec_lo, s72
	s_and_saveexec_b32 s72, s16
	s_cbranch_execz .LBB2_273
.LBB2_272:                              ;   in Loop: Header=BB2_133 Depth=3
	v_and_b32_sdwa v8, v99, v10 dst_sel:DWORD dst_unused:UNUSED_PAD src0_sel:DWORD src1_sel:BYTE_1
	v_and_b32_e32 v9, 3, v8
	v_bfe_u32 v74, v8, 2, 5
	v_ffbh_u32_e32 v72, v9
	v_cmp_eq_u32_e32 vcc_lo, 0, v74
	v_min_u32_e32 v72, 32, v72
	v_subrev_nc_u32_e32 v73, 29, v72
	v_sub_nc_u32_e32 v72, 30, v72
	v_lshlrev_b32_e32 v8, v73, v8
	v_lshlrev_b32_sdwa v73, v100, v10 dst_sel:DWORD dst_unused:UNUSED_PAD src0_sel:DWORD src1_sel:BYTE_1
	v_cndmask_b32_e32 v72, v74, v72, vcc_lo
	v_and_b32_e32 v8, 3, v8
	v_lshl_add_u32 v72, v72, 23, 0x37800000
	v_cndmask_b32_e32 v8, v9, v8, vcc_lo
	v_and_b32_e32 v9, 0x80000000, v73
	v_lshlrev_b32_e32 v8, 21, v8
	v_or3_b32 v8, v9, v72, v8
.LBB2_273:                              ;   in Loop: Header=BB2_133 Depth=3
	s_or_b32 exec_lo, exec_lo, s72
	v_mul_f32_e32 v8, s63, v8
	v_mov_b32_e32 v72, 0x8000
	s_mov_b32 s72, exec_lo
	v_and_b32_e32 v9, 0x7f800000, v8
	v_cmpx_ne_u32_e32 0x7f800000, v9
	s_cbranch_execz .LBB2_281
; %bb.274:                              ;   in Loop: Header=BB2_133 Depth=3
	v_mov_b32_e32 v72, 0
	s_mov_b32 s73, exec_lo
	v_cmpx_ne_u32_e32 0, v8
	s_cbranch_execz .LBB2_280
; %bb.275:                              ;   in Loop: Header=BB2_133 Depth=3
	v_bfe_u32 v9, v8, 23, 8
	v_and_b32_e32 v72, 0x7fffff, v8
	v_sub_nc_u32_e32 v73, 0x70, v9
	v_cmp_gt_u32_e32 vcc_lo, 0x71, v9
	v_or_b32_e32 v74, 0x800000, v72
	v_cndmask_b32_e32 v73, 0, v73, vcc_lo
	v_cmp_eq_u32_e32 vcc_lo, 0, v9
	v_add_nc_u32_e32 v9, 0xffffff91, v9
	v_cndmask_b32_e64 v73, v73, 0x6f, vcc_lo
	v_cndmask_b32_e32 v72, v74, v72, vcc_lo
	v_cndmask_b32_e64 v9, v9, 0xffffff92, vcc_lo
	v_lshl_add_u32 v74, 0x200000, v73, -1
	v_lshrrev_b32_e32 v75, v73, v72
	v_lshlrev_b32_e64 v77, v73, 0x100000
	v_add_nc_u32_e32 v73, v73, v9
	v_and_b32_e32 v72, v74, v72
	v_bfe_u32 v76, v75, 21, 1
	v_cmp_eq_u32_e64 s16, v72, v77
	v_add_nc_u32_e32 v74, -1, v76
	v_cndmask_b32_e64 v72, 0, v74, s16
	v_lshrrev_b32_e32 v74, 23, v75
	s_mov_b32 s16, exec_lo
	v_add_nc_u32_e32 v72, v72, v75
	v_xor_b32_e32 v74, 1, v74
	v_and_b32_e32 v9, 0x1fffff, v72
	v_add_nc_u32_e32 v72, v9, v75
                                        ; implicit-def: $vgpr9
	v_cmpx_ne_u32_e64 v73, v74
	s_xor_b32 s16, exec_lo, s16
; %bb.276:                              ;   in Loop: Header=BB2_133 Depth=3
	v_cmp_lt_u32_e32 vcc_lo, 0xffffff, v72
	v_sub_nc_u32_e32 v9, v73, v74
	v_cndmask_b32_e64 v73, 0, 1, vcc_lo
	v_add_co_ci_u32_e64 v9, null, 0, v9, vcc_lo
	v_lshrrev_b32_e32 v72, v73, v72
; %bb.277:                              ;   in Loop: Header=BB2_133 Depth=3
	s_andn2_saveexec_b32 s16, s16
; %bb.278:                              ;   in Loop: Header=BB2_133 Depth=3
	v_bfe_u32 v9, v72, 23, 1
; %bb.279:                              ;   in Loop: Header=BB2_133 Depth=3
	s_or_b32 exec_lo, exec_lo, s16
	v_lshrrev_b32_e32 v72, 21, v72
	v_min_i32_e32 v73, 31, v9
	v_cmp_gt_i32_e32 vcc_lo, 32, v9
	v_and_b32_sdwa v8, v8, v98 dst_sel:DWORD dst_unused:UNUSED_PAD src0_sel:BYTE_3 src1_sel:DWORD
	v_lshlrev_b32_e32 v73, 2, v73
	v_cndmask_b32_e32 v72, 3, v72, vcc_lo
	v_and_b32_e32 v73, 0xfc, v73
	v_and_b32_e32 v74, 3, v72
	v_or_b32_e32 v9, v9, v72
	v_or3_b32 v8, v8, v73, v74
	v_cmp_ne_u32_e32 vcc_lo, 0, v9
	v_lshlrev_b32_e32 v8, 8, v8
	v_cndmask_b32_e32 v72, 0, v8, vcc_lo
.LBB2_280:                              ;   in Loop: Header=BB2_133 Depth=3
	s_or_b32 exec_lo, exec_lo, s73
.LBB2_281:                              ;   in Loop: Header=BB2_133 Depth=3
	s_or_b32 exec_lo, exec_lo, s72
	v_and_b32_sdwa v9, v10, v101 dst_sel:DWORD dst_unused:UNUSED_PAD src0_sel:WORD_1 src1_sel:DWORD
	s_mov_b32 s16, 0
	s_mov_b32 s72, exec_lo
	v_cmpx_lt_i16_e32 0x7f, v9
	s_xor_b32 s72, exec_lo, s72
	s_cbranch_execz .LBB2_607
; %bb.282:                              ;   in Loop: Header=BB2_133 Depth=3
	s_mov_b32 s16, -1
	s_mov_b32 s73, exec_lo
	v_cmpx_eq_u16_e32 0x80, v9
; %bb.283:                              ;   in Loop: Header=BB2_133 Depth=3
	s_xor_b32 s16, exec_lo, -1
; %bb.284:                              ;   in Loop: Header=BB2_133 Depth=3
	s_or_b32 exec_lo, exec_lo, s73
	s_and_b32 s16, s16, exec_lo
                                        ; implicit-def: $vgpr9
	s_or_saveexec_b32 s72, s72
	v_mov_b32_e32 v8, 0x7f800001
	s_xor_b32 exec_lo, exec_lo, s72
	s_cbranch_execnz .LBB2_608
.LBB2_285:                              ;   in Loop: Header=BB2_133 Depth=3
	s_or_b32 exec_lo, exec_lo, s72
	s_and_saveexec_b32 s72, s16
	s_cbranch_execz .LBB2_287
.LBB2_286:                              ;   in Loop: Header=BB2_133 Depth=3
	v_bfe_u32 v8, v10, 16, 2
	v_bfe_u32 v74, v10, 18, 5
	v_lshlrev_b32_e32 v75, 8, v10
	v_ffbh_u32_e32 v9, v8
	v_cmp_eq_u32_e32 vcc_lo, 0, v74
	v_min_u32_e32 v9, 32, v9
	v_subrev_nc_u32_e32 v73, 29, v9
	v_sub_nc_u32_e32 v9, 30, v9
	v_lshlrev_b32_sdwa v73, v73, v10 dst_sel:DWORD dst_unused:UNUSED_PAD src0_sel:DWORD src1_sel:WORD_1
	v_cndmask_b32_e32 v9, v74, v9, vcc_lo
	v_and_b32_e32 v73, 3, v73
	v_lshl_add_u32 v9, v9, 23, 0x37800000
	v_cndmask_b32_e32 v8, v8, v73, vcc_lo
	v_and_b32_e32 v73, 0x80000000, v75
	v_lshlrev_b32_e32 v8, 21, v8
	v_or3_b32 v8, v73, v9, v8
.LBB2_287:                              ;   in Loop: Header=BB2_133 Depth=3
	s_or_b32 exec_lo, exec_lo, s72
	v_mul_f32_e32 v8, s63, v8
	v_mov_b32_e32 v73, 0x80
	s_mov_b32 s72, exec_lo
	v_and_b32_e32 v9, 0x7f800000, v8
	v_cmpx_ne_u32_e32 0x7f800000, v9
	s_cbranch_execz .LBB2_295
; %bb.288:                              ;   in Loop: Header=BB2_133 Depth=3
	v_mov_b32_e32 v73, 0
	s_mov_b32 s73, exec_lo
	v_cmpx_ne_u32_e32 0, v8
	s_cbranch_execz .LBB2_294
; %bb.289:                              ;   in Loop: Header=BB2_133 Depth=3
	v_bfe_u32 v9, v8, 23, 8
	v_and_b32_e32 v73, 0x7fffff, v8
	v_sub_nc_u32_e32 v74, 0x70, v9
	v_cmp_gt_u32_e32 vcc_lo, 0x71, v9
	v_or_b32_e32 v75, 0x800000, v73
	v_cndmask_b32_e32 v74, 0, v74, vcc_lo
	v_cmp_eq_u32_e32 vcc_lo, 0, v9
	v_add_nc_u32_e32 v9, 0xffffff91, v9
	v_cndmask_b32_e64 v74, v74, 0x6f, vcc_lo
	v_cndmask_b32_e32 v73, v75, v73, vcc_lo
	v_cndmask_b32_e64 v9, v9, 0xffffff92, vcc_lo
	v_lshl_add_u32 v75, 0x200000, v74, -1
	v_lshrrev_b32_e32 v76, v74, v73
	v_lshlrev_b32_e64 v78, v74, 0x100000
	v_add_nc_u32_e32 v74, v74, v9
	v_and_b32_e32 v73, v75, v73
	v_bfe_u32 v77, v76, 21, 1
	v_cmp_eq_u32_e64 s16, v73, v78
	v_add_nc_u32_e32 v75, -1, v77
	v_cndmask_b32_e64 v73, 0, v75, s16
	v_lshrrev_b32_e32 v75, 23, v76
	s_mov_b32 s16, exec_lo
	v_add_nc_u32_e32 v73, v73, v76
	v_xor_b32_e32 v75, 1, v75
	v_and_b32_e32 v9, 0x1fffff, v73
	v_add_nc_u32_e32 v73, v9, v76
                                        ; implicit-def: $vgpr9
	v_cmpx_ne_u32_e64 v74, v75
	s_xor_b32 s16, exec_lo, s16
; %bb.290:                              ;   in Loop: Header=BB2_133 Depth=3
	v_cmp_lt_u32_e32 vcc_lo, 0xffffff, v73
	v_sub_nc_u32_e32 v9, v74, v75
	v_cndmask_b32_e64 v74, 0, 1, vcc_lo
	v_add_co_ci_u32_e64 v9, null, 0, v9, vcc_lo
	v_lshrrev_b32_e32 v73, v74, v73
; %bb.291:                              ;   in Loop: Header=BB2_133 Depth=3
	s_andn2_saveexec_b32 s16, s16
; %bb.292:                              ;   in Loop: Header=BB2_133 Depth=3
	v_bfe_u32 v9, v73, 23, 1
; %bb.293:                              ;   in Loop: Header=BB2_133 Depth=3
	s_or_b32 exec_lo, exec_lo, s16
	v_lshrrev_b32_e32 v73, 21, v73
	v_min_i32_e32 v74, 31, v9
	v_cmp_gt_i32_e32 vcc_lo, 32, v9
	v_and_b32_sdwa v8, v8, v98 dst_sel:DWORD dst_unused:UNUSED_PAD src0_sel:BYTE_3 src1_sel:DWORD
	v_lshlrev_b32_e32 v74, 2, v74
	v_cndmask_b32_e32 v73, 3, v73, vcc_lo
	v_and_b32_e32 v74, 0xfc, v74
	v_and_b32_e32 v75, 3, v73
	v_or_b32_e32 v9, v9, v73
	v_or3_b32 v8, v74, v8, v75
	v_cmp_ne_u32_e32 vcc_lo, 0, v9
	v_cndmask_b32_e32 v73, 0, v8, vcc_lo
.LBB2_294:                              ;   in Loop: Header=BB2_133 Depth=3
	s_or_b32 exec_lo, exec_lo, s73
.LBB2_295:                              ;   in Loop: Header=BB2_133 Depth=3
	s_or_b32 exec_lo, exec_lo, s72
	v_cmp_gt_i16_sdwa s72, v10, v97 src0_sel:BYTE_3 src1_sel:DWORD
	s_mov_b32 s16, 0
	s_and_saveexec_b32 s73, s72
	s_xor_b32 s72, exec_lo, s73
	s_cbranch_execz .LBB2_609
; %bb.296:                              ;   in Loop: Header=BB2_133 Depth=3
	v_cmp_eq_u16_sdwa s74, v10, v98 src0_sel:BYTE_3 src1_sel:DWORD
	s_mov_b32 s16, -1
	s_and_saveexec_b32 s73, s74
; %bb.297:                              ;   in Loop: Header=BB2_133 Depth=3
	s_xor_b32 s16, exec_lo, -1
; %bb.298:                              ;   in Loop: Header=BB2_133 Depth=3
	s_or_b32 exec_lo, exec_lo, s73
	s_and_b32 s16, s16, exec_lo
	s_or_saveexec_b32 s72, s72
	v_mov_b32_e32 v8, 0x7f800001
	s_xor_b32 exec_lo, exec_lo, s72
	s_cbranch_execnz .LBB2_610
.LBB2_299:                              ;   in Loop: Header=BB2_133 Depth=3
	s_or_b32 exec_lo, exec_lo, s72
	s_and_saveexec_b32 s72, s16
	s_cbranch_execz .LBB2_301
.LBB2_300:                              ;   in Loop: Header=BB2_133 Depth=3
	v_bfe_u32 v8, v10, 24, 2
	v_bfe_u32 v75, v10, 26, 5
	v_ffbh_u32_e32 v9, v8
	v_cmp_eq_u32_e32 vcc_lo, 0, v75
	v_min_u32_e32 v9, 32, v9
	v_subrev_nc_u32_e32 v74, 29, v9
	v_sub_nc_u32_e32 v9, 30, v9
	v_lshlrev_b32_sdwa v74, v74, v10 dst_sel:DWORD dst_unused:UNUSED_PAD src0_sel:DWORD src1_sel:BYTE_3
	v_cndmask_b32_e32 v9, v75, v9, vcc_lo
	v_and_b32_e32 v10, 0x80000000, v10
	v_and_b32_e32 v74, 3, v74
	v_lshl_add_u32 v9, v9, 23, 0x37800000
	v_cndmask_b32_e32 v8, v8, v74, vcc_lo
	v_lshlrev_b32_e32 v8, 21, v8
	v_or3_b32 v8, v10, v9, v8
.LBB2_301:                              ;   in Loop: Header=BB2_133 Depth=3
	s_or_b32 exec_lo, exec_lo, s72
	v_mul_f32_e32 v8, s63, v8
	v_mov_b32_e32 v74, 0x8000
	s_mov_b32 s72, exec_lo
	v_and_b32_e32 v9, 0x7f800000, v8
	v_cmpx_ne_u32_e32 0x7f800000, v9
	s_cbranch_execz .LBB2_309
; %bb.302:                              ;   in Loop: Header=BB2_133 Depth=3
	v_mov_b32_e32 v74, 0
	s_mov_b32 s73, exec_lo
	v_cmpx_ne_u32_e32 0, v8
	s_cbranch_execz .LBB2_308
; %bb.303:                              ;   in Loop: Header=BB2_133 Depth=3
	v_bfe_u32 v9, v8, 23, 8
	v_and_b32_e32 v10, 0x7fffff, v8
	v_sub_nc_u32_e32 v74, 0x70, v9
	v_cmp_gt_u32_e32 vcc_lo, 0x71, v9
	v_or_b32_e32 v75, 0x800000, v10
	v_cndmask_b32_e32 v74, 0, v74, vcc_lo
	v_cmp_eq_u32_e32 vcc_lo, 0, v9
	v_add_nc_u32_e32 v9, 0xffffff91, v9
	v_cndmask_b32_e64 v74, v74, 0x6f, vcc_lo
	v_cndmask_b32_e32 v10, v75, v10, vcc_lo
	v_cndmask_b32_e64 v9, v9, 0xffffff92, vcc_lo
	v_lshl_add_u32 v75, 0x200000, v74, -1
	v_lshrrev_b32_e32 v76, v74, v10
	v_lshlrev_b32_e64 v78, v74, 0x100000
	v_add_nc_u32_e32 v74, v74, v9
	v_and_b32_e32 v10, v75, v10
	v_bfe_u32 v77, v76, 21, 1
	v_cmp_eq_u32_e64 s16, v10, v78
	v_add_nc_u32_e32 v75, -1, v77
	v_cndmask_b32_e64 v10, 0, v75, s16
	v_lshrrev_b32_e32 v75, 23, v76
	s_mov_b32 s16, exec_lo
	v_add_nc_u32_e32 v10, v10, v76
	v_xor_b32_e32 v75, 1, v75
	v_and_b32_e32 v9, 0x1fffff, v10
	v_add_nc_u32_e32 v10, v9, v76
                                        ; implicit-def: $vgpr9
	v_cmpx_ne_u32_e64 v74, v75
	s_xor_b32 s16, exec_lo, s16
; %bb.304:                              ;   in Loop: Header=BB2_133 Depth=3
	v_cmp_lt_u32_e32 vcc_lo, 0xffffff, v10
	v_sub_nc_u32_e32 v9, v74, v75
	v_cndmask_b32_e64 v74, 0, 1, vcc_lo
	v_add_co_ci_u32_e64 v9, null, 0, v9, vcc_lo
	v_lshrrev_b32_e32 v10, v74, v10
; %bb.305:                              ;   in Loop: Header=BB2_133 Depth=3
	s_andn2_saveexec_b32 s16, s16
; %bb.306:                              ;   in Loop: Header=BB2_133 Depth=3
	v_bfe_u32 v9, v10, 23, 1
; %bb.307:                              ;   in Loop: Header=BB2_133 Depth=3
	s_or_b32 exec_lo, exec_lo, s16
	v_lshrrev_b32_e32 v10, 21, v10
	v_min_i32_e32 v74, 31, v9
	v_cmp_gt_i32_e32 vcc_lo, 32, v9
	v_and_b32_sdwa v8, v8, v98 dst_sel:DWORD dst_unused:UNUSED_PAD src0_sel:BYTE_3 src1_sel:DWORD
	v_lshlrev_b32_e32 v74, 2, v74
	v_cndmask_b32_e32 v10, 3, v10, vcc_lo
	v_and_b32_e32 v74, 0xfc, v74
	v_and_b32_e32 v75, 3, v10
	v_or_b32_e32 v9, v9, v10
	v_or3_b32 v8, v8, v74, v75
	v_cmp_ne_u32_e32 vcc_lo, 0, v9
	v_lshlrev_b32_e32 v8, 8, v8
	v_cndmask_b32_e32 v74, 0, v8, vcc_lo
.LBB2_308:                              ;   in Loop: Header=BB2_133 Depth=3
	s_or_b32 exec_lo, exec_lo, s73
.LBB2_309:                              ;   in Loop: Header=BB2_133 Depth=3
	s_or_b32 exec_lo, exec_lo, s72
	v_cmp_gt_i16_sdwa s72, v11, v97 src0_sel:BYTE_0 src1_sel:DWORD
	s_mov_b32 s16, 0
	s_and_saveexec_b32 s73, s72
	s_xor_b32 s72, exec_lo, s73
	s_cbranch_execz .LBB2_611
; %bb.310:                              ;   in Loop: Header=BB2_133 Depth=3
	v_cmp_eq_u16_sdwa s74, v11, v98 src0_sel:BYTE_0 src1_sel:DWORD
	s_mov_b32 s16, -1
	s_and_saveexec_b32 s73, s74
; %bb.311:                              ;   in Loop: Header=BB2_133 Depth=3
	s_xor_b32 s16, exec_lo, -1
; %bb.312:                              ;   in Loop: Header=BB2_133 Depth=3
	s_or_b32 exec_lo, exec_lo, s73
	s_and_b32 s16, s16, exec_lo
	s_or_saveexec_b32 s72, s72
	v_mov_b32_e32 v8, 0x7f800001
	s_xor_b32 exec_lo, exec_lo, s72
	s_cbranch_execnz .LBB2_612
.LBB2_313:                              ;   in Loop: Header=BB2_133 Depth=3
	s_or_b32 exec_lo, exec_lo, s72
	s_and_saveexec_b32 s72, s16
	s_cbranch_execz .LBB2_315
.LBB2_314:                              ;   in Loop: Header=BB2_133 Depth=3
	v_and_b32_e32 v8, 3, v11
	v_bfe_u32 v75, v11, 2, 5
	v_lshlrev_b32_e32 v76, 24, v11
	v_ffbh_u32_e32 v9, v8
	v_cmp_eq_u32_e32 vcc_lo, 0, v75
	v_min_u32_e32 v9, 32, v9
	v_subrev_nc_u32_e32 v10, 29, v9
	v_sub_nc_u32_e32 v9, 30, v9
	v_lshlrev_b32_e32 v10, v10, v11
	v_cndmask_b32_e32 v9, v75, v9, vcc_lo
	v_and_b32_e32 v10, 3, v10
	v_lshl_add_u32 v9, v9, 23, 0x37800000
	v_cndmask_b32_e32 v8, v8, v10, vcc_lo
	v_and_b32_e32 v10, 0x80000000, v76
	v_lshlrev_b32_e32 v8, 21, v8
	v_or3_b32 v8, v10, v9, v8
.LBB2_315:                              ;   in Loop: Header=BB2_133 Depth=3
	s_or_b32 exec_lo, exec_lo, s72
	v_mul_f32_e32 v8, s63, v8
	v_mov_b32_e32 v75, 0x80
	s_mov_b32 s72, exec_lo
	v_and_b32_e32 v9, 0x7f800000, v8
	v_cmpx_ne_u32_e32 0x7f800000, v9
	s_cbranch_execz .LBB2_323
; %bb.316:                              ;   in Loop: Header=BB2_133 Depth=3
	v_mov_b32_e32 v75, 0
	s_mov_b32 s73, exec_lo
	v_cmpx_ne_u32_e32 0, v8
	s_cbranch_execz .LBB2_322
; %bb.317:                              ;   in Loop: Header=BB2_133 Depth=3
	v_bfe_u32 v9, v8, 23, 8
	v_and_b32_e32 v10, 0x7fffff, v8
	v_sub_nc_u32_e32 v75, 0x70, v9
	v_cmp_gt_u32_e32 vcc_lo, 0x71, v9
	v_or_b32_e32 v76, 0x800000, v10
	v_cndmask_b32_e32 v75, 0, v75, vcc_lo
	v_cmp_eq_u32_e32 vcc_lo, 0, v9
	v_add_nc_u32_e32 v9, 0xffffff91, v9
	v_cndmask_b32_e64 v75, v75, 0x6f, vcc_lo
	v_cndmask_b32_e32 v10, v76, v10, vcc_lo
	v_cndmask_b32_e64 v9, v9, 0xffffff92, vcc_lo
	v_lshl_add_u32 v76, 0x200000, v75, -1
	v_lshrrev_b32_e32 v77, v75, v10
	v_lshlrev_b32_e64 v79, v75, 0x100000
	v_add_nc_u32_e32 v75, v75, v9
	v_and_b32_e32 v10, v76, v10
	v_bfe_u32 v78, v77, 21, 1
	v_cmp_eq_u32_e64 s16, v10, v79
	v_add_nc_u32_e32 v76, -1, v78
	v_cndmask_b32_e64 v10, 0, v76, s16
	v_lshrrev_b32_e32 v76, 23, v77
	s_mov_b32 s16, exec_lo
	v_add_nc_u32_e32 v10, v10, v77
	v_xor_b32_e32 v76, 1, v76
	v_and_b32_e32 v9, 0x1fffff, v10
	v_add_nc_u32_e32 v10, v9, v77
                                        ; implicit-def: $vgpr9
	v_cmpx_ne_u32_e64 v75, v76
	s_xor_b32 s16, exec_lo, s16
; %bb.318:                              ;   in Loop: Header=BB2_133 Depth=3
	v_cmp_lt_u32_e32 vcc_lo, 0xffffff, v10
	v_sub_nc_u32_e32 v9, v75, v76
	v_cndmask_b32_e64 v75, 0, 1, vcc_lo
	v_add_co_ci_u32_e64 v9, null, 0, v9, vcc_lo
	v_lshrrev_b32_e32 v10, v75, v10
; %bb.319:                              ;   in Loop: Header=BB2_133 Depth=3
	s_andn2_saveexec_b32 s16, s16
; %bb.320:                              ;   in Loop: Header=BB2_133 Depth=3
	v_bfe_u32 v9, v10, 23, 1
; %bb.321:                              ;   in Loop: Header=BB2_133 Depth=3
	s_or_b32 exec_lo, exec_lo, s16
	v_lshrrev_b32_e32 v10, 21, v10
	v_min_i32_e32 v75, 31, v9
	v_cmp_gt_i32_e32 vcc_lo, 32, v9
	v_and_b32_sdwa v8, v8, v98 dst_sel:DWORD dst_unused:UNUSED_PAD src0_sel:BYTE_3 src1_sel:DWORD
	v_lshlrev_b32_e32 v75, 2, v75
	v_cndmask_b32_e32 v10, 3, v10, vcc_lo
	v_and_b32_e32 v75, 0xfc, v75
	v_and_b32_e32 v76, 3, v10
	v_or_b32_e32 v9, v9, v10
	v_or3_b32 v8, v75, v8, v76
	v_cmp_ne_u32_e32 vcc_lo, 0, v9
	v_cndmask_b32_e32 v75, 0, v8, vcc_lo
.LBB2_322:                              ;   in Loop: Header=BB2_133 Depth=3
	s_or_b32 exec_lo, exec_lo, s73
.LBB2_323:                              ;   in Loop: Header=BB2_133 Depth=3
	s_or_b32 exec_lo, exec_lo, s72
	v_cmp_gt_i16_sdwa s72, v11, v97 src0_sel:BYTE_1 src1_sel:DWORD
	s_mov_b32 s16, 0
	s_and_saveexec_b32 s73, s72
	s_xor_b32 s72, exec_lo, s73
	s_cbranch_execz .LBB2_613
; %bb.324:                              ;   in Loop: Header=BB2_133 Depth=3
	v_cmp_eq_u16_sdwa s74, v11, v98 src0_sel:BYTE_1 src1_sel:DWORD
	s_mov_b32 s16, -1
	s_and_saveexec_b32 s73, s74
; %bb.325:                              ;   in Loop: Header=BB2_133 Depth=3
	s_xor_b32 s16, exec_lo, -1
; %bb.326:                              ;   in Loop: Header=BB2_133 Depth=3
	s_or_b32 exec_lo, exec_lo, s73
	s_and_b32 s16, s16, exec_lo
	s_or_saveexec_b32 s72, s72
	v_mov_b32_e32 v8, 0x7f800001
	s_xor_b32 exec_lo, exec_lo, s72
	s_cbranch_execnz .LBB2_614
.LBB2_327:                              ;   in Loop: Header=BB2_133 Depth=3
	s_or_b32 exec_lo, exec_lo, s72
	s_and_saveexec_b32 s72, s16
	s_cbranch_execz .LBB2_329
.LBB2_328:                              ;   in Loop: Header=BB2_133 Depth=3
	v_and_b32_sdwa v8, v99, v11 dst_sel:DWORD dst_unused:UNUSED_PAD src0_sel:DWORD src1_sel:BYTE_1
	v_and_b32_e32 v9, 3, v8
	v_bfe_u32 v77, v8, 2, 5
	v_ffbh_u32_e32 v10, v9
	v_cmp_eq_u32_e32 vcc_lo, 0, v77
	v_min_u32_e32 v10, 32, v10
	v_subrev_nc_u32_e32 v76, 29, v10
	v_sub_nc_u32_e32 v10, 30, v10
	v_lshlrev_b32_e32 v8, v76, v8
	v_lshlrev_b32_sdwa v76, v100, v11 dst_sel:DWORD dst_unused:UNUSED_PAD src0_sel:DWORD src1_sel:BYTE_1
	v_cndmask_b32_e32 v10, v77, v10, vcc_lo
	v_and_b32_e32 v8, 3, v8
	v_lshl_add_u32 v10, v10, 23, 0x37800000
	v_cndmask_b32_e32 v8, v9, v8, vcc_lo
	v_and_b32_e32 v9, 0x80000000, v76
	v_lshlrev_b32_e32 v8, 21, v8
	v_or3_b32 v8, v9, v10, v8
.LBB2_329:                              ;   in Loop: Header=BB2_133 Depth=3
	s_or_b32 exec_lo, exec_lo, s72
	v_mul_f32_e32 v8, s63, v8
	v_mov_b32_e32 v76, 0x8000
	s_mov_b32 s72, exec_lo
	v_and_b32_e32 v9, 0x7f800000, v8
	v_cmpx_ne_u32_e32 0x7f800000, v9
	s_cbranch_execz .LBB2_337
; %bb.330:                              ;   in Loop: Header=BB2_133 Depth=3
	v_mov_b32_e32 v76, 0
	s_mov_b32 s73, exec_lo
	v_cmpx_ne_u32_e32 0, v8
	s_cbranch_execz .LBB2_336
; %bb.331:                              ;   in Loop: Header=BB2_133 Depth=3
	v_bfe_u32 v9, v8, 23, 8
	v_and_b32_e32 v10, 0x7fffff, v8
	v_sub_nc_u32_e32 v76, 0x70, v9
	v_cmp_gt_u32_e32 vcc_lo, 0x71, v9
	v_or_b32_e32 v77, 0x800000, v10
	v_cndmask_b32_e32 v76, 0, v76, vcc_lo
	v_cmp_eq_u32_e32 vcc_lo, 0, v9
	v_add_nc_u32_e32 v9, 0xffffff91, v9
	v_cndmask_b32_e64 v76, v76, 0x6f, vcc_lo
	v_cndmask_b32_e32 v10, v77, v10, vcc_lo
	v_cndmask_b32_e64 v9, v9, 0xffffff92, vcc_lo
	v_lshl_add_u32 v77, 0x200000, v76, -1
	v_lshrrev_b32_e32 v78, v76, v10
	v_lshlrev_b32_e64 v88, v76, 0x100000
	v_add_nc_u32_e32 v76, v76, v9
	v_and_b32_e32 v10, v77, v10
	v_bfe_u32 v79, v78, 21, 1
	v_cmp_eq_u32_e64 s16, v10, v88
	v_add_nc_u32_e32 v77, -1, v79
	v_cndmask_b32_e64 v10, 0, v77, s16
	v_lshrrev_b32_e32 v77, 23, v78
	s_mov_b32 s16, exec_lo
	v_add_nc_u32_e32 v10, v10, v78
	v_xor_b32_e32 v77, 1, v77
	v_and_b32_e32 v9, 0x1fffff, v10
	v_add_nc_u32_e32 v10, v9, v78
                                        ; implicit-def: $vgpr9
	v_cmpx_ne_u32_e64 v76, v77
	s_xor_b32 s16, exec_lo, s16
; %bb.332:                              ;   in Loop: Header=BB2_133 Depth=3
	v_cmp_lt_u32_e32 vcc_lo, 0xffffff, v10
	v_sub_nc_u32_e32 v9, v76, v77
	v_cndmask_b32_e64 v76, 0, 1, vcc_lo
	v_add_co_ci_u32_e64 v9, null, 0, v9, vcc_lo
	v_lshrrev_b32_e32 v10, v76, v10
; %bb.333:                              ;   in Loop: Header=BB2_133 Depth=3
	s_andn2_saveexec_b32 s16, s16
; %bb.334:                              ;   in Loop: Header=BB2_133 Depth=3
	v_bfe_u32 v9, v10, 23, 1
; %bb.335:                              ;   in Loop: Header=BB2_133 Depth=3
	s_or_b32 exec_lo, exec_lo, s16
	v_lshrrev_b32_e32 v10, 21, v10
	v_min_i32_e32 v76, 31, v9
	v_cmp_gt_i32_e32 vcc_lo, 32, v9
	v_and_b32_sdwa v8, v8, v98 dst_sel:DWORD dst_unused:UNUSED_PAD src0_sel:BYTE_3 src1_sel:DWORD
	v_lshlrev_b32_e32 v76, 2, v76
	v_cndmask_b32_e32 v10, 3, v10, vcc_lo
	v_and_b32_e32 v76, 0xfc, v76
	v_and_b32_e32 v77, 3, v10
	v_or_b32_e32 v9, v9, v10
	v_or3_b32 v8, v8, v76, v77
	v_cmp_ne_u32_e32 vcc_lo, 0, v9
	v_lshlrev_b32_e32 v8, 8, v8
	v_cndmask_b32_e32 v76, 0, v8, vcc_lo
.LBB2_336:                              ;   in Loop: Header=BB2_133 Depth=3
	s_or_b32 exec_lo, exec_lo, s73
.LBB2_337:                              ;   in Loop: Header=BB2_133 Depth=3
	s_or_b32 exec_lo, exec_lo, s72
	v_and_b32_sdwa v9, v11, v101 dst_sel:DWORD dst_unused:UNUSED_PAD src0_sel:WORD_1 src1_sel:DWORD
	s_mov_b32 s16, 0
	s_mov_b32 s72, exec_lo
	v_cmpx_lt_i16_e32 0x7f, v9
	s_xor_b32 s72, exec_lo, s72
	s_cbranch_execz .LBB2_615
; %bb.338:                              ;   in Loop: Header=BB2_133 Depth=3
	s_mov_b32 s16, -1
	s_mov_b32 s73, exec_lo
	v_cmpx_eq_u16_e32 0x80, v9
; %bb.339:                              ;   in Loop: Header=BB2_133 Depth=3
	s_xor_b32 s16, exec_lo, -1
; %bb.340:                              ;   in Loop: Header=BB2_133 Depth=3
	s_or_b32 exec_lo, exec_lo, s73
	s_and_b32 s16, s16, exec_lo
                                        ; implicit-def: $vgpr9
	s_or_saveexec_b32 s72, s72
	v_mov_b32_e32 v8, 0x7f800001
	s_xor_b32 exec_lo, exec_lo, s72
	s_cbranch_execnz .LBB2_616
.LBB2_341:                              ;   in Loop: Header=BB2_133 Depth=3
	s_or_b32 exec_lo, exec_lo, s72
	s_and_saveexec_b32 s72, s16
	s_cbranch_execz .LBB2_343
.LBB2_342:                              ;   in Loop: Header=BB2_133 Depth=3
	v_bfe_u32 v8, v11, 16, 2
	v_bfe_u32 v77, v11, 18, 5
	v_lshlrev_b32_e32 v78, 8, v11
	v_ffbh_u32_e32 v9, v8
	v_cmp_eq_u32_e32 vcc_lo, 0, v77
	v_min_u32_e32 v9, 32, v9
	v_subrev_nc_u32_e32 v10, 29, v9
	v_sub_nc_u32_e32 v9, 30, v9
	v_lshlrev_b32_sdwa v10, v10, v11 dst_sel:DWORD dst_unused:UNUSED_PAD src0_sel:DWORD src1_sel:WORD_1
	v_cndmask_b32_e32 v9, v77, v9, vcc_lo
	v_and_b32_e32 v10, 3, v10
	v_lshl_add_u32 v9, v9, 23, 0x37800000
	v_cndmask_b32_e32 v8, v8, v10, vcc_lo
	v_and_b32_e32 v10, 0x80000000, v78
	v_lshlrev_b32_e32 v8, 21, v8
	v_or3_b32 v8, v10, v9, v8
.LBB2_343:                              ;   in Loop: Header=BB2_133 Depth=3
	s_or_b32 exec_lo, exec_lo, s72
	v_mul_f32_e32 v8, s63, v8
	v_mov_b32_e32 v77, 0x80
	s_mov_b32 s72, exec_lo
	v_and_b32_e32 v9, 0x7f800000, v8
	v_cmpx_ne_u32_e32 0x7f800000, v9
	s_cbranch_execz .LBB2_351
; %bb.344:                              ;   in Loop: Header=BB2_133 Depth=3
	v_mov_b32_e32 v77, 0
	s_mov_b32 s73, exec_lo
	v_cmpx_ne_u32_e32 0, v8
	s_cbranch_execz .LBB2_350
; %bb.345:                              ;   in Loop: Header=BB2_133 Depth=3
	v_bfe_u32 v9, v8, 23, 8
	v_and_b32_e32 v10, 0x7fffff, v8
	v_sub_nc_u32_e32 v77, 0x70, v9
	v_cmp_gt_u32_e32 vcc_lo, 0x71, v9
	v_or_b32_e32 v78, 0x800000, v10
	v_cndmask_b32_e32 v77, 0, v77, vcc_lo
	v_cmp_eq_u32_e32 vcc_lo, 0, v9
	v_add_nc_u32_e32 v9, 0xffffff91, v9
	v_cndmask_b32_e64 v77, v77, 0x6f, vcc_lo
	v_cndmask_b32_e32 v10, v78, v10, vcc_lo
	v_cndmask_b32_e64 v9, v9, 0xffffff92, vcc_lo
	v_lshl_add_u32 v78, 0x200000, v77, -1
	v_lshrrev_b32_e32 v79, v77, v10
	v_lshlrev_b32_e64 v89, v77, 0x100000
	v_add_nc_u32_e32 v77, v77, v9
	v_and_b32_e32 v10, v78, v10
	v_bfe_u32 v88, v79, 21, 1
	v_cmp_eq_u32_e64 s16, v10, v89
	v_add_nc_u32_e32 v78, -1, v88
	v_cndmask_b32_e64 v10, 0, v78, s16
	v_lshrrev_b32_e32 v78, 23, v79
	s_mov_b32 s16, exec_lo
	v_add_nc_u32_e32 v10, v10, v79
	v_xor_b32_e32 v78, 1, v78
	v_and_b32_e32 v9, 0x1fffff, v10
	v_add_nc_u32_e32 v10, v9, v79
                                        ; implicit-def: $vgpr9
	v_cmpx_ne_u32_e64 v77, v78
	s_xor_b32 s16, exec_lo, s16
; %bb.346:                              ;   in Loop: Header=BB2_133 Depth=3
	v_cmp_lt_u32_e32 vcc_lo, 0xffffff, v10
	v_sub_nc_u32_e32 v9, v77, v78
	v_cndmask_b32_e64 v77, 0, 1, vcc_lo
	v_add_co_ci_u32_e64 v9, null, 0, v9, vcc_lo
	v_lshrrev_b32_e32 v10, v77, v10
; %bb.347:                              ;   in Loop: Header=BB2_133 Depth=3
	s_andn2_saveexec_b32 s16, s16
; %bb.348:                              ;   in Loop: Header=BB2_133 Depth=3
	v_bfe_u32 v9, v10, 23, 1
; %bb.349:                              ;   in Loop: Header=BB2_133 Depth=3
	s_or_b32 exec_lo, exec_lo, s16
	v_lshrrev_b32_e32 v10, 21, v10
	v_min_i32_e32 v77, 31, v9
	v_cmp_gt_i32_e32 vcc_lo, 32, v9
	v_and_b32_sdwa v8, v8, v98 dst_sel:DWORD dst_unused:UNUSED_PAD src0_sel:BYTE_3 src1_sel:DWORD
	v_lshlrev_b32_e32 v77, 2, v77
	v_cndmask_b32_e32 v10, 3, v10, vcc_lo
	v_and_b32_e32 v77, 0xfc, v77
	v_and_b32_e32 v78, 3, v10
	v_or_b32_e32 v9, v9, v10
	v_or3_b32 v8, v77, v8, v78
	v_cmp_ne_u32_e32 vcc_lo, 0, v9
	v_cndmask_b32_e32 v77, 0, v8, vcc_lo
.LBB2_350:                              ;   in Loop: Header=BB2_133 Depth=3
	s_or_b32 exec_lo, exec_lo, s73
.LBB2_351:                              ;   in Loop: Header=BB2_133 Depth=3
	s_or_b32 exec_lo, exec_lo, s72
	v_cmp_gt_i16_sdwa s72, v11, v97 src0_sel:BYTE_3 src1_sel:DWORD
	s_mov_b32 s16, 0
	s_and_saveexec_b32 s73, s72
	s_xor_b32 s72, exec_lo, s73
	s_cbranch_execz .LBB2_617
; %bb.352:                              ;   in Loop: Header=BB2_133 Depth=3
	v_cmp_eq_u16_sdwa s74, v11, v98 src0_sel:BYTE_3 src1_sel:DWORD
	s_mov_b32 s16, -1
	s_and_saveexec_b32 s73, s74
; %bb.353:                              ;   in Loop: Header=BB2_133 Depth=3
	s_xor_b32 s16, exec_lo, -1
; %bb.354:                              ;   in Loop: Header=BB2_133 Depth=3
	s_or_b32 exec_lo, exec_lo, s73
	s_and_b32 s16, s16, exec_lo
	s_or_saveexec_b32 s72, s72
	v_mov_b32_e32 v8, 0x7f800001
	s_xor_b32 exec_lo, exec_lo, s72
	s_cbranch_execnz .LBB2_618
.LBB2_355:                              ;   in Loop: Header=BB2_133 Depth=3
	s_or_b32 exec_lo, exec_lo, s72
	s_and_saveexec_b32 s72, s16
	s_cbranch_execz .LBB2_357
.LBB2_356:                              ;   in Loop: Header=BB2_133 Depth=3
	v_bfe_u32 v8, v11, 24, 2
	v_bfe_u32 v78, v11, 26, 5
	v_ffbh_u32_e32 v9, v8
	v_cmp_eq_u32_e32 vcc_lo, 0, v78
	v_min_u32_e32 v9, 32, v9
	v_subrev_nc_u32_e32 v10, 29, v9
	v_sub_nc_u32_e32 v9, 30, v9
	v_lshlrev_b32_sdwa v10, v10, v11 dst_sel:DWORD dst_unused:UNUSED_PAD src0_sel:DWORD src1_sel:BYTE_3
	v_cndmask_b32_e32 v9, v78, v9, vcc_lo
	v_and_b32_e32 v10, 3, v10
	v_lshl_add_u32 v9, v9, 23, 0x37800000
	v_cndmask_b32_e32 v8, v8, v10, vcc_lo
	v_and_b32_e32 v10, 0x80000000, v11
	v_lshlrev_b32_e32 v8, 21, v8
	v_or3_b32 v8, v10, v9, v8
.LBB2_357:                              ;   in Loop: Header=BB2_133 Depth=3
	s_or_b32 exec_lo, exec_lo, s72
	v_mul_f32_e32 v8, s63, v8
	v_mov_b32_e32 v78, 0x8000
	s_mov_b32 s72, exec_lo
	v_and_b32_e32 v9, 0x7f800000, v8
	v_cmpx_ne_u32_e32 0x7f800000, v9
	s_cbranch_execz .LBB2_365
; %bb.358:                              ;   in Loop: Header=BB2_133 Depth=3
	v_mov_b32_e32 v78, 0
	s_mov_b32 s73, exec_lo
	v_cmpx_ne_u32_e32 0, v8
	s_cbranch_execz .LBB2_364
; %bb.359:                              ;   in Loop: Header=BB2_133 Depth=3
	v_bfe_u32 v9, v8, 23, 8
	v_and_b32_e32 v10, 0x7fffff, v8
	v_sub_nc_u32_e32 v11, 0x70, v9
	v_cmp_gt_u32_e32 vcc_lo, 0x71, v9
	v_or_b32_e32 v78, 0x800000, v10
	v_cndmask_b32_e32 v11, 0, v11, vcc_lo
	v_cmp_eq_u32_e32 vcc_lo, 0, v9
	v_add_nc_u32_e32 v9, 0xffffff91, v9
	v_cndmask_b32_e64 v11, v11, 0x6f, vcc_lo
	v_cndmask_b32_e32 v10, v78, v10, vcc_lo
	v_cndmask_b32_e64 v9, v9, 0xffffff92, vcc_lo
	v_lshl_add_u32 v78, 0x200000, v11, -1
	v_lshrrev_b32_e32 v79, v11, v10
	v_lshlrev_b32_e64 v89, v11, 0x100000
	v_add_nc_u32_e32 v11, v11, v9
	v_and_b32_e32 v10, v78, v10
	v_bfe_u32 v88, v79, 21, 1
	v_cmp_eq_u32_e64 s16, v10, v89
	v_add_nc_u32_e32 v78, -1, v88
	v_cndmask_b32_e64 v10, 0, v78, s16
	v_lshrrev_b32_e32 v78, 23, v79
	s_mov_b32 s16, exec_lo
	v_add_nc_u32_e32 v10, v10, v79
	v_xor_b32_e32 v78, 1, v78
	v_and_b32_e32 v9, 0x1fffff, v10
	v_add_nc_u32_e32 v10, v9, v79
                                        ; implicit-def: $vgpr9
	v_cmpx_ne_u32_e64 v11, v78
	s_xor_b32 s16, exec_lo, s16
; %bb.360:                              ;   in Loop: Header=BB2_133 Depth=3
	v_cmp_lt_u32_e32 vcc_lo, 0xffffff, v10
	v_sub_nc_u32_e32 v9, v11, v78
	v_cndmask_b32_e64 v11, 0, 1, vcc_lo
	v_add_co_ci_u32_e64 v9, null, 0, v9, vcc_lo
	v_lshrrev_b32_e32 v10, v11, v10
; %bb.361:                              ;   in Loop: Header=BB2_133 Depth=3
	s_andn2_saveexec_b32 s16, s16
; %bb.362:                              ;   in Loop: Header=BB2_133 Depth=3
	v_bfe_u32 v9, v10, 23, 1
; %bb.363:                              ;   in Loop: Header=BB2_133 Depth=3
	s_or_b32 exec_lo, exec_lo, s16
	v_lshrrev_b32_e32 v10, 21, v10
	v_min_i32_e32 v11, 31, v9
	v_cmp_gt_i32_e32 vcc_lo, 32, v9
	v_and_b32_sdwa v8, v8, v98 dst_sel:DWORD dst_unused:UNUSED_PAD src0_sel:BYTE_3 src1_sel:DWORD
	v_lshlrev_b32_e32 v11, 2, v11
	v_cndmask_b32_e32 v10, 3, v10, vcc_lo
	v_and_b32_e32 v11, 0xfc, v11
	v_and_b32_e32 v78, 3, v10
	v_or_b32_e32 v9, v9, v10
	v_or3_b32 v8, v8, v11, v78
	v_cmp_ne_u32_e32 vcc_lo, 0, v9
	v_lshlrev_b32_e32 v8, 8, v8
	v_cndmask_b32_e32 v78, 0, v8, vcc_lo
.LBB2_364:                              ;   in Loop: Header=BB2_133 Depth=3
	s_or_b32 exec_lo, exec_lo, s73
.LBB2_365:                              ;   in Loop: Header=BB2_133 Depth=3
	s_or_b32 exec_lo, exec_lo, s72
	global_load_dwordx4 v[8:11], v[68:69], off offset:512 slc
	s_mov_b32 s16, 0
	s_waitcnt vmcnt(0)
	v_cmp_gt_i16_sdwa s72, v8, v97 src0_sel:BYTE_0 src1_sel:DWORD
	s_and_saveexec_b32 s73, s72
	s_xor_b32 s72, exec_lo, s73
	s_cbranch_execz .LBB2_619
; %bb.366:                              ;   in Loop: Header=BB2_133 Depth=3
	v_cmp_eq_u16_sdwa s74, v8, v98 src0_sel:BYTE_0 src1_sel:DWORD
	s_mov_b32 s16, -1
	s_and_saveexec_b32 s73, s74
; %bb.367:                              ;   in Loop: Header=BB2_133 Depth=3
	s_xor_b32 s16, exec_lo, -1
; %bb.368:                              ;   in Loop: Header=BB2_133 Depth=3
	s_or_b32 exec_lo, exec_lo, s73
	s_and_b32 s16, s16, exec_lo
	s_or_saveexec_b32 s72, s72
	v_mov_b32_e32 v68, 0x7f800001
	s_xor_b32 exec_lo, exec_lo, s72
	s_cbranch_execnz .LBB2_620
.LBB2_369:                              ;   in Loop: Header=BB2_133 Depth=3
	s_or_b32 exec_lo, exec_lo, s72
	s_and_saveexec_b32 s72, s16
	s_cbranch_execz .LBB2_371
.LBB2_370:                              ;   in Loop: Header=BB2_133 Depth=3
	v_and_b32_e32 v68, 3, v8
	v_bfe_u32 v88, v8, 2, 5
	v_lshlrev_b32_e32 v89, 24, v8
	v_ffbh_u32_e32 v69, v68
	v_cmp_eq_u32_e32 vcc_lo, 0, v88
	v_min_u32_e32 v69, 32, v69
	v_subrev_nc_u32_e32 v79, 29, v69
	v_sub_nc_u32_e32 v69, 30, v69
	v_lshlrev_b32_e32 v79, v79, v8
	v_cndmask_b32_e32 v69, v88, v69, vcc_lo
	v_and_b32_e32 v79, 3, v79
	v_lshl_add_u32 v69, v69, 23, 0x37800000
	v_cndmask_b32_e32 v68, v68, v79, vcc_lo
	v_and_b32_e32 v79, 0x80000000, v89
	v_lshlrev_b32_e32 v68, 21, v68
	v_or3_b32 v68, v79, v69, v68
.LBB2_371:                              ;   in Loop: Header=BB2_133 Depth=3
	s_or_b32 exec_lo, exec_lo, s72
	v_mul_f32_e32 v69, s63, v68
	v_and_b32_e32 v68, 0x7f800000, v69
	v_cmp_ne_u32_e32 vcc_lo, 0x7f800000, v68
	v_mov_b32_e32 v68, 0x80
	s_and_saveexec_b32 s72, vcc_lo
	s_cbranch_execz .LBB2_379
; %bb.372:                              ;   in Loop: Header=BB2_133 Depth=3
	v_mov_b32_e32 v68, 0
	s_mov_b32 s73, exec_lo
	v_cmpx_ne_u32_e32 0, v69
	s_cbranch_execz .LBB2_378
; %bb.373:                              ;   in Loop: Header=BB2_133 Depth=3
	v_bfe_u32 v68, v69, 23, 8
	v_and_b32_e32 v79, 0x7fffff, v69
	v_sub_nc_u32_e32 v88, 0x70, v68
	v_cmp_gt_u32_e32 vcc_lo, 0x71, v68
	v_or_b32_e32 v89, 0x800000, v79
	v_cndmask_b32_e32 v88, 0, v88, vcc_lo
	v_cmp_eq_u32_e32 vcc_lo, 0, v68
	v_add_nc_u32_e32 v68, 0xffffff91, v68
	v_cndmask_b32_e64 v88, v88, 0x6f, vcc_lo
	v_cndmask_b32_e32 v79, v89, v79, vcc_lo
	v_cndmask_b32_e64 v68, v68, 0xffffff92, vcc_lo
	v_lshl_add_u32 v89, 0x200000, v88, -1
	v_lshrrev_b32_e32 v90, v88, v79
	v_lshlrev_b32_e64 v92, v88, 0x100000
	v_add_nc_u32_e32 v88, v88, v68
	v_and_b32_e32 v79, v89, v79
	v_bfe_u32 v91, v90, 21, 1
	v_cmp_eq_u32_e64 s16, v79, v92
	v_add_nc_u32_e32 v89, -1, v91
	v_cndmask_b32_e64 v79, 0, v89, s16
	v_lshrrev_b32_e32 v89, 23, v90
	s_mov_b32 s16, exec_lo
	v_add_nc_u32_e32 v79, v79, v90
	v_xor_b32_e32 v89, 1, v89
	v_and_b32_e32 v68, 0x1fffff, v79
	v_add_nc_u32_e32 v79, v68, v90
                                        ; implicit-def: $vgpr68
	v_cmpx_ne_u32_e64 v88, v89
	s_xor_b32 s16, exec_lo, s16
; %bb.374:                              ;   in Loop: Header=BB2_133 Depth=3
	v_cmp_lt_u32_e32 vcc_lo, 0xffffff, v79
	v_sub_nc_u32_e32 v68, v88, v89
	v_cndmask_b32_e64 v88, 0, 1, vcc_lo
	v_add_co_ci_u32_e64 v68, null, 0, v68, vcc_lo
	v_lshrrev_b32_e32 v79, v88, v79
; %bb.375:                              ;   in Loop: Header=BB2_133 Depth=3
	s_andn2_saveexec_b32 s16, s16
; %bb.376:                              ;   in Loop: Header=BB2_133 Depth=3
	v_bfe_u32 v68, v79, 23, 1
; %bb.377:                              ;   in Loop: Header=BB2_133 Depth=3
	s_or_b32 exec_lo, exec_lo, s16
	v_lshrrev_b32_e32 v79, 21, v79
	v_min_i32_e32 v88, 31, v68
	v_cmp_gt_i32_e32 vcc_lo, 32, v68
	v_and_b32_sdwa v69, v69, v98 dst_sel:DWORD dst_unused:UNUSED_PAD src0_sel:BYTE_3 src1_sel:DWORD
	v_lshlrev_b32_e32 v88, 2, v88
	v_cndmask_b32_e32 v79, 3, v79, vcc_lo
	v_and_b32_e32 v88, 0xfc, v88
	v_and_b32_e32 v89, 3, v79
	v_or_b32_e32 v68, v68, v79
	v_or3_b32 v69, v88, v69, v89
	v_cmp_ne_u32_e32 vcc_lo, 0, v68
	v_cndmask_b32_e32 v68, 0, v69, vcc_lo
.LBB2_378:                              ;   in Loop: Header=BB2_133 Depth=3
	s_or_b32 exec_lo, exec_lo, s73
.LBB2_379:                              ;   in Loop: Header=BB2_133 Depth=3
	s_or_b32 exec_lo, exec_lo, s72
	v_cmp_gt_i16_sdwa s72, v8, v97 src0_sel:BYTE_1 src1_sel:DWORD
	s_mov_b32 s16, 0
	s_and_saveexec_b32 s73, s72
	s_xor_b32 s72, exec_lo, s73
	s_cbranch_execz .LBB2_621
; %bb.380:                              ;   in Loop: Header=BB2_133 Depth=3
	v_cmp_eq_u16_sdwa s74, v8, v98 src0_sel:BYTE_1 src1_sel:DWORD
	s_mov_b32 s16, -1
	s_and_saveexec_b32 s73, s74
; %bb.381:                              ;   in Loop: Header=BB2_133 Depth=3
	s_xor_b32 s16, exec_lo, -1
; %bb.382:                              ;   in Loop: Header=BB2_133 Depth=3
	s_or_b32 exec_lo, exec_lo, s73
	s_and_b32 s16, s16, exec_lo
	s_or_saveexec_b32 s72, s72
	v_mov_b32_e32 v69, 0x7f800001
	s_xor_b32 exec_lo, exec_lo, s72
	s_cbranch_execnz .LBB2_622
.LBB2_383:                              ;   in Loop: Header=BB2_133 Depth=3
	s_or_b32 exec_lo, exec_lo, s72
	s_and_saveexec_b32 s72, s16
	s_cbranch_execz .LBB2_385
.LBB2_384:                              ;   in Loop: Header=BB2_133 Depth=3
	v_and_b32_sdwa v69, v99, v8 dst_sel:DWORD dst_unused:UNUSED_PAD src0_sel:DWORD src1_sel:BYTE_1
	v_and_b32_e32 v79, 3, v69
	v_bfe_u32 v90, v69, 2, 5
	v_ffbh_u32_e32 v88, v79
	v_cmp_eq_u32_e32 vcc_lo, 0, v90
	v_min_u32_e32 v88, 32, v88
	v_subrev_nc_u32_e32 v89, 29, v88
	v_sub_nc_u32_e32 v88, 30, v88
	v_lshlrev_b32_e32 v69, v89, v69
	v_lshlrev_b32_sdwa v89, v100, v8 dst_sel:DWORD dst_unused:UNUSED_PAD src0_sel:DWORD src1_sel:BYTE_1
	v_cndmask_b32_e32 v88, v90, v88, vcc_lo
	v_and_b32_e32 v69, 3, v69
	v_lshl_add_u32 v88, v88, 23, 0x37800000
	v_cndmask_b32_e32 v69, v79, v69, vcc_lo
	v_and_b32_e32 v79, 0x80000000, v89
	v_lshlrev_b32_e32 v69, 21, v69
	v_or3_b32 v69, v79, v88, v69
.LBB2_385:                              ;   in Loop: Header=BB2_133 Depth=3
	s_or_b32 exec_lo, exec_lo, s72
	v_mul_f32_e32 v79, s63, v69
	v_and_b32_e32 v69, 0x7f800000, v79
	v_cmp_ne_u32_e32 vcc_lo, 0x7f800000, v69
	v_mov_b32_e32 v69, 0x8000
	s_and_saveexec_b32 s72, vcc_lo
	s_cbranch_execz .LBB2_393
; %bb.386:                              ;   in Loop: Header=BB2_133 Depth=3
	v_mov_b32_e32 v69, 0
	s_mov_b32 s73, exec_lo
	v_cmpx_ne_u32_e32 0, v79
	s_cbranch_execz .LBB2_392
; %bb.387:                              ;   in Loop: Header=BB2_133 Depth=3
	v_bfe_u32 v69, v79, 23, 8
	v_and_b32_e32 v88, 0x7fffff, v79
	v_sub_nc_u32_e32 v89, 0x70, v69
	v_cmp_gt_u32_e32 vcc_lo, 0x71, v69
	v_or_b32_e32 v90, 0x800000, v88
	v_cndmask_b32_e32 v89, 0, v89, vcc_lo
	v_cmp_eq_u32_e32 vcc_lo, 0, v69
	v_add_nc_u32_e32 v69, 0xffffff91, v69
	v_cndmask_b32_e64 v89, v89, 0x6f, vcc_lo
	v_cndmask_b32_e32 v88, v90, v88, vcc_lo
	v_cndmask_b32_e64 v69, v69, 0xffffff92, vcc_lo
	v_lshl_add_u32 v90, 0x200000, v89, -1
	v_lshrrev_b32_e32 v91, v89, v88
	v_lshlrev_b32_e64 v93, v89, 0x100000
	v_add_nc_u32_e32 v89, v89, v69
	v_and_b32_e32 v88, v90, v88
	v_bfe_u32 v92, v91, 21, 1
	v_cmp_eq_u32_e64 s16, v88, v93
	v_add_nc_u32_e32 v90, -1, v92
	v_cndmask_b32_e64 v88, 0, v90, s16
	v_lshrrev_b32_e32 v90, 23, v91
	s_mov_b32 s16, exec_lo
	v_add_nc_u32_e32 v88, v88, v91
	v_xor_b32_e32 v90, 1, v90
	v_and_b32_e32 v69, 0x1fffff, v88
	v_add_nc_u32_e32 v88, v69, v91
                                        ; implicit-def: $vgpr69
	v_cmpx_ne_u32_e64 v89, v90
	s_xor_b32 s16, exec_lo, s16
; %bb.388:                              ;   in Loop: Header=BB2_133 Depth=3
	v_cmp_lt_u32_e32 vcc_lo, 0xffffff, v88
	v_sub_nc_u32_e32 v69, v89, v90
	v_cndmask_b32_e64 v89, 0, 1, vcc_lo
	v_add_co_ci_u32_e64 v69, null, 0, v69, vcc_lo
	v_lshrrev_b32_e32 v88, v89, v88
; %bb.389:                              ;   in Loop: Header=BB2_133 Depth=3
	s_andn2_saveexec_b32 s16, s16
; %bb.390:                              ;   in Loop: Header=BB2_133 Depth=3
	v_bfe_u32 v69, v88, 23, 1
; %bb.391:                              ;   in Loop: Header=BB2_133 Depth=3
	s_or_b32 exec_lo, exec_lo, s16
	v_lshrrev_b32_e32 v88, 21, v88
	v_min_i32_e32 v89, 31, v69
	v_cmp_gt_i32_e32 vcc_lo, 32, v69
	v_and_b32_sdwa v79, v79, v98 dst_sel:DWORD dst_unused:UNUSED_PAD src0_sel:BYTE_3 src1_sel:DWORD
	v_lshlrev_b32_e32 v89, 2, v89
	v_cndmask_b32_e32 v88, 3, v88, vcc_lo
	v_and_b32_e32 v89, 0xfc, v89
	v_and_b32_e32 v90, 3, v88
	v_or_b32_e32 v69, v69, v88
	v_or3_b32 v79, v79, v89, v90
	v_cmp_ne_u32_e32 vcc_lo, 0, v69
	v_lshlrev_b32_e32 v79, 8, v79
	v_cndmask_b32_e32 v69, 0, v79, vcc_lo
.LBB2_392:                              ;   in Loop: Header=BB2_133 Depth=3
	s_or_b32 exec_lo, exec_lo, s73
.LBB2_393:                              ;   in Loop: Header=BB2_133 Depth=3
	s_or_b32 exec_lo, exec_lo, s72
	v_and_b32_sdwa v88, v8, v101 dst_sel:DWORD dst_unused:UNUSED_PAD src0_sel:WORD_1 src1_sel:DWORD
	s_mov_b32 s16, 0
	s_mov_b32 s72, exec_lo
	v_cmpx_lt_i16_e32 0x7f, v88
	s_xor_b32 s72, exec_lo, s72
	s_cbranch_execz .LBB2_623
; %bb.394:                              ;   in Loop: Header=BB2_133 Depth=3
	s_mov_b32 s16, -1
	s_mov_b32 s73, exec_lo
	v_cmpx_eq_u16_e32 0x80, v88
; %bb.395:                              ;   in Loop: Header=BB2_133 Depth=3
	s_xor_b32 s16, exec_lo, -1
; %bb.396:                              ;   in Loop: Header=BB2_133 Depth=3
	s_or_b32 exec_lo, exec_lo, s73
	s_and_b32 s16, s16, exec_lo
                                        ; implicit-def: $vgpr88
	s_or_saveexec_b32 s72, s72
	v_mov_b32_e32 v79, 0x7f800001
	s_xor_b32 exec_lo, exec_lo, s72
	s_cbranch_execnz .LBB2_624
.LBB2_397:                              ;   in Loop: Header=BB2_133 Depth=3
	s_or_b32 exec_lo, exec_lo, s72
	s_and_saveexec_b32 s72, s16
	s_cbranch_execz .LBB2_399
.LBB2_398:                              ;   in Loop: Header=BB2_133 Depth=3
	v_bfe_u32 v79, v8, 16, 2
	v_bfe_u32 v90, v8, 18, 5
	v_lshlrev_b32_e32 v91, 8, v8
	v_ffbh_u32_e32 v88, v79
	v_cmp_eq_u32_e32 vcc_lo, 0, v90
	v_min_u32_e32 v88, 32, v88
	v_subrev_nc_u32_e32 v89, 29, v88
	v_sub_nc_u32_e32 v88, 30, v88
	v_lshlrev_b32_sdwa v89, v89, v8 dst_sel:DWORD dst_unused:UNUSED_PAD src0_sel:DWORD src1_sel:WORD_1
	v_cndmask_b32_e32 v88, v90, v88, vcc_lo
	v_and_b32_e32 v89, 3, v89
	v_lshl_add_u32 v88, v88, 23, 0x37800000
	v_cndmask_b32_e32 v79, v79, v89, vcc_lo
	v_and_b32_e32 v89, 0x80000000, v91
	v_lshlrev_b32_e32 v79, 21, v79
	v_or3_b32 v79, v89, v88, v79
.LBB2_399:                              ;   in Loop: Header=BB2_133 Depth=3
	s_or_b32 exec_lo, exec_lo, s72
	v_mul_f32_e32 v88, s63, v79
	v_and_b32_e32 v79, 0x7f800000, v88
	v_cmp_ne_u32_e32 vcc_lo, 0x7f800000, v79
	v_mov_b32_e32 v79, 0x80
	s_and_saveexec_b32 s72, vcc_lo
	s_cbranch_execz .LBB2_407
; %bb.400:                              ;   in Loop: Header=BB2_133 Depth=3
	v_mov_b32_e32 v79, 0
	s_mov_b32 s73, exec_lo
	v_cmpx_ne_u32_e32 0, v88
	s_cbranch_execz .LBB2_406
; %bb.401:                              ;   in Loop: Header=BB2_133 Depth=3
	v_bfe_u32 v79, v88, 23, 8
	v_and_b32_e32 v89, 0x7fffff, v88
	v_sub_nc_u32_e32 v90, 0x70, v79
	v_cmp_gt_u32_e32 vcc_lo, 0x71, v79
	v_or_b32_e32 v91, 0x800000, v89
	v_cndmask_b32_e32 v90, 0, v90, vcc_lo
	v_cmp_eq_u32_e32 vcc_lo, 0, v79
	v_add_nc_u32_e32 v79, 0xffffff91, v79
	v_cndmask_b32_e64 v90, v90, 0x6f, vcc_lo
	v_cndmask_b32_e32 v89, v91, v89, vcc_lo
	v_cndmask_b32_e64 v79, v79, 0xffffff92, vcc_lo
	v_lshl_add_u32 v91, 0x200000, v90, -1
	v_lshrrev_b32_e32 v92, v90, v89
	v_lshlrev_b32_e64 v94, v90, 0x100000
	v_add_nc_u32_e32 v90, v90, v79
	v_and_b32_e32 v89, v91, v89
	v_bfe_u32 v93, v92, 21, 1
	v_cmp_eq_u32_e64 s16, v89, v94
	v_add_nc_u32_e32 v91, -1, v93
	v_cndmask_b32_e64 v89, 0, v91, s16
	v_lshrrev_b32_e32 v91, 23, v92
	s_mov_b32 s16, exec_lo
	v_add_nc_u32_e32 v89, v89, v92
	v_xor_b32_e32 v91, 1, v91
	v_and_b32_e32 v79, 0x1fffff, v89
	v_add_nc_u32_e32 v89, v79, v92
                                        ; implicit-def: $vgpr79
	v_cmpx_ne_u32_e64 v90, v91
	s_xor_b32 s16, exec_lo, s16
; %bb.402:                              ;   in Loop: Header=BB2_133 Depth=3
	v_cmp_lt_u32_e32 vcc_lo, 0xffffff, v89
	v_sub_nc_u32_e32 v79, v90, v91
	v_cndmask_b32_e64 v90, 0, 1, vcc_lo
	v_add_co_ci_u32_e64 v79, null, 0, v79, vcc_lo
	v_lshrrev_b32_e32 v89, v90, v89
; %bb.403:                              ;   in Loop: Header=BB2_133 Depth=3
	s_andn2_saveexec_b32 s16, s16
; %bb.404:                              ;   in Loop: Header=BB2_133 Depth=3
	v_bfe_u32 v79, v89, 23, 1
; %bb.405:                              ;   in Loop: Header=BB2_133 Depth=3
	s_or_b32 exec_lo, exec_lo, s16
	v_lshrrev_b32_e32 v89, 21, v89
	v_min_i32_e32 v90, 31, v79
	v_cmp_gt_i32_e32 vcc_lo, 32, v79
	v_and_b32_sdwa v88, v88, v98 dst_sel:DWORD dst_unused:UNUSED_PAD src0_sel:BYTE_3 src1_sel:DWORD
	v_lshlrev_b32_e32 v90, 2, v90
	v_cndmask_b32_e32 v89, 3, v89, vcc_lo
	v_and_b32_e32 v90, 0xfc, v90
	v_and_b32_e32 v91, 3, v89
	v_or_b32_e32 v79, v79, v89
	v_or3_b32 v88, v90, v88, v91
	v_cmp_ne_u32_e32 vcc_lo, 0, v79
	v_cndmask_b32_e32 v79, 0, v88, vcc_lo
.LBB2_406:                              ;   in Loop: Header=BB2_133 Depth=3
	s_or_b32 exec_lo, exec_lo, s73
.LBB2_407:                              ;   in Loop: Header=BB2_133 Depth=3
	s_or_b32 exec_lo, exec_lo, s72
	v_cmp_gt_i16_sdwa s72, v8, v97 src0_sel:BYTE_3 src1_sel:DWORD
	s_mov_b32 s16, 0
	s_and_saveexec_b32 s73, s72
	s_xor_b32 s72, exec_lo, s73
	s_cbranch_execz .LBB2_625
; %bb.408:                              ;   in Loop: Header=BB2_133 Depth=3
	v_cmp_eq_u16_sdwa s74, v8, v98 src0_sel:BYTE_3 src1_sel:DWORD
	s_mov_b32 s16, -1
	s_and_saveexec_b32 s73, s74
; %bb.409:                              ;   in Loop: Header=BB2_133 Depth=3
	s_xor_b32 s16, exec_lo, -1
; %bb.410:                              ;   in Loop: Header=BB2_133 Depth=3
	s_or_b32 exec_lo, exec_lo, s73
	s_and_b32 s16, s16, exec_lo
	s_or_saveexec_b32 s72, s72
	v_mov_b32_e32 v88, 0x7f800001
	s_xor_b32 exec_lo, exec_lo, s72
	s_cbranch_execnz .LBB2_626
.LBB2_411:                              ;   in Loop: Header=BB2_133 Depth=3
	s_or_b32 exec_lo, exec_lo, s72
	s_and_saveexec_b32 s72, s16
	s_cbranch_execz .LBB2_413
.LBB2_412:                              ;   in Loop: Header=BB2_133 Depth=3
	v_bfe_u32 v88, v8, 24, 2
	v_bfe_u32 v91, v8, 26, 5
	v_ffbh_u32_e32 v89, v88
	v_cmp_eq_u32_e32 vcc_lo, 0, v91
	v_min_u32_e32 v89, 32, v89
	v_subrev_nc_u32_e32 v90, 29, v89
	v_sub_nc_u32_e32 v89, 30, v89
	v_lshlrev_b32_sdwa v90, v90, v8 dst_sel:DWORD dst_unused:UNUSED_PAD src0_sel:DWORD src1_sel:BYTE_3
	v_cndmask_b32_e32 v89, v91, v89, vcc_lo
	v_and_b32_e32 v8, 0x80000000, v8
	v_and_b32_e32 v90, 3, v90
	v_lshl_add_u32 v89, v89, 23, 0x37800000
	v_cndmask_b32_e32 v88, v88, v90, vcc_lo
	v_lshlrev_b32_e32 v88, 21, v88
	v_or3_b32 v88, v8, v89, v88
.LBB2_413:                              ;   in Loop: Header=BB2_133 Depth=3
	s_or_b32 exec_lo, exec_lo, s72
	v_mul_f32_e32 v88, s63, v88
	v_and_b32_e32 v8, 0x7f800000, v88
	v_cmp_ne_u32_e32 vcc_lo, 0x7f800000, v8
	v_mov_b32_e32 v8, 0x8000
	s_and_saveexec_b32 s72, vcc_lo
	s_cbranch_execz .LBB2_421
; %bb.414:                              ;   in Loop: Header=BB2_133 Depth=3
	v_mov_b32_e32 v8, 0
	s_mov_b32 s73, exec_lo
	v_cmpx_ne_u32_e32 0, v88
	s_cbranch_execz .LBB2_420
; %bb.415:                              ;   in Loop: Header=BB2_133 Depth=3
	v_bfe_u32 v8, v88, 23, 8
	v_and_b32_e32 v89, 0x7fffff, v88
	v_sub_nc_u32_e32 v90, 0x70, v8
	v_cmp_gt_u32_e32 vcc_lo, 0x71, v8
	v_or_b32_e32 v91, 0x800000, v89
	v_cndmask_b32_e32 v90, 0, v90, vcc_lo
	v_cmp_eq_u32_e32 vcc_lo, 0, v8
	v_add_nc_u32_e32 v8, 0xffffff91, v8
	v_cndmask_b32_e64 v90, v90, 0x6f, vcc_lo
	v_cndmask_b32_e32 v89, v91, v89, vcc_lo
	v_cndmask_b32_e64 v8, v8, 0xffffff92, vcc_lo
	v_lshl_add_u32 v91, 0x200000, v90, -1
	v_lshrrev_b32_e32 v92, v90, v89
	v_lshlrev_b32_e64 v94, v90, 0x100000
	v_add_nc_u32_e32 v90, v90, v8
	v_and_b32_e32 v89, v91, v89
	v_bfe_u32 v93, v92, 21, 1
	v_cmp_eq_u32_e64 s16, v89, v94
	v_add_nc_u32_e32 v91, -1, v93
	v_cndmask_b32_e64 v89, 0, v91, s16
	v_lshrrev_b32_e32 v91, 23, v92
	s_mov_b32 s16, exec_lo
	v_add_nc_u32_e32 v89, v89, v92
	v_xor_b32_e32 v91, 1, v91
	v_and_b32_e32 v8, 0x1fffff, v89
	v_add_nc_u32_e32 v89, v8, v92
                                        ; implicit-def: $vgpr8
	v_cmpx_ne_u32_e64 v90, v91
	s_xor_b32 s16, exec_lo, s16
; %bb.416:                              ;   in Loop: Header=BB2_133 Depth=3
	v_cmp_lt_u32_e32 vcc_lo, 0xffffff, v89
	v_sub_nc_u32_e32 v8, v90, v91
	v_cndmask_b32_e64 v90, 0, 1, vcc_lo
	v_add_co_ci_u32_e64 v8, null, 0, v8, vcc_lo
	v_lshrrev_b32_e32 v89, v90, v89
; %bb.417:                              ;   in Loop: Header=BB2_133 Depth=3
	s_andn2_saveexec_b32 s16, s16
; %bb.418:                              ;   in Loop: Header=BB2_133 Depth=3
	v_bfe_u32 v8, v89, 23, 1
; %bb.419:                              ;   in Loop: Header=BB2_133 Depth=3
	s_or_b32 exec_lo, exec_lo, s16
	v_lshrrev_b32_e32 v89, 21, v89
	v_min_i32_e32 v90, 31, v8
	v_cmp_gt_i32_e32 vcc_lo, 32, v8
	v_and_b32_sdwa v88, v88, v98 dst_sel:DWORD dst_unused:UNUSED_PAD src0_sel:BYTE_3 src1_sel:DWORD
	v_lshlrev_b32_e32 v90, 2, v90
	v_cndmask_b32_e32 v89, 3, v89, vcc_lo
	v_and_b32_e32 v90, 0xfc, v90
	v_and_b32_e32 v91, 3, v89
	v_or_b32_e32 v8, v8, v89
	v_or3_b32 v88, v88, v90, v91
	v_cmp_ne_u32_e32 vcc_lo, 0, v8
	v_lshlrev_b32_e32 v88, 8, v88
	v_cndmask_b32_e32 v8, 0, v88, vcc_lo
.LBB2_420:                              ;   in Loop: Header=BB2_133 Depth=3
	s_or_b32 exec_lo, exec_lo, s73
.LBB2_421:                              ;   in Loop: Header=BB2_133 Depth=3
	s_or_b32 exec_lo, exec_lo, s72
	v_cmp_gt_i16_sdwa s72, v9, v97 src0_sel:BYTE_0 src1_sel:DWORD
	s_mov_b32 s16, 0
	s_and_saveexec_b32 s73, s72
	s_xor_b32 s72, exec_lo, s73
	s_cbranch_execz .LBB2_627
; %bb.422:                              ;   in Loop: Header=BB2_133 Depth=3
	v_cmp_eq_u16_sdwa s74, v9, v98 src0_sel:BYTE_0 src1_sel:DWORD
	s_mov_b32 s16, -1
	s_and_saveexec_b32 s73, s74
; %bb.423:                              ;   in Loop: Header=BB2_133 Depth=3
	s_xor_b32 s16, exec_lo, -1
; %bb.424:                              ;   in Loop: Header=BB2_133 Depth=3
	s_or_b32 exec_lo, exec_lo, s73
	s_and_b32 s16, s16, exec_lo
	s_or_saveexec_b32 s72, s72
	v_mov_b32_e32 v88, 0x7f800001
	s_xor_b32 exec_lo, exec_lo, s72
	s_cbranch_execnz .LBB2_628
.LBB2_425:                              ;   in Loop: Header=BB2_133 Depth=3
	s_or_b32 exec_lo, exec_lo, s72
	s_and_saveexec_b32 s72, s16
	s_cbranch_execz .LBB2_427
.LBB2_426:                              ;   in Loop: Header=BB2_133 Depth=3
	v_and_b32_e32 v88, 3, v9
	v_bfe_u32 v91, v9, 2, 5
	v_lshlrev_b32_e32 v92, 24, v9
	v_ffbh_u32_e32 v89, v88
	v_cmp_eq_u32_e32 vcc_lo, 0, v91
	v_min_u32_e32 v89, 32, v89
	v_subrev_nc_u32_e32 v90, 29, v89
	v_sub_nc_u32_e32 v89, 30, v89
	v_lshlrev_b32_e32 v90, v90, v9
	v_cndmask_b32_e32 v89, v91, v89, vcc_lo
	v_and_b32_e32 v90, 3, v90
	v_lshl_add_u32 v89, v89, 23, 0x37800000
	v_cndmask_b32_e32 v88, v88, v90, vcc_lo
	v_and_b32_e32 v90, 0x80000000, v92
	v_lshlrev_b32_e32 v88, 21, v88
	v_or3_b32 v88, v90, v89, v88
.LBB2_427:                              ;   in Loop: Header=BB2_133 Depth=3
	s_or_b32 exec_lo, exec_lo, s72
	v_mul_f32_e32 v89, s63, v88
	v_and_b32_e32 v88, 0x7f800000, v89
	v_cmp_ne_u32_e32 vcc_lo, 0x7f800000, v88
	v_mov_b32_e32 v88, 0x80
	s_and_saveexec_b32 s72, vcc_lo
	s_cbranch_execz .LBB2_435
; %bb.428:                              ;   in Loop: Header=BB2_133 Depth=3
	v_mov_b32_e32 v88, 0
	s_mov_b32 s73, exec_lo
	v_cmpx_ne_u32_e32 0, v89
	s_cbranch_execz .LBB2_434
; %bb.429:                              ;   in Loop: Header=BB2_133 Depth=3
	v_bfe_u32 v88, v89, 23, 8
	v_and_b32_e32 v90, 0x7fffff, v89
	v_sub_nc_u32_e32 v91, 0x70, v88
	v_cmp_gt_u32_e32 vcc_lo, 0x71, v88
	v_or_b32_e32 v92, 0x800000, v90
	v_cndmask_b32_e32 v91, 0, v91, vcc_lo
	v_cmp_eq_u32_e32 vcc_lo, 0, v88
	v_add_nc_u32_e32 v88, 0xffffff91, v88
	v_cndmask_b32_e64 v91, v91, 0x6f, vcc_lo
	v_cndmask_b32_e32 v90, v92, v90, vcc_lo
	v_cndmask_b32_e64 v88, v88, 0xffffff92, vcc_lo
	v_lshl_add_u32 v92, 0x200000, v91, -1
	v_lshrrev_b32_e32 v93, v91, v90
	v_lshlrev_b32_e64 v95, v91, 0x100000
	v_add_nc_u32_e32 v91, v91, v88
	v_and_b32_e32 v90, v92, v90
	v_bfe_u32 v94, v93, 21, 1
	v_cmp_eq_u32_e64 s16, v90, v95
	v_add_nc_u32_e32 v92, -1, v94
	v_cndmask_b32_e64 v90, 0, v92, s16
	v_lshrrev_b32_e32 v92, 23, v93
	s_mov_b32 s16, exec_lo
	v_add_nc_u32_e32 v90, v90, v93
	v_xor_b32_e32 v92, 1, v92
	v_and_b32_e32 v88, 0x1fffff, v90
	v_add_nc_u32_e32 v90, v88, v93
                                        ; implicit-def: $vgpr88
	v_cmpx_ne_u32_e64 v91, v92
	s_xor_b32 s16, exec_lo, s16
; %bb.430:                              ;   in Loop: Header=BB2_133 Depth=3
	v_cmp_lt_u32_e32 vcc_lo, 0xffffff, v90
	v_sub_nc_u32_e32 v88, v91, v92
	v_cndmask_b32_e64 v91, 0, 1, vcc_lo
	v_add_co_ci_u32_e64 v88, null, 0, v88, vcc_lo
	v_lshrrev_b32_e32 v90, v91, v90
; %bb.431:                              ;   in Loop: Header=BB2_133 Depth=3
	s_andn2_saveexec_b32 s16, s16
; %bb.432:                              ;   in Loop: Header=BB2_133 Depth=3
	v_bfe_u32 v88, v90, 23, 1
; %bb.433:                              ;   in Loop: Header=BB2_133 Depth=3
	s_or_b32 exec_lo, exec_lo, s16
	v_lshrrev_b32_e32 v90, 21, v90
	v_min_i32_e32 v91, 31, v88
	v_cmp_gt_i32_e32 vcc_lo, 32, v88
	v_and_b32_sdwa v89, v89, v98 dst_sel:DWORD dst_unused:UNUSED_PAD src0_sel:BYTE_3 src1_sel:DWORD
	v_lshlrev_b32_e32 v91, 2, v91
	v_cndmask_b32_e32 v90, 3, v90, vcc_lo
	v_and_b32_e32 v91, 0xfc, v91
	v_and_b32_e32 v92, 3, v90
	v_or_b32_e32 v88, v88, v90
	v_or3_b32 v89, v91, v89, v92
	v_cmp_ne_u32_e32 vcc_lo, 0, v88
	v_cndmask_b32_e32 v88, 0, v89, vcc_lo
.LBB2_434:                              ;   in Loop: Header=BB2_133 Depth=3
	s_or_b32 exec_lo, exec_lo, s73
.LBB2_435:                              ;   in Loop: Header=BB2_133 Depth=3
	s_or_b32 exec_lo, exec_lo, s72
	v_cmp_gt_i16_sdwa s72, v9, v97 src0_sel:BYTE_1 src1_sel:DWORD
	s_mov_b32 s16, 0
	s_and_saveexec_b32 s73, s72
	s_xor_b32 s72, exec_lo, s73
	s_cbranch_execz .LBB2_629
; %bb.436:                              ;   in Loop: Header=BB2_133 Depth=3
	v_cmp_eq_u16_sdwa s74, v9, v98 src0_sel:BYTE_1 src1_sel:DWORD
	s_mov_b32 s16, -1
	s_and_saveexec_b32 s73, s74
; %bb.437:                              ;   in Loop: Header=BB2_133 Depth=3
	s_xor_b32 s16, exec_lo, -1
; %bb.438:                              ;   in Loop: Header=BB2_133 Depth=3
	s_or_b32 exec_lo, exec_lo, s73
	s_and_b32 s16, s16, exec_lo
	s_or_saveexec_b32 s72, s72
	v_mov_b32_e32 v89, 0x7f800001
	s_xor_b32 exec_lo, exec_lo, s72
	s_cbranch_execnz .LBB2_630
.LBB2_439:                              ;   in Loop: Header=BB2_133 Depth=3
	s_or_b32 exec_lo, exec_lo, s72
	s_and_saveexec_b32 s72, s16
	s_cbranch_execz .LBB2_441
.LBB2_440:                              ;   in Loop: Header=BB2_133 Depth=3
	v_and_b32_sdwa v89, v99, v9 dst_sel:DWORD dst_unused:UNUSED_PAD src0_sel:DWORD src1_sel:BYTE_1
	v_and_b32_e32 v90, 3, v89
	v_bfe_u32 v93, v89, 2, 5
	v_ffbh_u32_e32 v91, v90
	v_cmp_eq_u32_e32 vcc_lo, 0, v93
	v_min_u32_e32 v91, 32, v91
	v_subrev_nc_u32_e32 v92, 29, v91
	v_sub_nc_u32_e32 v91, 30, v91
	v_lshlrev_b32_e32 v89, v92, v89
	v_lshlrev_b32_sdwa v92, v100, v9 dst_sel:DWORD dst_unused:UNUSED_PAD src0_sel:DWORD src1_sel:BYTE_1
	v_cndmask_b32_e32 v91, v93, v91, vcc_lo
	v_and_b32_e32 v89, 3, v89
	v_lshl_add_u32 v91, v91, 23, 0x37800000
	v_cndmask_b32_e32 v89, v90, v89, vcc_lo
	v_and_b32_e32 v90, 0x80000000, v92
	v_lshlrev_b32_e32 v89, 21, v89
	v_or3_b32 v89, v90, v91, v89
.LBB2_441:                              ;   in Loop: Header=BB2_133 Depth=3
	s_or_b32 exec_lo, exec_lo, s72
	v_mul_f32_e32 v90, s63, v89
	v_and_b32_e32 v89, 0x7f800000, v90
	v_cmp_ne_u32_e32 vcc_lo, 0x7f800000, v89
	v_mov_b32_e32 v89, 0x8000
	s_and_saveexec_b32 s72, vcc_lo
	s_cbranch_execz .LBB2_449
; %bb.442:                              ;   in Loop: Header=BB2_133 Depth=3
	v_mov_b32_e32 v89, 0
	s_mov_b32 s73, exec_lo
	v_cmpx_ne_u32_e32 0, v90
	s_cbranch_execz .LBB2_448
; %bb.443:                              ;   in Loop: Header=BB2_133 Depth=3
	v_bfe_u32 v89, v90, 23, 8
	v_and_b32_e32 v91, 0x7fffff, v90
	v_sub_nc_u32_e32 v92, 0x70, v89
	v_cmp_gt_u32_e32 vcc_lo, 0x71, v89
	v_or_b32_e32 v93, 0x800000, v91
	v_cndmask_b32_e32 v92, 0, v92, vcc_lo
	v_cmp_eq_u32_e32 vcc_lo, 0, v89
	v_add_nc_u32_e32 v89, 0xffffff91, v89
	v_cndmask_b32_e64 v92, v92, 0x6f, vcc_lo
	v_cndmask_b32_e32 v91, v93, v91, vcc_lo
	v_cndmask_b32_e64 v89, v89, 0xffffff92, vcc_lo
	v_lshl_add_u32 v93, 0x200000, v92, -1
	v_lshrrev_b32_e32 v94, v92, v91
	v_lshlrev_b32_e64 v104, v92, 0x100000
	v_add_nc_u32_e32 v92, v92, v89
	v_and_b32_e32 v91, v93, v91
	v_bfe_u32 v95, v94, 21, 1
	v_cmp_eq_u32_e64 s16, v91, v104
	v_add_nc_u32_e32 v93, -1, v95
	v_cndmask_b32_e64 v91, 0, v93, s16
	v_lshrrev_b32_e32 v93, 23, v94
	s_mov_b32 s16, exec_lo
	v_add_nc_u32_e32 v91, v91, v94
	v_xor_b32_e32 v93, 1, v93
	v_and_b32_e32 v89, 0x1fffff, v91
	v_add_nc_u32_e32 v91, v89, v94
                                        ; implicit-def: $vgpr89
	v_cmpx_ne_u32_e64 v92, v93
	s_xor_b32 s16, exec_lo, s16
; %bb.444:                              ;   in Loop: Header=BB2_133 Depth=3
	v_cmp_lt_u32_e32 vcc_lo, 0xffffff, v91
	v_sub_nc_u32_e32 v89, v92, v93
	v_cndmask_b32_e64 v92, 0, 1, vcc_lo
	v_add_co_ci_u32_e64 v89, null, 0, v89, vcc_lo
	v_lshrrev_b32_e32 v91, v92, v91
; %bb.445:                              ;   in Loop: Header=BB2_133 Depth=3
	s_andn2_saveexec_b32 s16, s16
; %bb.446:                              ;   in Loop: Header=BB2_133 Depth=3
	v_bfe_u32 v89, v91, 23, 1
; %bb.447:                              ;   in Loop: Header=BB2_133 Depth=3
	s_or_b32 exec_lo, exec_lo, s16
	v_lshrrev_b32_e32 v91, 21, v91
	v_min_i32_e32 v92, 31, v89
	v_cmp_gt_i32_e32 vcc_lo, 32, v89
	v_and_b32_sdwa v90, v90, v98 dst_sel:DWORD dst_unused:UNUSED_PAD src0_sel:BYTE_3 src1_sel:DWORD
	v_lshlrev_b32_e32 v92, 2, v92
	v_cndmask_b32_e32 v91, 3, v91, vcc_lo
	v_and_b32_e32 v92, 0xfc, v92
	v_and_b32_e32 v93, 3, v91
	v_or_b32_e32 v89, v89, v91
	v_or3_b32 v90, v90, v92, v93
	v_cmp_ne_u32_e32 vcc_lo, 0, v89
	v_lshlrev_b32_e32 v90, 8, v90
	v_cndmask_b32_e32 v89, 0, v90, vcc_lo
.LBB2_448:                              ;   in Loop: Header=BB2_133 Depth=3
	s_or_b32 exec_lo, exec_lo, s73
.LBB2_449:                              ;   in Loop: Header=BB2_133 Depth=3
	s_or_b32 exec_lo, exec_lo, s72
	v_and_b32_sdwa v91, v9, v101 dst_sel:DWORD dst_unused:UNUSED_PAD src0_sel:WORD_1 src1_sel:DWORD
	s_mov_b32 s16, 0
	s_mov_b32 s72, exec_lo
	v_cmpx_lt_i16_e32 0x7f, v91
	s_xor_b32 s72, exec_lo, s72
	s_cbranch_execz .LBB2_631
; %bb.450:                              ;   in Loop: Header=BB2_133 Depth=3
	s_mov_b32 s16, -1
	s_mov_b32 s73, exec_lo
	v_cmpx_eq_u16_e32 0x80, v91
; %bb.451:                              ;   in Loop: Header=BB2_133 Depth=3
	s_xor_b32 s16, exec_lo, -1
; %bb.452:                              ;   in Loop: Header=BB2_133 Depth=3
	s_or_b32 exec_lo, exec_lo, s73
	s_and_b32 s16, s16, exec_lo
                                        ; implicit-def: $vgpr91
	s_or_saveexec_b32 s72, s72
	v_mov_b32_e32 v90, 0x7f800001
	s_xor_b32 exec_lo, exec_lo, s72
	s_cbranch_execnz .LBB2_632
.LBB2_453:                              ;   in Loop: Header=BB2_133 Depth=3
	s_or_b32 exec_lo, exec_lo, s72
	s_and_saveexec_b32 s72, s16
	s_cbranch_execz .LBB2_455
.LBB2_454:                              ;   in Loop: Header=BB2_133 Depth=3
	v_bfe_u32 v90, v9, 16, 2
	v_bfe_u32 v93, v9, 18, 5
	v_lshlrev_b32_e32 v94, 8, v9
	v_ffbh_u32_e32 v91, v90
	v_cmp_eq_u32_e32 vcc_lo, 0, v93
	v_min_u32_e32 v91, 32, v91
	v_subrev_nc_u32_e32 v92, 29, v91
	v_sub_nc_u32_e32 v91, 30, v91
	v_lshlrev_b32_sdwa v92, v92, v9 dst_sel:DWORD dst_unused:UNUSED_PAD src0_sel:DWORD src1_sel:WORD_1
	v_cndmask_b32_e32 v91, v93, v91, vcc_lo
	v_and_b32_e32 v92, 3, v92
	v_lshl_add_u32 v91, v91, 23, 0x37800000
	v_cndmask_b32_e32 v90, v90, v92, vcc_lo
	v_and_b32_e32 v92, 0x80000000, v94
	v_lshlrev_b32_e32 v90, 21, v90
	v_or3_b32 v90, v92, v91, v90
.LBB2_455:                              ;   in Loop: Header=BB2_133 Depth=3
	s_or_b32 exec_lo, exec_lo, s72
	v_mul_f32_e32 v91, s63, v90
	v_and_b32_e32 v90, 0x7f800000, v91
	v_cmp_ne_u32_e32 vcc_lo, 0x7f800000, v90
	v_mov_b32_e32 v90, 0x80
	s_and_saveexec_b32 s72, vcc_lo
	s_cbranch_execz .LBB2_463
; %bb.456:                              ;   in Loop: Header=BB2_133 Depth=3
	v_mov_b32_e32 v90, 0
	s_mov_b32 s73, exec_lo
	v_cmpx_ne_u32_e32 0, v91
	s_cbranch_execz .LBB2_462
; %bb.457:                              ;   in Loop: Header=BB2_133 Depth=3
	v_bfe_u32 v90, v91, 23, 8
	v_and_b32_e32 v92, 0x7fffff, v91
	v_sub_nc_u32_e32 v93, 0x70, v90
	v_cmp_gt_u32_e32 vcc_lo, 0x71, v90
	v_or_b32_e32 v94, 0x800000, v92
	v_cndmask_b32_e32 v93, 0, v93, vcc_lo
	v_cmp_eq_u32_e32 vcc_lo, 0, v90
	v_add_nc_u32_e32 v90, 0xffffff91, v90
	v_cndmask_b32_e64 v93, v93, 0x6f, vcc_lo
	v_cndmask_b32_e32 v92, v94, v92, vcc_lo
	v_cndmask_b32_e64 v90, v90, 0xffffff92, vcc_lo
	v_lshl_add_u32 v94, 0x200000, v93, -1
	v_lshrrev_b32_e32 v95, v93, v92
	v_lshlrev_b32_e64 v105, v93, 0x100000
	v_add_nc_u32_e32 v93, v93, v90
	v_and_b32_e32 v92, v94, v92
	v_bfe_u32 v104, v95, 21, 1
	v_cmp_eq_u32_e64 s16, v92, v105
	v_add_nc_u32_e32 v94, -1, v104
	v_cndmask_b32_e64 v92, 0, v94, s16
	v_lshrrev_b32_e32 v94, 23, v95
	s_mov_b32 s16, exec_lo
	v_add_nc_u32_e32 v92, v92, v95
	v_xor_b32_e32 v94, 1, v94
	v_and_b32_e32 v90, 0x1fffff, v92
	v_add_nc_u32_e32 v92, v90, v95
                                        ; implicit-def: $vgpr90
	v_cmpx_ne_u32_e64 v93, v94
	s_xor_b32 s16, exec_lo, s16
; %bb.458:                              ;   in Loop: Header=BB2_133 Depth=3
	v_cmp_lt_u32_e32 vcc_lo, 0xffffff, v92
	v_sub_nc_u32_e32 v90, v93, v94
	v_cndmask_b32_e64 v93, 0, 1, vcc_lo
	v_add_co_ci_u32_e64 v90, null, 0, v90, vcc_lo
	v_lshrrev_b32_e32 v92, v93, v92
; %bb.459:                              ;   in Loop: Header=BB2_133 Depth=3
	s_andn2_saveexec_b32 s16, s16
; %bb.460:                              ;   in Loop: Header=BB2_133 Depth=3
	v_bfe_u32 v90, v92, 23, 1
; %bb.461:                              ;   in Loop: Header=BB2_133 Depth=3
	s_or_b32 exec_lo, exec_lo, s16
	v_lshrrev_b32_e32 v92, 21, v92
	v_min_i32_e32 v93, 31, v90
	v_cmp_gt_i32_e32 vcc_lo, 32, v90
	v_and_b32_sdwa v91, v91, v98 dst_sel:DWORD dst_unused:UNUSED_PAD src0_sel:BYTE_3 src1_sel:DWORD
	v_lshlrev_b32_e32 v93, 2, v93
	v_cndmask_b32_e32 v92, 3, v92, vcc_lo
	v_and_b32_e32 v93, 0xfc, v93
	v_and_b32_e32 v94, 3, v92
	v_or_b32_e32 v90, v90, v92
	v_or3_b32 v91, v93, v91, v94
	v_cmp_ne_u32_e32 vcc_lo, 0, v90
	v_cndmask_b32_e32 v90, 0, v91, vcc_lo
.LBB2_462:                              ;   in Loop: Header=BB2_133 Depth=3
	s_or_b32 exec_lo, exec_lo, s73
.LBB2_463:                              ;   in Loop: Header=BB2_133 Depth=3
	s_or_b32 exec_lo, exec_lo, s72
	v_cmp_gt_i16_sdwa s72, v9, v97 src0_sel:BYTE_3 src1_sel:DWORD
	s_mov_b32 s16, 0
	s_and_saveexec_b32 s73, s72
	s_xor_b32 s72, exec_lo, s73
	s_cbranch_execz .LBB2_633
; %bb.464:                              ;   in Loop: Header=BB2_133 Depth=3
	v_cmp_eq_u16_sdwa s74, v9, v98 src0_sel:BYTE_3 src1_sel:DWORD
	s_mov_b32 s16, -1
	s_and_saveexec_b32 s73, s74
; %bb.465:                              ;   in Loop: Header=BB2_133 Depth=3
	s_xor_b32 s16, exec_lo, -1
; %bb.466:                              ;   in Loop: Header=BB2_133 Depth=3
	s_or_b32 exec_lo, exec_lo, s73
	s_and_b32 s16, s16, exec_lo
	s_or_saveexec_b32 s72, s72
	v_mov_b32_e32 v91, 0x7f800001
	s_xor_b32 exec_lo, exec_lo, s72
	s_cbranch_execnz .LBB2_634
.LBB2_467:                              ;   in Loop: Header=BB2_133 Depth=3
	s_or_b32 exec_lo, exec_lo, s72
	s_and_saveexec_b32 s72, s16
	s_cbranch_execz .LBB2_469
.LBB2_468:                              ;   in Loop: Header=BB2_133 Depth=3
	v_bfe_u32 v91, v9, 24, 2
	v_bfe_u32 v94, v9, 26, 5
	v_ffbh_u32_e32 v92, v91
	v_cmp_eq_u32_e32 vcc_lo, 0, v94
	v_min_u32_e32 v92, 32, v92
	v_subrev_nc_u32_e32 v93, 29, v92
	v_sub_nc_u32_e32 v92, 30, v92
	v_lshlrev_b32_sdwa v93, v93, v9 dst_sel:DWORD dst_unused:UNUSED_PAD src0_sel:DWORD src1_sel:BYTE_3
	v_cndmask_b32_e32 v92, v94, v92, vcc_lo
	v_and_b32_e32 v9, 0x80000000, v9
	v_and_b32_e32 v93, 3, v93
	v_lshl_add_u32 v92, v92, 23, 0x37800000
	v_cndmask_b32_e32 v91, v91, v93, vcc_lo
	v_lshlrev_b32_e32 v91, 21, v91
	v_or3_b32 v91, v9, v92, v91
.LBB2_469:                              ;   in Loop: Header=BB2_133 Depth=3
	s_or_b32 exec_lo, exec_lo, s72
	v_mul_f32_e32 v91, s63, v91
	v_and_b32_e32 v9, 0x7f800000, v91
	v_cmp_ne_u32_e32 vcc_lo, 0x7f800000, v9
	v_mov_b32_e32 v9, 0x8000
	s_and_saveexec_b32 s72, vcc_lo
	s_cbranch_execz .LBB2_477
; %bb.470:                              ;   in Loop: Header=BB2_133 Depth=3
	v_mov_b32_e32 v9, 0
	s_mov_b32 s73, exec_lo
	v_cmpx_ne_u32_e32 0, v91
	s_cbranch_execz .LBB2_476
; %bb.471:                              ;   in Loop: Header=BB2_133 Depth=3
	v_bfe_u32 v9, v91, 23, 8
	v_and_b32_e32 v92, 0x7fffff, v91
	v_sub_nc_u32_e32 v93, 0x70, v9
	v_cmp_gt_u32_e32 vcc_lo, 0x71, v9
	v_or_b32_e32 v94, 0x800000, v92
	v_cndmask_b32_e32 v93, 0, v93, vcc_lo
	v_cmp_eq_u32_e32 vcc_lo, 0, v9
	v_add_nc_u32_e32 v9, 0xffffff91, v9
	v_cndmask_b32_e64 v93, v93, 0x6f, vcc_lo
	v_cndmask_b32_e32 v92, v94, v92, vcc_lo
	v_cndmask_b32_e64 v9, v9, 0xffffff92, vcc_lo
	v_lshl_add_u32 v94, 0x200000, v93, -1
	v_lshrrev_b32_e32 v95, v93, v92
	v_lshlrev_b32_e64 v105, v93, 0x100000
	v_add_nc_u32_e32 v93, v93, v9
	v_and_b32_e32 v92, v94, v92
	v_bfe_u32 v104, v95, 21, 1
	v_cmp_eq_u32_e64 s16, v92, v105
	v_add_nc_u32_e32 v94, -1, v104
	v_cndmask_b32_e64 v92, 0, v94, s16
	v_lshrrev_b32_e32 v94, 23, v95
	s_mov_b32 s16, exec_lo
	v_add_nc_u32_e32 v92, v92, v95
	v_xor_b32_e32 v94, 1, v94
	v_and_b32_e32 v9, 0x1fffff, v92
	v_add_nc_u32_e32 v92, v9, v95
                                        ; implicit-def: $vgpr9
	v_cmpx_ne_u32_e64 v93, v94
	s_xor_b32 s16, exec_lo, s16
; %bb.472:                              ;   in Loop: Header=BB2_133 Depth=3
	v_cmp_lt_u32_e32 vcc_lo, 0xffffff, v92
	v_sub_nc_u32_e32 v9, v93, v94
	v_cndmask_b32_e64 v93, 0, 1, vcc_lo
	v_add_co_ci_u32_e64 v9, null, 0, v9, vcc_lo
	v_lshrrev_b32_e32 v92, v93, v92
; %bb.473:                              ;   in Loop: Header=BB2_133 Depth=3
	s_andn2_saveexec_b32 s16, s16
; %bb.474:                              ;   in Loop: Header=BB2_133 Depth=3
	v_bfe_u32 v9, v92, 23, 1
; %bb.475:                              ;   in Loop: Header=BB2_133 Depth=3
	s_or_b32 exec_lo, exec_lo, s16
	v_lshrrev_b32_e32 v92, 21, v92
	v_min_i32_e32 v93, 31, v9
	v_cmp_gt_i32_e32 vcc_lo, 32, v9
	v_and_b32_sdwa v91, v91, v98 dst_sel:DWORD dst_unused:UNUSED_PAD src0_sel:BYTE_3 src1_sel:DWORD
	v_lshlrev_b32_e32 v93, 2, v93
	v_cndmask_b32_e32 v92, 3, v92, vcc_lo
	v_and_b32_e32 v93, 0xfc, v93
	v_and_b32_e32 v94, 3, v92
	v_or_b32_e32 v9, v9, v92
	v_or3_b32 v91, v91, v93, v94
	v_cmp_ne_u32_e32 vcc_lo, 0, v9
	v_lshlrev_b32_e32 v91, 8, v91
	v_cndmask_b32_e32 v9, 0, v91, vcc_lo
.LBB2_476:                              ;   in Loop: Header=BB2_133 Depth=3
	s_or_b32 exec_lo, exec_lo, s73
.LBB2_477:                              ;   in Loop: Header=BB2_133 Depth=3
	s_or_b32 exec_lo, exec_lo, s72
	v_cmp_gt_i16_sdwa s72, v10, v97 src0_sel:BYTE_0 src1_sel:DWORD
	s_mov_b32 s16, 0
	s_and_saveexec_b32 s73, s72
	s_xor_b32 s72, exec_lo, s73
	s_cbranch_execz .LBB2_635
; %bb.478:                              ;   in Loop: Header=BB2_133 Depth=3
	v_cmp_eq_u16_sdwa s74, v10, v98 src0_sel:BYTE_0 src1_sel:DWORD
	s_mov_b32 s16, -1
	s_and_saveexec_b32 s73, s74
; %bb.479:                              ;   in Loop: Header=BB2_133 Depth=3
	s_xor_b32 s16, exec_lo, -1
; %bb.480:                              ;   in Loop: Header=BB2_133 Depth=3
	s_or_b32 exec_lo, exec_lo, s73
	s_and_b32 s16, s16, exec_lo
	s_or_saveexec_b32 s72, s72
	v_mov_b32_e32 v91, 0x7f800001
	s_xor_b32 exec_lo, exec_lo, s72
	s_cbranch_execnz .LBB2_636
.LBB2_481:                              ;   in Loop: Header=BB2_133 Depth=3
	s_or_b32 exec_lo, exec_lo, s72
	s_and_saveexec_b32 s72, s16
	s_cbranch_execz .LBB2_483
.LBB2_482:                              ;   in Loop: Header=BB2_133 Depth=3
	v_and_b32_e32 v91, 3, v10
	v_bfe_u32 v94, v10, 2, 5
	v_lshlrev_b32_e32 v95, 24, v10
	v_ffbh_u32_e32 v92, v91
	v_cmp_eq_u32_e32 vcc_lo, 0, v94
	v_min_u32_e32 v92, 32, v92
	v_subrev_nc_u32_e32 v93, 29, v92
	v_sub_nc_u32_e32 v92, 30, v92
	v_lshlrev_b32_e32 v93, v93, v10
	v_cndmask_b32_e32 v92, v94, v92, vcc_lo
	v_and_b32_e32 v93, 3, v93
	v_lshl_add_u32 v92, v92, 23, 0x37800000
	v_cndmask_b32_e32 v91, v91, v93, vcc_lo
	v_and_b32_e32 v93, 0x80000000, v95
	v_lshlrev_b32_e32 v91, 21, v91
	v_or3_b32 v91, v93, v92, v91
.LBB2_483:                              ;   in Loop: Header=BB2_133 Depth=3
	s_or_b32 exec_lo, exec_lo, s72
	v_mul_f32_e32 v92, s63, v91
	v_and_b32_e32 v91, 0x7f800000, v92
	v_cmp_ne_u32_e32 vcc_lo, 0x7f800000, v91
	v_mov_b32_e32 v91, 0x80
	s_and_saveexec_b32 s72, vcc_lo
	s_cbranch_execz .LBB2_491
; %bb.484:                              ;   in Loop: Header=BB2_133 Depth=3
	v_mov_b32_e32 v91, 0
	s_mov_b32 s73, exec_lo
	v_cmpx_ne_u32_e32 0, v92
	s_cbranch_execz .LBB2_490
; %bb.485:                              ;   in Loop: Header=BB2_133 Depth=3
	v_bfe_u32 v91, v92, 23, 8
	v_and_b32_e32 v93, 0x7fffff, v92
	v_sub_nc_u32_e32 v94, 0x70, v91
	v_cmp_gt_u32_e32 vcc_lo, 0x71, v91
	v_or_b32_e32 v95, 0x800000, v93
	v_cndmask_b32_e32 v94, 0, v94, vcc_lo
	v_cmp_eq_u32_e32 vcc_lo, 0, v91
	v_add_nc_u32_e32 v91, 0xffffff91, v91
	v_cndmask_b32_e64 v94, v94, 0x6f, vcc_lo
	v_cndmask_b32_e32 v93, v95, v93, vcc_lo
	v_cndmask_b32_e64 v91, v91, 0xffffff92, vcc_lo
	v_lshl_add_u32 v95, 0x200000, v94, -1
	v_lshrrev_b32_e32 v104, v94, v93
	v_lshlrev_b32_e64 v106, v94, 0x100000
	v_add_nc_u32_e32 v94, v94, v91
	v_and_b32_e32 v93, v95, v93
	v_bfe_u32 v105, v104, 21, 1
	v_cmp_eq_u32_e64 s16, v93, v106
	v_add_nc_u32_e32 v95, -1, v105
	v_cndmask_b32_e64 v93, 0, v95, s16
	v_lshrrev_b32_e32 v95, 23, v104
	s_mov_b32 s16, exec_lo
	v_add_nc_u32_e32 v93, v93, v104
	v_xor_b32_e32 v95, 1, v95
	v_and_b32_e32 v91, 0x1fffff, v93
	v_add_nc_u32_e32 v93, v91, v104
                                        ; implicit-def: $vgpr91
	v_cmpx_ne_u32_e64 v94, v95
	s_xor_b32 s16, exec_lo, s16
; %bb.486:                              ;   in Loop: Header=BB2_133 Depth=3
	v_cmp_lt_u32_e32 vcc_lo, 0xffffff, v93
	v_sub_nc_u32_e32 v91, v94, v95
	v_cndmask_b32_e64 v94, 0, 1, vcc_lo
	v_add_co_ci_u32_e64 v91, null, 0, v91, vcc_lo
	v_lshrrev_b32_e32 v93, v94, v93
; %bb.487:                              ;   in Loop: Header=BB2_133 Depth=3
	s_andn2_saveexec_b32 s16, s16
; %bb.488:                              ;   in Loop: Header=BB2_133 Depth=3
	v_bfe_u32 v91, v93, 23, 1
; %bb.489:                              ;   in Loop: Header=BB2_133 Depth=3
	s_or_b32 exec_lo, exec_lo, s16
	v_lshrrev_b32_e32 v93, 21, v93
	v_min_i32_e32 v94, 31, v91
	v_cmp_gt_i32_e32 vcc_lo, 32, v91
	v_and_b32_sdwa v92, v92, v98 dst_sel:DWORD dst_unused:UNUSED_PAD src0_sel:BYTE_3 src1_sel:DWORD
	v_lshlrev_b32_e32 v94, 2, v94
	v_cndmask_b32_e32 v93, 3, v93, vcc_lo
	v_and_b32_e32 v94, 0xfc, v94
	v_and_b32_e32 v95, 3, v93
	v_or_b32_e32 v91, v91, v93
	v_or3_b32 v92, v94, v92, v95
	v_cmp_ne_u32_e32 vcc_lo, 0, v91
	v_cndmask_b32_e32 v91, 0, v92, vcc_lo
.LBB2_490:                              ;   in Loop: Header=BB2_133 Depth=3
	s_or_b32 exec_lo, exec_lo, s73
.LBB2_491:                              ;   in Loop: Header=BB2_133 Depth=3
	s_or_b32 exec_lo, exec_lo, s72
	v_cmp_gt_i16_sdwa s72, v10, v97 src0_sel:BYTE_1 src1_sel:DWORD
	s_mov_b32 s16, 0
	s_and_saveexec_b32 s73, s72
	s_xor_b32 s72, exec_lo, s73
	s_cbranch_execz .LBB2_637
; %bb.492:                              ;   in Loop: Header=BB2_133 Depth=3
	v_cmp_eq_u16_sdwa s74, v10, v98 src0_sel:BYTE_1 src1_sel:DWORD
	s_mov_b32 s16, -1
	s_and_saveexec_b32 s73, s74
; %bb.493:                              ;   in Loop: Header=BB2_133 Depth=3
	s_xor_b32 s16, exec_lo, -1
; %bb.494:                              ;   in Loop: Header=BB2_133 Depth=3
	s_or_b32 exec_lo, exec_lo, s73
	s_and_b32 s16, s16, exec_lo
	s_or_saveexec_b32 s72, s72
	v_mov_b32_e32 v92, 0x7f800001
	s_xor_b32 exec_lo, exec_lo, s72
	s_cbranch_execnz .LBB2_638
.LBB2_495:                              ;   in Loop: Header=BB2_133 Depth=3
	s_or_b32 exec_lo, exec_lo, s72
	s_and_saveexec_b32 s72, s16
	s_cbranch_execz .LBB2_497
.LBB2_496:                              ;   in Loop: Header=BB2_133 Depth=3
	v_and_b32_sdwa v92, v99, v10 dst_sel:DWORD dst_unused:UNUSED_PAD src0_sel:DWORD src1_sel:BYTE_1
	v_and_b32_e32 v93, 3, v92
	v_bfe_u32 v104, v92, 2, 5
	v_ffbh_u32_e32 v94, v93
	v_cmp_eq_u32_e32 vcc_lo, 0, v104
	v_min_u32_e32 v94, 32, v94
	v_subrev_nc_u32_e32 v95, 29, v94
	v_sub_nc_u32_e32 v94, 30, v94
	v_lshlrev_b32_e32 v92, v95, v92
	v_lshlrev_b32_sdwa v95, v100, v10 dst_sel:DWORD dst_unused:UNUSED_PAD src0_sel:DWORD src1_sel:BYTE_1
	v_cndmask_b32_e32 v94, v104, v94, vcc_lo
	v_and_b32_e32 v92, 3, v92
	v_lshl_add_u32 v94, v94, 23, 0x37800000
	v_cndmask_b32_e32 v92, v93, v92, vcc_lo
	v_and_b32_e32 v93, 0x80000000, v95
	v_lshlrev_b32_e32 v92, 21, v92
	v_or3_b32 v92, v93, v94, v92
.LBB2_497:                              ;   in Loop: Header=BB2_133 Depth=3
	s_or_b32 exec_lo, exec_lo, s72
	v_mul_f32_e32 v93, s63, v92
	v_and_b32_e32 v92, 0x7f800000, v93
	v_cmp_ne_u32_e32 vcc_lo, 0x7f800000, v92
	v_mov_b32_e32 v92, 0x8000
	s_and_saveexec_b32 s72, vcc_lo
	s_cbranch_execz .LBB2_505
; %bb.498:                              ;   in Loop: Header=BB2_133 Depth=3
	v_mov_b32_e32 v92, 0
	s_mov_b32 s73, exec_lo
	v_cmpx_ne_u32_e32 0, v93
	s_cbranch_execz .LBB2_504
; %bb.499:                              ;   in Loop: Header=BB2_133 Depth=3
	v_bfe_u32 v92, v93, 23, 8
	v_and_b32_e32 v94, 0x7fffff, v93
	v_sub_nc_u32_e32 v95, 0x70, v92
	v_cmp_gt_u32_e32 vcc_lo, 0x71, v92
	v_or_b32_e32 v104, 0x800000, v94
	v_cndmask_b32_e32 v95, 0, v95, vcc_lo
	v_cmp_eq_u32_e32 vcc_lo, 0, v92
	v_add_nc_u32_e32 v92, 0xffffff91, v92
	v_cndmask_b32_e64 v95, v95, 0x6f, vcc_lo
	v_cndmask_b32_e32 v94, v104, v94, vcc_lo
	v_cndmask_b32_e64 v92, v92, 0xffffff92, vcc_lo
	v_lshl_add_u32 v104, 0x200000, v95, -1
	v_lshrrev_b32_e32 v105, v95, v94
	v_lshlrev_b32_e64 v107, v95, 0x100000
	v_add_nc_u32_e32 v95, v95, v92
	v_and_b32_e32 v94, v104, v94
	v_bfe_u32 v106, v105, 21, 1
	v_cmp_eq_u32_e64 s16, v94, v107
	v_add_nc_u32_e32 v104, -1, v106
	v_cndmask_b32_e64 v94, 0, v104, s16
	v_lshrrev_b32_e32 v104, 23, v105
	s_mov_b32 s16, exec_lo
	v_add_nc_u32_e32 v94, v94, v105
	v_xor_b32_e32 v104, 1, v104
	v_and_b32_e32 v92, 0x1fffff, v94
	v_add_nc_u32_e32 v94, v92, v105
                                        ; implicit-def: $vgpr92
	v_cmpx_ne_u32_e64 v95, v104
	s_xor_b32 s16, exec_lo, s16
; %bb.500:                              ;   in Loop: Header=BB2_133 Depth=3
	v_cmp_lt_u32_e32 vcc_lo, 0xffffff, v94
	v_sub_nc_u32_e32 v92, v95, v104
	v_cndmask_b32_e64 v95, 0, 1, vcc_lo
	v_add_co_ci_u32_e64 v92, null, 0, v92, vcc_lo
	v_lshrrev_b32_e32 v94, v95, v94
; %bb.501:                              ;   in Loop: Header=BB2_133 Depth=3
	s_andn2_saveexec_b32 s16, s16
; %bb.502:                              ;   in Loop: Header=BB2_133 Depth=3
	v_bfe_u32 v92, v94, 23, 1
; %bb.503:                              ;   in Loop: Header=BB2_133 Depth=3
	s_or_b32 exec_lo, exec_lo, s16
	v_lshrrev_b32_e32 v94, 21, v94
	v_min_i32_e32 v95, 31, v92
	v_cmp_gt_i32_e32 vcc_lo, 32, v92
	v_and_b32_sdwa v93, v93, v98 dst_sel:DWORD dst_unused:UNUSED_PAD src0_sel:BYTE_3 src1_sel:DWORD
	v_lshlrev_b32_e32 v95, 2, v95
	v_cndmask_b32_e32 v94, 3, v94, vcc_lo
	v_and_b32_e32 v95, 0xfc, v95
	v_and_b32_e32 v104, 3, v94
	v_or_b32_e32 v92, v92, v94
	v_or3_b32 v93, v93, v95, v104
	v_cmp_ne_u32_e32 vcc_lo, 0, v92
	v_lshlrev_b32_e32 v93, 8, v93
	v_cndmask_b32_e32 v92, 0, v93, vcc_lo
.LBB2_504:                              ;   in Loop: Header=BB2_133 Depth=3
	s_or_b32 exec_lo, exec_lo, s73
.LBB2_505:                              ;   in Loop: Header=BB2_133 Depth=3
	s_or_b32 exec_lo, exec_lo, s72
	v_and_b32_sdwa v94, v10, v101 dst_sel:DWORD dst_unused:UNUSED_PAD src0_sel:WORD_1 src1_sel:DWORD
	s_mov_b32 s16, 0
	s_mov_b32 s72, exec_lo
	v_cmpx_lt_i16_e32 0x7f, v94
	s_xor_b32 s72, exec_lo, s72
	s_cbranch_execz .LBB2_639
; %bb.506:                              ;   in Loop: Header=BB2_133 Depth=3
	s_mov_b32 s16, -1
	s_mov_b32 s73, exec_lo
	v_cmpx_eq_u16_e32 0x80, v94
; %bb.507:                              ;   in Loop: Header=BB2_133 Depth=3
	s_xor_b32 s16, exec_lo, -1
; %bb.508:                              ;   in Loop: Header=BB2_133 Depth=3
	s_or_b32 exec_lo, exec_lo, s73
	s_and_b32 s16, s16, exec_lo
                                        ; implicit-def: $vgpr94
	s_or_saveexec_b32 s72, s72
	v_mov_b32_e32 v93, 0x7f800001
	s_xor_b32 exec_lo, exec_lo, s72
	s_cbranch_execnz .LBB2_640
.LBB2_509:                              ;   in Loop: Header=BB2_133 Depth=3
	s_or_b32 exec_lo, exec_lo, s72
	s_and_saveexec_b32 s72, s16
	s_cbranch_execz .LBB2_511
.LBB2_510:                              ;   in Loop: Header=BB2_133 Depth=3
	v_bfe_u32 v93, v10, 16, 2
	v_bfe_u32 v104, v10, 18, 5
	v_lshlrev_b32_e32 v105, 8, v10
	v_ffbh_u32_e32 v94, v93
	v_cmp_eq_u32_e32 vcc_lo, 0, v104
	v_min_u32_e32 v94, 32, v94
	v_subrev_nc_u32_e32 v95, 29, v94
	v_sub_nc_u32_e32 v94, 30, v94
	v_lshlrev_b32_sdwa v95, v95, v10 dst_sel:DWORD dst_unused:UNUSED_PAD src0_sel:DWORD src1_sel:WORD_1
	v_cndmask_b32_e32 v94, v104, v94, vcc_lo
	v_and_b32_e32 v95, 3, v95
	v_lshl_add_u32 v94, v94, 23, 0x37800000
	v_cndmask_b32_e32 v93, v93, v95, vcc_lo
	v_and_b32_e32 v95, 0x80000000, v105
	v_lshlrev_b32_e32 v93, 21, v93
	v_or3_b32 v93, v95, v94, v93
.LBB2_511:                              ;   in Loop: Header=BB2_133 Depth=3
	s_or_b32 exec_lo, exec_lo, s72
	v_mul_f32_e32 v94, s63, v93
	v_and_b32_e32 v93, 0x7f800000, v94
	v_cmp_ne_u32_e32 vcc_lo, 0x7f800000, v93
	v_mov_b32_e32 v93, 0x80
	s_and_saveexec_b32 s72, vcc_lo
	s_cbranch_execz .LBB2_519
; %bb.512:                              ;   in Loop: Header=BB2_133 Depth=3
	v_mov_b32_e32 v93, 0
	s_mov_b32 s73, exec_lo
	v_cmpx_ne_u32_e32 0, v94
	s_cbranch_execz .LBB2_518
; %bb.513:                              ;   in Loop: Header=BB2_133 Depth=3
	v_bfe_u32 v93, v94, 23, 8
	v_and_b32_e32 v95, 0x7fffff, v94
	v_sub_nc_u32_e32 v104, 0x70, v93
	v_cmp_gt_u32_e32 vcc_lo, 0x71, v93
	v_or_b32_e32 v105, 0x800000, v95
	v_cndmask_b32_e32 v104, 0, v104, vcc_lo
	v_cmp_eq_u32_e32 vcc_lo, 0, v93
	v_add_nc_u32_e32 v93, 0xffffff91, v93
	v_cndmask_b32_e64 v104, v104, 0x6f, vcc_lo
	v_cndmask_b32_e32 v95, v105, v95, vcc_lo
	v_cndmask_b32_e64 v93, v93, 0xffffff92, vcc_lo
	v_lshl_add_u32 v105, 0x200000, v104, -1
	v_lshrrev_b32_e32 v106, v104, v95
	v_lshlrev_b32_e64 v108, v104, 0x100000
	v_add_nc_u32_e32 v104, v104, v93
	v_and_b32_e32 v95, v105, v95
	v_bfe_u32 v107, v106, 21, 1
	v_cmp_eq_u32_e64 s16, v95, v108
	v_add_nc_u32_e32 v105, -1, v107
	v_cndmask_b32_e64 v95, 0, v105, s16
	v_lshrrev_b32_e32 v105, 23, v106
	s_mov_b32 s16, exec_lo
	v_add_nc_u32_e32 v95, v95, v106
	v_xor_b32_e32 v105, 1, v105
	v_and_b32_e32 v93, 0x1fffff, v95
	v_add_nc_u32_e32 v95, v93, v106
                                        ; implicit-def: $vgpr93
	v_cmpx_ne_u32_e64 v104, v105
	s_xor_b32 s16, exec_lo, s16
; %bb.514:                              ;   in Loop: Header=BB2_133 Depth=3
	v_cmp_lt_u32_e32 vcc_lo, 0xffffff, v95
	v_sub_nc_u32_e32 v93, v104, v105
	v_cndmask_b32_e64 v104, 0, 1, vcc_lo
	v_add_co_ci_u32_e64 v93, null, 0, v93, vcc_lo
	v_lshrrev_b32_e32 v95, v104, v95
; %bb.515:                              ;   in Loop: Header=BB2_133 Depth=3
	s_andn2_saveexec_b32 s16, s16
; %bb.516:                              ;   in Loop: Header=BB2_133 Depth=3
	v_bfe_u32 v93, v95, 23, 1
; %bb.517:                              ;   in Loop: Header=BB2_133 Depth=3
	s_or_b32 exec_lo, exec_lo, s16
	v_lshrrev_b32_e32 v95, 21, v95
	v_min_i32_e32 v104, 31, v93
	v_cmp_gt_i32_e32 vcc_lo, 32, v93
	v_and_b32_sdwa v94, v94, v98 dst_sel:DWORD dst_unused:UNUSED_PAD src0_sel:BYTE_3 src1_sel:DWORD
	v_lshlrev_b32_e32 v104, 2, v104
	v_cndmask_b32_e32 v95, 3, v95, vcc_lo
	v_and_b32_e32 v104, 0xfc, v104
	v_and_b32_e32 v105, 3, v95
	v_or_b32_e32 v93, v93, v95
	v_or3_b32 v94, v104, v94, v105
	v_cmp_ne_u32_e32 vcc_lo, 0, v93
	v_cndmask_b32_e32 v93, 0, v94, vcc_lo
.LBB2_518:                              ;   in Loop: Header=BB2_133 Depth=3
	s_or_b32 exec_lo, exec_lo, s73
.LBB2_519:                              ;   in Loop: Header=BB2_133 Depth=3
	s_or_b32 exec_lo, exec_lo, s72
	v_cmp_gt_i16_sdwa s72, v10, v97 src0_sel:BYTE_3 src1_sel:DWORD
	s_mov_b32 s16, 0
	s_and_saveexec_b32 s73, s72
	s_xor_b32 s72, exec_lo, s73
	s_cbranch_execz .LBB2_641
; %bb.520:                              ;   in Loop: Header=BB2_133 Depth=3
	v_cmp_eq_u16_sdwa s74, v10, v98 src0_sel:BYTE_3 src1_sel:DWORD
	s_mov_b32 s16, -1
	s_and_saveexec_b32 s73, s74
; %bb.521:                              ;   in Loop: Header=BB2_133 Depth=3
	s_xor_b32 s16, exec_lo, -1
; %bb.522:                              ;   in Loop: Header=BB2_133 Depth=3
	s_or_b32 exec_lo, exec_lo, s73
	s_and_b32 s16, s16, exec_lo
	s_or_saveexec_b32 s72, s72
	v_mov_b32_e32 v94, 0x7f800001
	s_xor_b32 exec_lo, exec_lo, s72
	s_cbranch_execnz .LBB2_642
.LBB2_523:                              ;   in Loop: Header=BB2_133 Depth=3
	s_or_b32 exec_lo, exec_lo, s72
	s_and_saveexec_b32 s72, s16
	s_cbranch_execz .LBB2_525
.LBB2_524:                              ;   in Loop: Header=BB2_133 Depth=3
	v_bfe_u32 v94, v10, 24, 2
	v_bfe_u32 v105, v10, 26, 5
	v_ffbh_u32_e32 v95, v94
	v_cmp_eq_u32_e32 vcc_lo, 0, v105
	v_min_u32_e32 v95, 32, v95
	v_subrev_nc_u32_e32 v104, 29, v95
	v_sub_nc_u32_e32 v95, 30, v95
	v_lshlrev_b32_sdwa v104, v104, v10 dst_sel:DWORD dst_unused:UNUSED_PAD src0_sel:DWORD src1_sel:BYTE_3
	v_cndmask_b32_e32 v95, v105, v95, vcc_lo
	v_and_b32_e32 v10, 0x80000000, v10
	v_and_b32_e32 v104, 3, v104
	v_lshl_add_u32 v95, v95, 23, 0x37800000
	v_cndmask_b32_e32 v94, v94, v104, vcc_lo
	v_lshlrev_b32_e32 v94, 21, v94
	v_or3_b32 v94, v10, v95, v94
.LBB2_525:                              ;   in Loop: Header=BB2_133 Depth=3
	s_or_b32 exec_lo, exec_lo, s72
	v_mul_f32_e32 v94, s63, v94
	v_and_b32_e32 v10, 0x7f800000, v94
	v_cmp_ne_u32_e32 vcc_lo, 0x7f800000, v10
	v_mov_b32_e32 v10, 0x8000
	s_and_saveexec_b32 s72, vcc_lo
	s_cbranch_execz .LBB2_533
; %bb.526:                              ;   in Loop: Header=BB2_133 Depth=3
	v_mov_b32_e32 v10, 0
	s_mov_b32 s73, exec_lo
	v_cmpx_ne_u32_e32 0, v94
	s_cbranch_execz .LBB2_532
; %bb.527:                              ;   in Loop: Header=BB2_133 Depth=3
	v_bfe_u32 v10, v94, 23, 8
	v_and_b32_e32 v95, 0x7fffff, v94
	v_sub_nc_u32_e32 v104, 0x70, v10
	v_cmp_gt_u32_e32 vcc_lo, 0x71, v10
	v_or_b32_e32 v105, 0x800000, v95
	v_cndmask_b32_e32 v104, 0, v104, vcc_lo
	v_cmp_eq_u32_e32 vcc_lo, 0, v10
	v_add_nc_u32_e32 v10, 0xffffff91, v10
	v_cndmask_b32_e64 v104, v104, 0x6f, vcc_lo
	v_cndmask_b32_e32 v95, v105, v95, vcc_lo
	v_cndmask_b32_e64 v10, v10, 0xffffff92, vcc_lo
	v_lshl_add_u32 v105, 0x200000, v104, -1
	v_lshrrev_b32_e32 v106, v104, v95
	v_lshlrev_b32_e64 v108, v104, 0x100000
	v_add_nc_u32_e32 v104, v104, v10
	v_and_b32_e32 v95, v105, v95
	v_bfe_u32 v107, v106, 21, 1
	v_cmp_eq_u32_e64 s16, v95, v108
	v_add_nc_u32_e32 v105, -1, v107
	v_cndmask_b32_e64 v95, 0, v105, s16
	v_lshrrev_b32_e32 v105, 23, v106
	s_mov_b32 s16, exec_lo
	v_add_nc_u32_e32 v95, v95, v106
	v_xor_b32_e32 v105, 1, v105
	v_and_b32_e32 v10, 0x1fffff, v95
	v_add_nc_u32_e32 v95, v10, v106
                                        ; implicit-def: $vgpr10
	v_cmpx_ne_u32_e64 v104, v105
	s_xor_b32 s16, exec_lo, s16
; %bb.528:                              ;   in Loop: Header=BB2_133 Depth=3
	v_cmp_lt_u32_e32 vcc_lo, 0xffffff, v95
	v_sub_nc_u32_e32 v10, v104, v105
	v_cndmask_b32_e64 v104, 0, 1, vcc_lo
	v_add_co_ci_u32_e64 v10, null, 0, v10, vcc_lo
	v_lshrrev_b32_e32 v95, v104, v95
; %bb.529:                              ;   in Loop: Header=BB2_133 Depth=3
	s_andn2_saveexec_b32 s16, s16
; %bb.530:                              ;   in Loop: Header=BB2_133 Depth=3
	v_bfe_u32 v10, v95, 23, 1
; %bb.531:                              ;   in Loop: Header=BB2_133 Depth=3
	s_or_b32 exec_lo, exec_lo, s16
	v_lshrrev_b32_e32 v95, 21, v95
	v_min_i32_e32 v104, 31, v10
	v_cmp_gt_i32_e32 vcc_lo, 32, v10
	v_and_b32_sdwa v94, v94, v98 dst_sel:DWORD dst_unused:UNUSED_PAD src0_sel:BYTE_3 src1_sel:DWORD
	v_lshlrev_b32_e32 v104, 2, v104
	v_cndmask_b32_e32 v95, 3, v95, vcc_lo
	v_and_b32_e32 v104, 0xfc, v104
	v_and_b32_e32 v105, 3, v95
	v_or_b32_e32 v10, v10, v95
	v_or3_b32 v94, v94, v104, v105
	v_cmp_ne_u32_e32 vcc_lo, 0, v10
	v_lshlrev_b32_e32 v94, 8, v94
	v_cndmask_b32_e32 v10, 0, v94, vcc_lo
.LBB2_532:                              ;   in Loop: Header=BB2_133 Depth=3
	s_or_b32 exec_lo, exec_lo, s73
.LBB2_533:                              ;   in Loop: Header=BB2_133 Depth=3
	s_or_b32 exec_lo, exec_lo, s72
	v_cmp_gt_i16_sdwa s72, v11, v97 src0_sel:BYTE_0 src1_sel:DWORD
	s_mov_b32 s16, 0
	s_and_saveexec_b32 s73, s72
	s_xor_b32 s72, exec_lo, s73
	s_cbranch_execz .LBB2_643
; %bb.534:                              ;   in Loop: Header=BB2_133 Depth=3
	v_cmp_eq_u16_sdwa s74, v11, v98 src0_sel:BYTE_0 src1_sel:DWORD
	s_mov_b32 s16, -1
	s_and_saveexec_b32 s73, s74
; %bb.535:                              ;   in Loop: Header=BB2_133 Depth=3
	s_xor_b32 s16, exec_lo, -1
; %bb.536:                              ;   in Loop: Header=BB2_133 Depth=3
	s_or_b32 exec_lo, exec_lo, s73
	s_and_b32 s16, s16, exec_lo
	s_or_saveexec_b32 s72, s72
	v_mov_b32_e32 v94, 0x7f800001
	s_xor_b32 exec_lo, exec_lo, s72
	s_cbranch_execnz .LBB2_644
.LBB2_537:                              ;   in Loop: Header=BB2_133 Depth=3
	s_or_b32 exec_lo, exec_lo, s72
	s_and_saveexec_b32 s72, s16
	s_cbranch_execz .LBB2_539
.LBB2_538:                              ;   in Loop: Header=BB2_133 Depth=3
	v_and_b32_e32 v94, 3, v11
	v_bfe_u32 v105, v11, 2, 5
	v_lshlrev_b32_e32 v106, 24, v11
	v_ffbh_u32_e32 v95, v94
	v_cmp_eq_u32_e32 vcc_lo, 0, v105
	v_min_u32_e32 v95, 32, v95
	v_subrev_nc_u32_e32 v104, 29, v95
	v_sub_nc_u32_e32 v95, 30, v95
	v_lshlrev_b32_e32 v104, v104, v11
	v_cndmask_b32_e32 v95, v105, v95, vcc_lo
	v_and_b32_e32 v104, 3, v104
	v_lshl_add_u32 v95, v95, 23, 0x37800000
	v_cndmask_b32_e32 v94, v94, v104, vcc_lo
	v_and_b32_e32 v104, 0x80000000, v106
	v_lshlrev_b32_e32 v94, 21, v94
	v_or3_b32 v94, v104, v95, v94
.LBB2_539:                              ;   in Loop: Header=BB2_133 Depth=3
	s_or_b32 exec_lo, exec_lo, s72
	v_mul_f32_e32 v95, s63, v94
	v_and_b32_e32 v94, 0x7f800000, v95
	v_cmp_ne_u32_e32 vcc_lo, 0x7f800000, v94
	v_mov_b32_e32 v94, 0x80
	s_and_saveexec_b32 s72, vcc_lo
	s_cbranch_execz .LBB2_547
; %bb.540:                              ;   in Loop: Header=BB2_133 Depth=3
	v_mov_b32_e32 v94, 0
	s_mov_b32 s73, exec_lo
	v_cmpx_ne_u32_e32 0, v95
	s_cbranch_execz .LBB2_546
; %bb.541:                              ;   in Loop: Header=BB2_133 Depth=3
	v_bfe_u32 v94, v95, 23, 8
	v_and_b32_e32 v104, 0x7fffff, v95
	v_sub_nc_u32_e32 v105, 0x70, v94
	v_cmp_gt_u32_e32 vcc_lo, 0x71, v94
	v_or_b32_e32 v106, 0x800000, v104
	v_cndmask_b32_e32 v105, 0, v105, vcc_lo
	v_cmp_eq_u32_e32 vcc_lo, 0, v94
	v_add_nc_u32_e32 v94, 0xffffff91, v94
	v_cndmask_b32_e64 v105, v105, 0x6f, vcc_lo
	v_cndmask_b32_e32 v104, v106, v104, vcc_lo
	v_cndmask_b32_e64 v94, v94, 0xffffff92, vcc_lo
	v_lshl_add_u32 v106, 0x200000, v105, -1
	v_lshrrev_b32_e32 v107, v105, v104
	v_lshlrev_b32_e64 v109, v105, 0x100000
	v_add_nc_u32_e32 v105, v105, v94
	v_and_b32_e32 v104, v106, v104
	v_bfe_u32 v108, v107, 21, 1
	v_cmp_eq_u32_e64 s16, v104, v109
	v_add_nc_u32_e32 v106, -1, v108
	v_cndmask_b32_e64 v104, 0, v106, s16
	v_lshrrev_b32_e32 v106, 23, v107
	s_mov_b32 s16, exec_lo
	v_add_nc_u32_e32 v104, v104, v107
	v_xor_b32_e32 v106, 1, v106
	v_and_b32_e32 v94, 0x1fffff, v104
	v_add_nc_u32_e32 v104, v94, v107
                                        ; implicit-def: $vgpr94
	v_cmpx_ne_u32_e64 v105, v106
	s_xor_b32 s16, exec_lo, s16
; %bb.542:                              ;   in Loop: Header=BB2_133 Depth=3
	v_cmp_lt_u32_e32 vcc_lo, 0xffffff, v104
	v_sub_nc_u32_e32 v94, v105, v106
	v_cndmask_b32_e64 v105, 0, 1, vcc_lo
	v_add_co_ci_u32_e64 v94, null, 0, v94, vcc_lo
	v_lshrrev_b32_e32 v104, v105, v104
; %bb.543:                              ;   in Loop: Header=BB2_133 Depth=3
	s_andn2_saveexec_b32 s16, s16
; %bb.544:                              ;   in Loop: Header=BB2_133 Depth=3
	v_bfe_u32 v94, v104, 23, 1
; %bb.545:                              ;   in Loop: Header=BB2_133 Depth=3
	s_or_b32 exec_lo, exec_lo, s16
	v_lshrrev_b32_e32 v104, 21, v104
	v_min_i32_e32 v105, 31, v94
	v_cmp_gt_i32_e32 vcc_lo, 32, v94
	v_and_b32_sdwa v95, v95, v98 dst_sel:DWORD dst_unused:UNUSED_PAD src0_sel:BYTE_3 src1_sel:DWORD
	v_lshlrev_b32_e32 v105, 2, v105
	v_cndmask_b32_e32 v104, 3, v104, vcc_lo
	v_and_b32_e32 v105, 0xfc, v105
	v_and_b32_e32 v106, 3, v104
	v_or_b32_e32 v94, v94, v104
	v_or3_b32 v95, v105, v95, v106
	v_cmp_ne_u32_e32 vcc_lo, 0, v94
	v_cndmask_b32_e32 v94, 0, v95, vcc_lo
.LBB2_546:                              ;   in Loop: Header=BB2_133 Depth=3
	s_or_b32 exec_lo, exec_lo, s73
.LBB2_547:                              ;   in Loop: Header=BB2_133 Depth=3
	s_or_b32 exec_lo, exec_lo, s72
	v_cmp_gt_i16_sdwa s72, v11, v97 src0_sel:BYTE_1 src1_sel:DWORD
	s_mov_b32 s16, 0
	s_and_saveexec_b32 s73, s72
	s_xor_b32 s72, exec_lo, s73
	s_cbranch_execz .LBB2_645
; %bb.548:                              ;   in Loop: Header=BB2_133 Depth=3
	v_cmp_eq_u16_sdwa s74, v11, v98 src0_sel:BYTE_1 src1_sel:DWORD
	s_mov_b32 s16, -1
	s_and_saveexec_b32 s73, s74
; %bb.549:                              ;   in Loop: Header=BB2_133 Depth=3
	s_xor_b32 s16, exec_lo, -1
; %bb.550:                              ;   in Loop: Header=BB2_133 Depth=3
	s_or_b32 exec_lo, exec_lo, s73
	s_and_b32 s16, s16, exec_lo
	s_or_saveexec_b32 s72, s72
	v_mov_b32_e32 v95, 0x7f800001
	s_xor_b32 exec_lo, exec_lo, s72
	s_cbranch_execnz .LBB2_646
.LBB2_551:                              ;   in Loop: Header=BB2_133 Depth=3
	s_or_b32 exec_lo, exec_lo, s72
	s_and_saveexec_b32 s72, s16
	s_cbranch_execz .LBB2_553
.LBB2_552:                              ;   in Loop: Header=BB2_133 Depth=3
	v_and_b32_sdwa v95, v99, v11 dst_sel:DWORD dst_unused:UNUSED_PAD src0_sel:DWORD src1_sel:BYTE_1
	v_and_b32_e32 v104, 3, v95
	v_bfe_u32 v107, v95, 2, 5
	v_ffbh_u32_e32 v105, v104
	v_cmp_eq_u32_e32 vcc_lo, 0, v107
	v_min_u32_e32 v105, 32, v105
	v_subrev_nc_u32_e32 v106, 29, v105
	v_sub_nc_u32_e32 v105, 30, v105
	v_lshlrev_b32_e32 v95, v106, v95
	v_lshlrev_b32_sdwa v106, v100, v11 dst_sel:DWORD dst_unused:UNUSED_PAD src0_sel:DWORD src1_sel:BYTE_1
	v_cndmask_b32_e32 v105, v107, v105, vcc_lo
	v_and_b32_e32 v95, 3, v95
	v_lshl_add_u32 v105, v105, 23, 0x37800000
	v_cndmask_b32_e32 v95, v104, v95, vcc_lo
	v_and_b32_e32 v104, 0x80000000, v106
	v_lshlrev_b32_e32 v95, 21, v95
	v_or3_b32 v95, v104, v105, v95
.LBB2_553:                              ;   in Loop: Header=BB2_133 Depth=3
	s_or_b32 exec_lo, exec_lo, s72
	v_mul_f32_e32 v104, s63, v95
	v_and_b32_e32 v95, 0x7f800000, v104
	v_cmp_ne_u32_e32 vcc_lo, 0x7f800000, v95
	v_mov_b32_e32 v95, 0x8000
	s_and_saveexec_b32 s72, vcc_lo
	s_cbranch_execz .LBB2_561
; %bb.554:                              ;   in Loop: Header=BB2_133 Depth=3
	v_mov_b32_e32 v95, 0
	s_mov_b32 s73, exec_lo
	v_cmpx_ne_u32_e32 0, v104
	s_cbranch_execz .LBB2_560
; %bb.555:                              ;   in Loop: Header=BB2_133 Depth=3
	v_bfe_u32 v95, v104, 23, 8
	v_and_b32_e32 v105, 0x7fffff, v104
	v_sub_nc_u32_e32 v106, 0x70, v95
	v_cmp_gt_u32_e32 vcc_lo, 0x71, v95
	v_or_b32_e32 v107, 0x800000, v105
	v_cndmask_b32_e32 v106, 0, v106, vcc_lo
	v_cmp_eq_u32_e32 vcc_lo, 0, v95
	v_add_nc_u32_e32 v95, 0xffffff91, v95
	v_cndmask_b32_e64 v106, v106, 0x6f, vcc_lo
	v_cndmask_b32_e32 v105, v107, v105, vcc_lo
	v_cndmask_b32_e64 v95, v95, 0xffffff92, vcc_lo
	v_lshl_add_u32 v107, 0x200000, v106, -1
	v_lshrrev_b32_e32 v108, v106, v105
	v_lshlrev_b32_e64 v110, v106, 0x100000
	v_add_nc_u32_e32 v106, v106, v95
	v_and_b32_e32 v105, v107, v105
	v_bfe_u32 v109, v108, 21, 1
	v_cmp_eq_u32_e64 s16, v105, v110
	v_add_nc_u32_e32 v107, -1, v109
	v_cndmask_b32_e64 v105, 0, v107, s16
	v_lshrrev_b32_e32 v107, 23, v108
	s_mov_b32 s16, exec_lo
	v_add_nc_u32_e32 v105, v105, v108
	v_xor_b32_e32 v107, 1, v107
	v_and_b32_e32 v95, 0x1fffff, v105
	v_add_nc_u32_e32 v105, v95, v108
                                        ; implicit-def: $vgpr95
	v_cmpx_ne_u32_e64 v106, v107
	s_xor_b32 s16, exec_lo, s16
; %bb.556:                              ;   in Loop: Header=BB2_133 Depth=3
	v_cmp_lt_u32_e32 vcc_lo, 0xffffff, v105
	v_sub_nc_u32_e32 v95, v106, v107
	v_cndmask_b32_e64 v106, 0, 1, vcc_lo
	v_add_co_ci_u32_e64 v95, null, 0, v95, vcc_lo
	v_lshrrev_b32_e32 v105, v106, v105
; %bb.557:                              ;   in Loop: Header=BB2_133 Depth=3
	s_andn2_saveexec_b32 s16, s16
; %bb.558:                              ;   in Loop: Header=BB2_133 Depth=3
	v_bfe_u32 v95, v105, 23, 1
; %bb.559:                              ;   in Loop: Header=BB2_133 Depth=3
	s_or_b32 exec_lo, exec_lo, s16
	v_lshrrev_b32_e32 v105, 21, v105
	v_min_i32_e32 v106, 31, v95
	v_cmp_gt_i32_e32 vcc_lo, 32, v95
	v_and_b32_sdwa v104, v104, v98 dst_sel:DWORD dst_unused:UNUSED_PAD src0_sel:BYTE_3 src1_sel:DWORD
	v_lshlrev_b32_e32 v106, 2, v106
	v_cndmask_b32_e32 v105, 3, v105, vcc_lo
	v_and_b32_e32 v106, 0xfc, v106
	v_and_b32_e32 v107, 3, v105
	v_or_b32_e32 v95, v95, v105
	v_or3_b32 v104, v104, v106, v107
	v_cmp_ne_u32_e32 vcc_lo, 0, v95
	v_lshlrev_b32_e32 v104, 8, v104
	v_cndmask_b32_e32 v95, 0, v104, vcc_lo
.LBB2_560:                              ;   in Loop: Header=BB2_133 Depth=3
	s_or_b32 exec_lo, exec_lo, s73
.LBB2_561:                              ;   in Loop: Header=BB2_133 Depth=3
	s_or_b32 exec_lo, exec_lo, s72
	v_and_b32_sdwa v105, v11, v101 dst_sel:DWORD dst_unused:UNUSED_PAD src0_sel:WORD_1 src1_sel:DWORD
	s_mov_b32 s16, 0
	s_mov_b32 s72, exec_lo
	v_cmpx_lt_i16_e32 0x7f, v105
	s_xor_b32 s72, exec_lo, s72
	s_cbranch_execz .LBB2_647
; %bb.562:                              ;   in Loop: Header=BB2_133 Depth=3
	s_mov_b32 s16, -1
	s_mov_b32 s73, exec_lo
	v_cmpx_eq_u16_e32 0x80, v105
; %bb.563:                              ;   in Loop: Header=BB2_133 Depth=3
	s_xor_b32 s16, exec_lo, -1
; %bb.564:                              ;   in Loop: Header=BB2_133 Depth=3
	s_or_b32 exec_lo, exec_lo, s73
	s_and_b32 s16, s16, exec_lo
                                        ; implicit-def: $vgpr105
	s_or_saveexec_b32 s72, s72
	v_mov_b32_e32 v104, 0x7f800001
	s_xor_b32 exec_lo, exec_lo, s72
	s_cbranch_execnz .LBB2_648
.LBB2_565:                              ;   in Loop: Header=BB2_133 Depth=3
	s_or_b32 exec_lo, exec_lo, s72
	s_and_saveexec_b32 s72, s16
	s_cbranch_execz .LBB2_567
.LBB2_566:                              ;   in Loop: Header=BB2_133 Depth=3
	v_bfe_u32 v104, v11, 16, 2
	v_bfe_u32 v107, v11, 18, 5
	v_lshlrev_b32_e32 v108, 8, v11
	v_ffbh_u32_e32 v105, v104
	v_cmp_eq_u32_e32 vcc_lo, 0, v107
	v_min_u32_e32 v105, 32, v105
	v_subrev_nc_u32_e32 v106, 29, v105
	v_sub_nc_u32_e32 v105, 30, v105
	v_lshlrev_b32_sdwa v106, v106, v11 dst_sel:DWORD dst_unused:UNUSED_PAD src0_sel:DWORD src1_sel:WORD_1
	v_cndmask_b32_e32 v105, v107, v105, vcc_lo
	v_and_b32_e32 v106, 3, v106
	v_lshl_add_u32 v105, v105, 23, 0x37800000
	v_cndmask_b32_e32 v104, v104, v106, vcc_lo
	v_and_b32_e32 v106, 0x80000000, v108
	v_lshlrev_b32_e32 v104, 21, v104
	v_or3_b32 v104, v106, v105, v104
.LBB2_567:                              ;   in Loop: Header=BB2_133 Depth=3
	s_or_b32 exec_lo, exec_lo, s72
	v_mul_f32_e32 v105, s63, v104
	v_and_b32_e32 v104, 0x7f800000, v105
	v_cmp_ne_u32_e32 vcc_lo, 0x7f800000, v104
	v_mov_b32_e32 v104, 0x80
	s_and_saveexec_b32 s72, vcc_lo
	s_cbranch_execz .LBB2_575
; %bb.568:                              ;   in Loop: Header=BB2_133 Depth=3
	v_mov_b32_e32 v104, 0
	s_mov_b32 s73, exec_lo
	v_cmpx_ne_u32_e32 0, v105
	s_cbranch_execz .LBB2_574
; %bb.569:                              ;   in Loop: Header=BB2_133 Depth=3
	v_bfe_u32 v104, v105, 23, 8
	v_and_b32_e32 v106, 0x7fffff, v105
	v_sub_nc_u32_e32 v107, 0x70, v104
	v_cmp_gt_u32_e32 vcc_lo, 0x71, v104
	v_or_b32_e32 v108, 0x800000, v106
	v_cndmask_b32_e32 v107, 0, v107, vcc_lo
	v_cmp_eq_u32_e32 vcc_lo, 0, v104
	v_add_nc_u32_e32 v104, 0xffffff91, v104
	v_cndmask_b32_e64 v107, v107, 0x6f, vcc_lo
	v_cndmask_b32_e32 v106, v108, v106, vcc_lo
	v_cndmask_b32_e64 v104, v104, 0xffffff92, vcc_lo
	v_lshl_add_u32 v108, 0x200000, v107, -1
	v_lshrrev_b32_e32 v109, v107, v106
	v_lshlrev_b32_e64 v111, v107, 0x100000
	v_add_nc_u32_e32 v107, v107, v104
	v_and_b32_e32 v106, v108, v106
	v_bfe_u32 v110, v109, 21, 1
	v_cmp_eq_u32_e64 s16, v106, v111
	v_add_nc_u32_e32 v108, -1, v110
	v_cndmask_b32_e64 v106, 0, v108, s16
	v_lshrrev_b32_e32 v108, 23, v109
	s_mov_b32 s16, exec_lo
	v_add_nc_u32_e32 v106, v106, v109
	v_xor_b32_e32 v108, 1, v108
	v_and_b32_e32 v104, 0x1fffff, v106
	v_add_nc_u32_e32 v106, v104, v109
                                        ; implicit-def: $vgpr104
	v_cmpx_ne_u32_e64 v107, v108
	s_xor_b32 s16, exec_lo, s16
; %bb.570:                              ;   in Loop: Header=BB2_133 Depth=3
	v_cmp_lt_u32_e32 vcc_lo, 0xffffff, v106
	v_sub_nc_u32_e32 v104, v107, v108
	v_cndmask_b32_e64 v107, 0, 1, vcc_lo
	v_add_co_ci_u32_e64 v104, null, 0, v104, vcc_lo
	v_lshrrev_b32_e32 v106, v107, v106
; %bb.571:                              ;   in Loop: Header=BB2_133 Depth=3
	s_andn2_saveexec_b32 s16, s16
; %bb.572:                              ;   in Loop: Header=BB2_133 Depth=3
	v_bfe_u32 v104, v106, 23, 1
; %bb.573:                              ;   in Loop: Header=BB2_133 Depth=3
	s_or_b32 exec_lo, exec_lo, s16
	v_lshrrev_b32_e32 v106, 21, v106
	v_min_i32_e32 v107, 31, v104
	v_cmp_gt_i32_e32 vcc_lo, 32, v104
	v_and_b32_sdwa v105, v105, v98 dst_sel:DWORD dst_unused:UNUSED_PAD src0_sel:BYTE_3 src1_sel:DWORD
	v_lshlrev_b32_e32 v107, 2, v107
	v_cndmask_b32_e32 v106, 3, v106, vcc_lo
	v_and_b32_e32 v107, 0xfc, v107
	v_and_b32_e32 v108, 3, v106
	v_or_b32_e32 v104, v104, v106
	v_or3_b32 v105, v107, v105, v108
	v_cmp_ne_u32_e32 vcc_lo, 0, v104
	v_cndmask_b32_e32 v104, 0, v105, vcc_lo
.LBB2_574:                              ;   in Loop: Header=BB2_133 Depth=3
	s_or_b32 exec_lo, exec_lo, s73
.LBB2_575:                              ;   in Loop: Header=BB2_133 Depth=3
	s_or_b32 exec_lo, exec_lo, s72
	v_cmp_gt_i16_sdwa s72, v11, v97 src0_sel:BYTE_3 src1_sel:DWORD
	s_mov_b32 s16, 0
	s_and_saveexec_b32 s73, s72
	s_xor_b32 s72, exec_lo, s73
	s_cbranch_execz .LBB2_649
; %bb.576:                              ;   in Loop: Header=BB2_133 Depth=3
	v_cmp_eq_u16_sdwa s74, v11, v98 src0_sel:BYTE_3 src1_sel:DWORD
	s_mov_b32 s16, -1
	s_and_saveexec_b32 s73, s74
; %bb.577:                              ;   in Loop: Header=BB2_133 Depth=3
	s_xor_b32 s16, exec_lo, -1
; %bb.578:                              ;   in Loop: Header=BB2_133 Depth=3
	s_or_b32 exec_lo, exec_lo, s73
	s_and_b32 s16, s16, exec_lo
	s_or_saveexec_b32 s72, s72
	v_mov_b32_e32 v105, 0x7f800001
	s_xor_b32 exec_lo, exec_lo, s72
	s_cbranch_execnz .LBB2_650
.LBB2_579:                              ;   in Loop: Header=BB2_133 Depth=3
	s_or_b32 exec_lo, exec_lo, s72
	s_and_saveexec_b32 s72, s16
	s_cbranch_execz .LBB2_581
.LBB2_580:                              ;   in Loop: Header=BB2_133 Depth=3
	v_bfe_u32 v105, v11, 24, 2
	v_bfe_u32 v108, v11, 26, 5
	v_ffbh_u32_e32 v106, v105
	v_cmp_eq_u32_e32 vcc_lo, 0, v108
	v_min_u32_e32 v106, 32, v106
	v_subrev_nc_u32_e32 v107, 29, v106
	v_sub_nc_u32_e32 v106, 30, v106
	v_lshlrev_b32_sdwa v107, v107, v11 dst_sel:DWORD dst_unused:UNUSED_PAD src0_sel:DWORD src1_sel:BYTE_3
	v_cndmask_b32_e32 v106, v108, v106, vcc_lo
	v_and_b32_e32 v11, 0x80000000, v11
	v_and_b32_e32 v107, 3, v107
	v_lshl_add_u32 v106, v106, 23, 0x37800000
	v_cndmask_b32_e32 v105, v105, v107, vcc_lo
	v_lshlrev_b32_e32 v105, 21, v105
	v_or3_b32 v105, v11, v106, v105
.LBB2_581:                              ;   in Loop: Header=BB2_133 Depth=3
	s_or_b32 exec_lo, exec_lo, s72
	v_mul_f32_e32 v11, s63, v105
	v_and_b32_e32 v105, 0x7f800000, v11
	v_cmp_ne_u32_e32 vcc_lo, 0x7f800000, v105
	v_mov_b32_e32 v105, 0x8000
	s_and_saveexec_b32 s63, vcc_lo
	s_cbranch_execz .LBB2_132
; %bb.582:                              ;   in Loop: Header=BB2_133 Depth=3
	v_mov_b32_e32 v105, 0
	s_mov_b32 s72, exec_lo
	v_cmpx_ne_u32_e32 0, v11
	s_cbranch_execz .LBB2_131
; %bb.583:                              ;   in Loop: Header=BB2_133 Depth=3
	v_bfe_u32 v105, v11, 23, 8
	v_and_b32_e32 v106, 0x7fffff, v11
	v_sub_nc_u32_e32 v107, 0x70, v105
	v_cmp_gt_u32_e32 vcc_lo, 0x71, v105
	v_or_b32_e32 v108, 0x800000, v106
	v_cndmask_b32_e32 v107, 0, v107, vcc_lo
	v_cmp_eq_u32_e32 vcc_lo, 0, v105
	v_add_nc_u32_e32 v105, 0xffffff91, v105
	v_cndmask_b32_e64 v107, v107, 0x6f, vcc_lo
	v_cndmask_b32_e32 v106, v108, v106, vcc_lo
	v_cndmask_b32_e64 v105, v105, 0xffffff92, vcc_lo
	v_lshl_add_u32 v108, 0x200000, v107, -1
	v_lshrrev_b32_e32 v109, v107, v106
	v_lshlrev_b32_e64 v111, v107, 0x100000
	v_add_nc_u32_e32 v107, v107, v105
	v_and_b32_e32 v106, v108, v106
	v_bfe_u32 v110, v109, 21, 1
	v_cmp_eq_u32_e64 s16, v106, v111
	v_add_nc_u32_e32 v108, -1, v110
	v_cndmask_b32_e64 v106, 0, v108, s16
	v_lshrrev_b32_e32 v108, 23, v109
	s_mov_b32 s16, exec_lo
	v_add_nc_u32_e32 v106, v106, v109
	v_xor_b32_e32 v108, 1, v108
	v_and_b32_e32 v105, 0x1fffff, v106
	v_add_nc_u32_e32 v106, v105, v109
                                        ; implicit-def: $vgpr105
	v_cmpx_ne_u32_e64 v107, v108
	s_xor_b32 s16, exec_lo, s16
; %bb.584:                              ;   in Loop: Header=BB2_133 Depth=3
	v_cmp_lt_u32_e32 vcc_lo, 0xffffff, v106
	v_sub_nc_u32_e32 v105, v107, v108
	v_cndmask_b32_e64 v107, 0, 1, vcc_lo
	v_add_co_ci_u32_e64 v105, null, 0, v105, vcc_lo
	v_lshrrev_b32_e32 v106, v107, v106
; %bb.585:                              ;   in Loop: Header=BB2_133 Depth=3
	s_andn2_saveexec_b32 s16, s16
	s_cbranch_execz .LBB2_130
; %bb.586:                              ;   in Loop: Header=BB2_133 Depth=3
	v_bfe_u32 v105, v106, 23, 1
	s_branch .LBB2_130
.LBB2_587:                              ;   in Loop: Header=BB2_133 Depth=3
	s_or_saveexec_b32 s72, s72
	v_mov_b32_e32 v47, 0x7f800001
	s_xor_b32 exec_lo, exec_lo, s72
	s_cbranch_execz .LBB2_145
.LBB2_588:                              ;   in Loop: Header=BB2_133 Depth=3
	v_cmp_ne_u16_sdwa s73, v8, v2 src0_sel:BYTE_0 src1_sel:DWORD
	v_mov_b32_e32 v47, 0
	s_andn2_b32 s16, s16, exec_lo
	s_and_b32 s73, s73, exec_lo
	s_or_b32 s16, s16, s73
	s_or_b32 exec_lo, exec_lo, s72
	s_and_saveexec_b32 s72, s16
	s_cbranch_execnz .LBB2_146
	s_branch .LBB2_147
.LBB2_589:                              ;   in Loop: Header=BB2_133 Depth=3
	s_or_saveexec_b32 s72, s72
	v_mov_b32_e32 v56, 0x7f800001
	s_xor_b32 exec_lo, exec_lo, s72
	s_cbranch_execz .LBB2_159
.LBB2_590:                              ;   in Loop: Header=BB2_133 Depth=3
	v_cmp_ne_u16_sdwa s73, v8, v2 src0_sel:BYTE_1 src1_sel:DWORD
	v_mov_b32_e32 v56, 0
	s_andn2_b32 s16, s16, exec_lo
	s_and_b32 s73, s73, exec_lo
	s_or_b32 s16, s16, s73
	s_or_b32 exec_lo, exec_lo, s72
	s_and_saveexec_b32 s72, s16
	s_cbranch_execnz .LBB2_160
	s_branch .LBB2_161
.LBB2_591:                              ;   in Loop: Header=BB2_133 Depth=3
	s_or_saveexec_b32 s72, s72
	v_mov_b32_e32 v57, 0x7f800001
	s_xor_b32 exec_lo, exec_lo, s72
	s_cbranch_execz .LBB2_173
.LBB2_592:                              ;   in Loop: Header=BB2_133 Depth=3
	v_cmp_ne_u16_e32 vcc_lo, 0, v58
	v_mov_b32_e32 v57, 0
	s_andn2_b32 s16, s16, exec_lo
	s_and_b32 s73, vcc_lo, exec_lo
	s_or_b32 s16, s16, s73
	s_or_b32 exec_lo, exec_lo, s72
	s_and_saveexec_b32 s72, s16
	s_cbranch_execnz .LBB2_174
	s_branch .LBB2_175
.LBB2_593:                              ;   in Loop: Header=BB2_133 Depth=3
	s_or_saveexec_b32 s72, s72
	v_mov_b32_e32 v58, 0x7f800001
	s_xor_b32 exec_lo, exec_lo, s72
	s_cbranch_execz .LBB2_187
.LBB2_594:                              ;   in Loop: Header=BB2_133 Depth=3
	v_cmp_ne_u16_sdwa s73, v8, v2 src0_sel:BYTE_3 src1_sel:DWORD
	v_mov_b32_e32 v58, 0
	s_andn2_b32 s16, s16, exec_lo
	s_and_b32 s73, s73, exec_lo
	s_or_b32 s16, s16, s73
	s_or_b32 exec_lo, exec_lo, s72
	s_and_saveexec_b32 s72, s16
	s_cbranch_execnz .LBB2_188
	s_branch .LBB2_189
.LBB2_595:                              ;   in Loop: Header=BB2_133 Depth=3
	s_or_saveexec_b32 s72, s72
	v_mov_b32_e32 v8, 0x7f800001
	s_xor_b32 exec_lo, exec_lo, s72
	s_cbranch_execz .LBB2_201
.LBB2_596:                              ;   in Loop: Header=BB2_133 Depth=3
	v_cmp_ne_u16_sdwa s73, v9, v2 src0_sel:BYTE_0 src1_sel:DWORD
	v_mov_b32_e32 v8, 0
	s_andn2_b32 s16, s16, exec_lo
	s_and_b32 s73, s73, exec_lo
	s_or_b32 s16, s16, s73
	s_or_b32 exec_lo, exec_lo, s72
	s_and_saveexec_b32 s72, s16
	s_cbranch_execnz .LBB2_202
	s_branch .LBB2_203
.LBB2_597:                              ;   in Loop: Header=BB2_133 Depth=3
	s_or_saveexec_b32 s72, s72
	v_mov_b32_e32 v8, 0x7f800001
	s_xor_b32 exec_lo, exec_lo, s72
	s_cbranch_execz .LBB2_215
.LBB2_598:                              ;   in Loop: Header=BB2_133 Depth=3
	v_cmp_ne_u16_sdwa s73, v9, v2 src0_sel:BYTE_1 src1_sel:DWORD
	v_mov_b32_e32 v8, 0
	s_andn2_b32 s16, s16, exec_lo
	s_and_b32 s73, s73, exec_lo
	s_or_b32 s16, s16, s73
	s_or_b32 exec_lo, exec_lo, s72
	s_and_saveexec_b32 s72, s16
	s_cbranch_execnz .LBB2_216
	s_branch .LBB2_217
.LBB2_599:                              ;   in Loop: Header=BB2_133 Depth=3
	s_or_saveexec_b32 s72, s72
	v_mov_b32_e32 v8, 0x7f800001
	s_xor_b32 exec_lo, exec_lo, s72
	s_cbranch_execz .LBB2_229
.LBB2_600:                              ;   in Loop: Header=BB2_133 Depth=3
	v_cmp_ne_u16_e32 vcc_lo, 0, v61
	v_mov_b32_e32 v8, 0
	s_andn2_b32 s16, s16, exec_lo
	s_and_b32 s73, vcc_lo, exec_lo
	s_or_b32 s16, s16, s73
	s_or_b32 exec_lo, exec_lo, s72
	s_and_saveexec_b32 s72, s16
	s_cbranch_execnz .LBB2_230
	s_branch .LBB2_231
.LBB2_601:                              ;   in Loop: Header=BB2_133 Depth=3
	s_or_saveexec_b32 s72, s72
	v_mov_b32_e32 v8, 0x7f800001
	s_xor_b32 exec_lo, exec_lo, s72
	s_cbranch_execz .LBB2_243
.LBB2_602:                              ;   in Loop: Header=BB2_133 Depth=3
	v_cmp_ne_u16_sdwa s73, v9, v2 src0_sel:BYTE_3 src1_sel:DWORD
	v_mov_b32_e32 v8, 0
	s_andn2_b32 s16, s16, exec_lo
	s_and_b32 s73, s73, exec_lo
	s_or_b32 s16, s16, s73
	s_or_b32 exec_lo, exec_lo, s72
	s_and_saveexec_b32 s72, s16
	s_cbranch_execnz .LBB2_244
	s_branch .LBB2_245
.LBB2_603:                              ;   in Loop: Header=BB2_133 Depth=3
	s_or_saveexec_b32 s72, s72
	v_mov_b32_e32 v8, 0x7f800001
	s_xor_b32 exec_lo, exec_lo, s72
	s_cbranch_execz .LBB2_257
.LBB2_604:                              ;   in Loop: Header=BB2_133 Depth=3
	v_cmp_ne_u16_sdwa s73, v10, v2 src0_sel:BYTE_0 src1_sel:DWORD
	v_mov_b32_e32 v8, 0
	s_andn2_b32 s16, s16, exec_lo
	s_and_b32 s73, s73, exec_lo
	s_or_b32 s16, s16, s73
	s_or_b32 exec_lo, exec_lo, s72
	s_and_saveexec_b32 s72, s16
	s_cbranch_execnz .LBB2_258
	s_branch .LBB2_259
.LBB2_605:                              ;   in Loop: Header=BB2_133 Depth=3
	s_or_saveexec_b32 s72, s72
	v_mov_b32_e32 v8, 0x7f800001
	s_xor_b32 exec_lo, exec_lo, s72
	s_cbranch_execz .LBB2_271
.LBB2_606:                              ;   in Loop: Header=BB2_133 Depth=3
	v_cmp_ne_u16_sdwa s73, v10, v2 src0_sel:BYTE_1 src1_sel:DWORD
	v_mov_b32_e32 v8, 0
	s_andn2_b32 s16, s16, exec_lo
	s_and_b32 s73, s73, exec_lo
	s_or_b32 s16, s16, s73
	s_or_b32 exec_lo, exec_lo, s72
	s_and_saveexec_b32 s72, s16
	s_cbranch_execnz .LBB2_272
	s_branch .LBB2_273
.LBB2_607:                              ;   in Loop: Header=BB2_133 Depth=3
	s_or_saveexec_b32 s72, s72
	v_mov_b32_e32 v8, 0x7f800001
	s_xor_b32 exec_lo, exec_lo, s72
	s_cbranch_execz .LBB2_285
.LBB2_608:                              ;   in Loop: Header=BB2_133 Depth=3
	v_cmp_ne_u16_e32 vcc_lo, 0, v9
	v_mov_b32_e32 v8, 0
	s_andn2_b32 s16, s16, exec_lo
	s_and_b32 s73, vcc_lo, exec_lo
	s_or_b32 s16, s16, s73
	s_or_b32 exec_lo, exec_lo, s72
	s_and_saveexec_b32 s72, s16
	s_cbranch_execnz .LBB2_286
	s_branch .LBB2_287
.LBB2_609:                              ;   in Loop: Header=BB2_133 Depth=3
	s_or_saveexec_b32 s72, s72
	v_mov_b32_e32 v8, 0x7f800001
	s_xor_b32 exec_lo, exec_lo, s72
	s_cbranch_execz .LBB2_299
.LBB2_610:                              ;   in Loop: Header=BB2_133 Depth=3
	v_cmp_ne_u16_sdwa s73, v10, v2 src0_sel:BYTE_3 src1_sel:DWORD
	v_mov_b32_e32 v8, 0
	s_andn2_b32 s16, s16, exec_lo
	s_and_b32 s73, s73, exec_lo
	s_or_b32 s16, s16, s73
	s_or_b32 exec_lo, exec_lo, s72
	s_and_saveexec_b32 s72, s16
	s_cbranch_execnz .LBB2_300
	s_branch .LBB2_301
.LBB2_611:                              ;   in Loop: Header=BB2_133 Depth=3
	s_or_saveexec_b32 s72, s72
	v_mov_b32_e32 v8, 0x7f800001
	s_xor_b32 exec_lo, exec_lo, s72
	s_cbranch_execz .LBB2_313
.LBB2_612:                              ;   in Loop: Header=BB2_133 Depth=3
	v_cmp_ne_u16_sdwa s73, v11, v2 src0_sel:BYTE_0 src1_sel:DWORD
	v_mov_b32_e32 v8, 0
	s_andn2_b32 s16, s16, exec_lo
	s_and_b32 s73, s73, exec_lo
	s_or_b32 s16, s16, s73
	s_or_b32 exec_lo, exec_lo, s72
	s_and_saveexec_b32 s72, s16
	s_cbranch_execnz .LBB2_314
	s_branch .LBB2_315
.LBB2_613:                              ;   in Loop: Header=BB2_133 Depth=3
	s_or_saveexec_b32 s72, s72
	v_mov_b32_e32 v8, 0x7f800001
	s_xor_b32 exec_lo, exec_lo, s72
	s_cbranch_execz .LBB2_327
.LBB2_614:                              ;   in Loop: Header=BB2_133 Depth=3
	v_cmp_ne_u16_sdwa s73, v11, v2 src0_sel:BYTE_1 src1_sel:DWORD
	v_mov_b32_e32 v8, 0
	s_andn2_b32 s16, s16, exec_lo
	s_and_b32 s73, s73, exec_lo
	s_or_b32 s16, s16, s73
	s_or_b32 exec_lo, exec_lo, s72
	s_and_saveexec_b32 s72, s16
	s_cbranch_execnz .LBB2_328
	s_branch .LBB2_329
.LBB2_615:                              ;   in Loop: Header=BB2_133 Depth=3
	s_or_saveexec_b32 s72, s72
	v_mov_b32_e32 v8, 0x7f800001
	s_xor_b32 exec_lo, exec_lo, s72
	s_cbranch_execz .LBB2_341
.LBB2_616:                              ;   in Loop: Header=BB2_133 Depth=3
	v_cmp_ne_u16_e32 vcc_lo, 0, v9
	v_mov_b32_e32 v8, 0
	s_andn2_b32 s16, s16, exec_lo
	s_and_b32 s73, vcc_lo, exec_lo
	s_or_b32 s16, s16, s73
	s_or_b32 exec_lo, exec_lo, s72
	s_and_saveexec_b32 s72, s16
	s_cbranch_execnz .LBB2_342
	s_branch .LBB2_343
.LBB2_617:                              ;   in Loop: Header=BB2_133 Depth=3
	s_or_saveexec_b32 s72, s72
	v_mov_b32_e32 v8, 0x7f800001
	s_xor_b32 exec_lo, exec_lo, s72
	s_cbranch_execz .LBB2_355
.LBB2_618:                              ;   in Loop: Header=BB2_133 Depth=3
	v_cmp_ne_u16_sdwa s73, v11, v2 src0_sel:BYTE_3 src1_sel:DWORD
	v_mov_b32_e32 v8, 0
	s_andn2_b32 s16, s16, exec_lo
	s_and_b32 s73, s73, exec_lo
	s_or_b32 s16, s16, s73
	s_or_b32 exec_lo, exec_lo, s72
	s_and_saveexec_b32 s72, s16
	s_cbranch_execnz .LBB2_356
	s_branch .LBB2_357
.LBB2_619:                              ;   in Loop: Header=BB2_133 Depth=3
	s_or_saveexec_b32 s72, s72
	v_mov_b32_e32 v68, 0x7f800001
	s_xor_b32 exec_lo, exec_lo, s72
	s_cbranch_execz .LBB2_369
.LBB2_620:                              ;   in Loop: Header=BB2_133 Depth=3
	v_cmp_ne_u16_sdwa s73, v8, v2 src0_sel:BYTE_0 src1_sel:DWORD
	v_mov_b32_e32 v68, 0
	s_andn2_b32 s16, s16, exec_lo
	s_and_b32 s73, s73, exec_lo
	s_or_b32 s16, s16, s73
	s_or_b32 exec_lo, exec_lo, s72
	s_and_saveexec_b32 s72, s16
	s_cbranch_execnz .LBB2_370
	s_branch .LBB2_371
.LBB2_621:                              ;   in Loop: Header=BB2_133 Depth=3
	s_or_saveexec_b32 s72, s72
	v_mov_b32_e32 v69, 0x7f800001
	s_xor_b32 exec_lo, exec_lo, s72
	s_cbranch_execz .LBB2_383
.LBB2_622:                              ;   in Loop: Header=BB2_133 Depth=3
	v_cmp_ne_u16_sdwa s73, v8, v2 src0_sel:BYTE_1 src1_sel:DWORD
	v_mov_b32_e32 v69, 0
	s_andn2_b32 s16, s16, exec_lo
	s_and_b32 s73, s73, exec_lo
	s_or_b32 s16, s16, s73
	s_or_b32 exec_lo, exec_lo, s72
	s_and_saveexec_b32 s72, s16
	s_cbranch_execnz .LBB2_384
	s_branch .LBB2_385
.LBB2_623:                              ;   in Loop: Header=BB2_133 Depth=3
	s_or_saveexec_b32 s72, s72
	v_mov_b32_e32 v79, 0x7f800001
	s_xor_b32 exec_lo, exec_lo, s72
	s_cbranch_execz .LBB2_397
.LBB2_624:                              ;   in Loop: Header=BB2_133 Depth=3
	v_cmp_ne_u16_e32 vcc_lo, 0, v88
	v_mov_b32_e32 v79, 0
	s_andn2_b32 s16, s16, exec_lo
	s_and_b32 s73, vcc_lo, exec_lo
	s_or_b32 s16, s16, s73
	s_or_b32 exec_lo, exec_lo, s72
	s_and_saveexec_b32 s72, s16
	s_cbranch_execnz .LBB2_398
	s_branch .LBB2_399
.LBB2_625:                              ;   in Loop: Header=BB2_133 Depth=3
	s_or_saveexec_b32 s72, s72
	v_mov_b32_e32 v88, 0x7f800001
	s_xor_b32 exec_lo, exec_lo, s72
	s_cbranch_execz .LBB2_411
.LBB2_626:                              ;   in Loop: Header=BB2_133 Depth=3
	v_cmp_ne_u16_sdwa s73, v8, v2 src0_sel:BYTE_3 src1_sel:DWORD
	v_mov_b32_e32 v88, 0
	s_andn2_b32 s16, s16, exec_lo
	s_and_b32 s73, s73, exec_lo
	s_or_b32 s16, s16, s73
	s_or_b32 exec_lo, exec_lo, s72
	s_and_saveexec_b32 s72, s16
	s_cbranch_execnz .LBB2_412
	s_branch .LBB2_413
.LBB2_627:                              ;   in Loop: Header=BB2_133 Depth=3
	s_or_saveexec_b32 s72, s72
	v_mov_b32_e32 v88, 0x7f800001
	s_xor_b32 exec_lo, exec_lo, s72
	s_cbranch_execz .LBB2_425
.LBB2_628:                              ;   in Loop: Header=BB2_133 Depth=3
	v_cmp_ne_u16_sdwa s73, v9, v2 src0_sel:BYTE_0 src1_sel:DWORD
	v_mov_b32_e32 v88, 0
	s_andn2_b32 s16, s16, exec_lo
	s_and_b32 s73, s73, exec_lo
	s_or_b32 s16, s16, s73
	s_or_b32 exec_lo, exec_lo, s72
	s_and_saveexec_b32 s72, s16
	s_cbranch_execnz .LBB2_426
	s_branch .LBB2_427
.LBB2_629:                              ;   in Loop: Header=BB2_133 Depth=3
	s_or_saveexec_b32 s72, s72
	v_mov_b32_e32 v89, 0x7f800001
	s_xor_b32 exec_lo, exec_lo, s72
	s_cbranch_execz .LBB2_439
.LBB2_630:                              ;   in Loop: Header=BB2_133 Depth=3
	v_cmp_ne_u16_sdwa s73, v9, v2 src0_sel:BYTE_1 src1_sel:DWORD
	v_mov_b32_e32 v89, 0
	s_andn2_b32 s16, s16, exec_lo
	s_and_b32 s73, s73, exec_lo
	s_or_b32 s16, s16, s73
	s_or_b32 exec_lo, exec_lo, s72
	s_and_saveexec_b32 s72, s16
	s_cbranch_execnz .LBB2_440
	s_branch .LBB2_441
.LBB2_631:                              ;   in Loop: Header=BB2_133 Depth=3
	s_or_saveexec_b32 s72, s72
	v_mov_b32_e32 v90, 0x7f800001
	s_xor_b32 exec_lo, exec_lo, s72
	s_cbranch_execz .LBB2_453
.LBB2_632:                              ;   in Loop: Header=BB2_133 Depth=3
	v_cmp_ne_u16_e32 vcc_lo, 0, v91
	v_mov_b32_e32 v90, 0
	s_andn2_b32 s16, s16, exec_lo
	s_and_b32 s73, vcc_lo, exec_lo
	s_or_b32 s16, s16, s73
	s_or_b32 exec_lo, exec_lo, s72
	s_and_saveexec_b32 s72, s16
	s_cbranch_execnz .LBB2_454
	s_branch .LBB2_455
.LBB2_633:                              ;   in Loop: Header=BB2_133 Depth=3
	s_or_saveexec_b32 s72, s72
	v_mov_b32_e32 v91, 0x7f800001
	s_xor_b32 exec_lo, exec_lo, s72
	s_cbranch_execz .LBB2_467
.LBB2_634:                              ;   in Loop: Header=BB2_133 Depth=3
	v_cmp_ne_u16_sdwa s73, v9, v2 src0_sel:BYTE_3 src1_sel:DWORD
	v_mov_b32_e32 v91, 0
	s_andn2_b32 s16, s16, exec_lo
	s_and_b32 s73, s73, exec_lo
	s_or_b32 s16, s16, s73
	s_or_b32 exec_lo, exec_lo, s72
	s_and_saveexec_b32 s72, s16
	s_cbranch_execnz .LBB2_468
	s_branch .LBB2_469
.LBB2_635:                              ;   in Loop: Header=BB2_133 Depth=3
	s_or_saveexec_b32 s72, s72
	v_mov_b32_e32 v91, 0x7f800001
	s_xor_b32 exec_lo, exec_lo, s72
	s_cbranch_execz .LBB2_481
.LBB2_636:                              ;   in Loop: Header=BB2_133 Depth=3
	v_cmp_ne_u16_sdwa s73, v10, v2 src0_sel:BYTE_0 src1_sel:DWORD
	v_mov_b32_e32 v91, 0
	s_andn2_b32 s16, s16, exec_lo
	s_and_b32 s73, s73, exec_lo
	s_or_b32 s16, s16, s73
	s_or_b32 exec_lo, exec_lo, s72
	s_and_saveexec_b32 s72, s16
	s_cbranch_execnz .LBB2_482
	s_branch .LBB2_483
.LBB2_637:                              ;   in Loop: Header=BB2_133 Depth=3
	s_or_saveexec_b32 s72, s72
	v_mov_b32_e32 v92, 0x7f800001
	s_xor_b32 exec_lo, exec_lo, s72
	s_cbranch_execz .LBB2_495
.LBB2_638:                              ;   in Loop: Header=BB2_133 Depth=3
	v_cmp_ne_u16_sdwa s73, v10, v2 src0_sel:BYTE_1 src1_sel:DWORD
	v_mov_b32_e32 v92, 0
	s_andn2_b32 s16, s16, exec_lo
	s_and_b32 s73, s73, exec_lo
	s_or_b32 s16, s16, s73
	s_or_b32 exec_lo, exec_lo, s72
	s_and_saveexec_b32 s72, s16
	s_cbranch_execnz .LBB2_496
	s_branch .LBB2_497
.LBB2_639:                              ;   in Loop: Header=BB2_133 Depth=3
	s_or_saveexec_b32 s72, s72
	v_mov_b32_e32 v93, 0x7f800001
	s_xor_b32 exec_lo, exec_lo, s72
	s_cbranch_execz .LBB2_509
.LBB2_640:                              ;   in Loop: Header=BB2_133 Depth=3
	v_cmp_ne_u16_e32 vcc_lo, 0, v94
	v_mov_b32_e32 v93, 0
	s_andn2_b32 s16, s16, exec_lo
	s_and_b32 s73, vcc_lo, exec_lo
	s_or_b32 s16, s16, s73
	s_or_b32 exec_lo, exec_lo, s72
	s_and_saveexec_b32 s72, s16
	s_cbranch_execnz .LBB2_510
	s_branch .LBB2_511
.LBB2_641:                              ;   in Loop: Header=BB2_133 Depth=3
	s_or_saveexec_b32 s72, s72
	v_mov_b32_e32 v94, 0x7f800001
	s_xor_b32 exec_lo, exec_lo, s72
	s_cbranch_execz .LBB2_523
.LBB2_642:                              ;   in Loop: Header=BB2_133 Depth=3
	v_cmp_ne_u16_sdwa s73, v10, v2 src0_sel:BYTE_3 src1_sel:DWORD
	v_mov_b32_e32 v94, 0
	s_andn2_b32 s16, s16, exec_lo
	s_and_b32 s73, s73, exec_lo
	s_or_b32 s16, s16, s73
	s_or_b32 exec_lo, exec_lo, s72
	s_and_saveexec_b32 s72, s16
	s_cbranch_execnz .LBB2_524
	s_branch .LBB2_525
.LBB2_643:                              ;   in Loop: Header=BB2_133 Depth=3
	s_or_saveexec_b32 s72, s72
	v_mov_b32_e32 v94, 0x7f800001
	s_xor_b32 exec_lo, exec_lo, s72
	s_cbranch_execz .LBB2_537
.LBB2_644:                              ;   in Loop: Header=BB2_133 Depth=3
	v_cmp_ne_u16_sdwa s73, v11, v2 src0_sel:BYTE_0 src1_sel:DWORD
	v_mov_b32_e32 v94, 0
	s_andn2_b32 s16, s16, exec_lo
	s_and_b32 s73, s73, exec_lo
	s_or_b32 s16, s16, s73
	s_or_b32 exec_lo, exec_lo, s72
	s_and_saveexec_b32 s72, s16
	s_cbranch_execnz .LBB2_538
	s_branch .LBB2_539
.LBB2_645:                              ;   in Loop: Header=BB2_133 Depth=3
	s_or_saveexec_b32 s72, s72
	v_mov_b32_e32 v95, 0x7f800001
	s_xor_b32 exec_lo, exec_lo, s72
	s_cbranch_execz .LBB2_551
.LBB2_646:                              ;   in Loop: Header=BB2_133 Depth=3
	v_cmp_ne_u16_sdwa s73, v11, v2 src0_sel:BYTE_1 src1_sel:DWORD
	v_mov_b32_e32 v95, 0
	s_andn2_b32 s16, s16, exec_lo
	s_and_b32 s73, s73, exec_lo
	s_or_b32 s16, s16, s73
	s_or_b32 exec_lo, exec_lo, s72
	s_and_saveexec_b32 s72, s16
	s_cbranch_execnz .LBB2_552
	s_branch .LBB2_553
.LBB2_647:                              ;   in Loop: Header=BB2_133 Depth=3
	s_or_saveexec_b32 s72, s72
	v_mov_b32_e32 v104, 0x7f800001
	s_xor_b32 exec_lo, exec_lo, s72
	s_cbranch_execz .LBB2_565
.LBB2_648:                              ;   in Loop: Header=BB2_133 Depth=3
	v_cmp_ne_u16_e32 vcc_lo, 0, v105
	v_mov_b32_e32 v104, 0
	s_andn2_b32 s16, s16, exec_lo
	s_and_b32 s73, vcc_lo, exec_lo
	s_or_b32 s16, s16, s73
	s_or_b32 exec_lo, exec_lo, s72
	s_and_saveexec_b32 s72, s16
	s_cbranch_execnz .LBB2_566
	s_branch .LBB2_567
.LBB2_649:                              ;   in Loop: Header=BB2_133 Depth=3
	s_or_saveexec_b32 s72, s72
	v_mov_b32_e32 v105, 0x7f800001
	s_xor_b32 exec_lo, exec_lo, s72
	s_cbranch_execz .LBB2_579
.LBB2_650:                              ;   in Loop: Header=BB2_133 Depth=3
	v_cmp_ne_u16_sdwa s73, v11, v2 src0_sel:BYTE_3 src1_sel:DWORD
	v_mov_b32_e32 v105, 0
	s_andn2_b32 s16, s16, exec_lo
	s_and_b32 s73, s73, exec_lo
	s_or_b32 s16, s16, s73
	s_or_b32 exec_lo, exec_lo, s72
	s_and_saveexec_b32 s72, s16
	s_cbranch_execnz .LBB2_580
	s_branch .LBB2_581
.LBB2_651:                              ;   in Loop: Header=BB2_57 Depth=2
	s_or_b32 exec_lo, exec_lo, s23
.LBB2_652:                              ;   in Loop: Header=BB2_57 Depth=2
	s_or_b32 exec_lo, exec_lo, s17
	v_lshlrev_b32_e32 v66, 10, v46
	v_mov_b32_e32 v10, 0
	s_mov_b32 s16, 0
	s_mov_b32 s23, exec_lo
                                        ; implicit-def: $vgpr11
                                        ; implicit-def: $vgpr67
	v_cmpx_ne_u32_e64 v3, v66
	s_cbranch_execz .LBB2_922
; %bb.653:                              ;   in Loop: Header=BB2_57 Depth=2
	v_lshlrev_b32_e32 v8, 5, v51
	v_sub_nc_u32_e32 v10, v3, v66
	s_mov_b32 s61, exec_lo
	v_sub_nc_u32_e32 v8, v84, v8
	v_ashrrev_i32_e32 v11, 31, v10
	v_ashrrev_i32_e32 v9, 31, v8
	v_lshrrev_b32_e32 v11, 23, v11
	v_lshrrev_b32_e32 v9, 27, v9
	v_add_nc_u32_e32 v11, v10, v11
	v_add_nc_u32_e32 v9, v8, v9
	v_and_b32_e32 v67, 0xfffffe00, v11
	v_ashrrev_i32_e32 v11, 9, v11
	v_and_b32_e32 v51, 0xffffffe0, v9
	v_sub_nc_u32_e32 v68, v10, v67
	v_ashrrev_i32_e32 v9, 5, v9
	v_sub_nc_u32_e32 v51, v8, v51
	v_cmp_lt_i32_e64 s16, 15, v68
	v_lshlrev_b32_e32 v8, 4, v51
	v_add_co_ci_u32_e64 v11, null, 0, v11, s16
	v_lshl_add_u32 v8, v9, 9, v8
	v_sub_nc_u32_e32 v69, v11, v9
	v_sub_nc_u32_e32 v46, v10, v8
	v_cmpx_lt_i32_e32 15, v46
	s_cbranch_execz .LBB2_921
; %bb.654:                              ;   in Loop: Header=BB2_57 Depth=2
	s_trap 2
	ds_read_b64 v[9:10], v0
	v_add_nc_u32_e32 v47, v8, v66
	v_ashrrev_i32_e32 v56, 31, v47
	s_waitcnt lgkmcnt(0)
	v_readfirstlane_b32 s17, v9
	s_and_b32 s62, s17, 3
	s_bfe_u32 s73, s17, 0x50002
	s_flbit_i32_b32 s63, s62
	s_min_u32 s63, s63, 32
	s_sub_i32 s72, s63, 29
	s_sub_i32 s63, 30, s63
	s_lshl_b32 s72, s17, s72
	s_and_b32 s72, s72, 3
	s_cmp_eq_u32 s73, 0
	s_cselect_b32 s63, s63, s73
	s_cselect_b32 s62, s72, s62
	s_lshl_b32 s72, s17, 24
	s_lshl_b32 s63, s63, 23
	s_and_b32 s72, s72, 0x80000000
	s_add_i32 s63, s63, 0x37800000
	s_lshl_b32 s73, s62, 21
	s_or_b32 s63, s72, s63
	s_mov_b32 s62, 0
	s_or_b32 s63, s63, s73
	s_and_b32 s72, s17, 0xff
	s_branch .LBB2_658
.LBB2_655:                              ;   in Loop: Header=BB2_658 Depth=3
	s_or_b32 exec_lo, exec_lo, s17
	v_lshrrev_b32_e32 v78, 21, v78
	v_min_i32_e32 v79, 31, v77
	v_cmp_gt_i32_e32 vcc_lo, 32, v77
	v_and_b32_sdwa v11, v11, v98 dst_sel:DWORD dst_unused:UNUSED_PAD src0_sel:BYTE_3 src1_sel:DWORD
	v_lshlrev_b32_e32 v79, 2, v79
	v_cndmask_b32_e32 v78, 3, v78, vcc_lo
	v_and_b32_e32 v79, 0xfc, v79
	v_and_b32_e32 v88, 3, v78
	v_or_b32_e32 v77, v77, v78
	v_or3_b32 v11, v11, v79, v88
	v_cmp_ne_u32_e32 vcc_lo, 0, v77
	v_lshlrev_b32_e32 v11, 8, v11
	v_cndmask_b32_e32 v77, 0, v11, vcc_lo
.LBB2_656:                              ;   in Loop: Header=BB2_658 Depth=3
	s_or_b32 exec_lo, exec_lo, s74
.LBB2_657:                              ;   in Loop: Header=BB2_658 Depth=3
	s_or_b32 exec_lo, exec_lo, s73
	v_sub_nc_u32_e32 v46, v46, v114
	v_or_b32_sdwa v9, v9, v62 dst_sel:WORD_1 dst_unused:UNUSED_PAD src0_sel:DWORD src1_sel:DWORD
	v_or_b32_sdwa v8, v8, v59 dst_sel:WORD_1 dst_unused:UNUSED_PAD src0_sel:DWORD src1_sel:DWORD
	;; [unrolled: 1-line block ×4, first 2 shown]
	v_add_co_u32 v78, vcc_lo, v64, v47
	v_add_co_ci_u32_e64 v79, null, v65, v56, vcc_lo
	v_cmp_gt_i32_e32 vcc_lo, 16, v46
	v_add_co_u32 v47, s17, v47, v114
	v_or3_b32 v9, v61, v60, v9
	v_or3_b32 v8, v58, v57, v8
	;; [unrolled: 1-line block ×4, first 2 shown]
	v_sub_nc_u32_e32 v69, v69, v83
	v_add_co_ci_u32_e64 v56, null, 0, v56, s17
	s_or_b32 s62, vcc_lo, s62
	global_store_dwordx4 v[78:79], v[8:11], off glc slc
	s_andn2_b32 exec_lo, exec_lo, s62
	s_cbranch_execz .LBB2_920
.LBB2_658:                              ;   Parent Loop BB2_47 Depth=1
                                        ;     Parent Loop BB2_57 Depth=2
                                        ; =>    This Inner Loop Header: Depth=3
	s_cmpk_lt_i32 s72, 0x80
	s_cbranch_scc1 .LBB2_662
; %bb.659:                              ;   in Loop: Header=BB2_658 Depth=3
	s_and_b32 s17, 0xffff, s72
	s_cmpk_eq_i32 s17, 0x80
	s_mov_b32 s17, -1
	s_cbranch_scc0 .LBB2_661
; %bb.660:                              ;   in Loop: Header=BB2_658 Depth=3
	s_mov_b32 s17, 0
.LBB2_661:                              ;   in Loop: Header=BB2_658 Depth=3
	s_mov_b32 s73, 0x7f800001
	s_branch .LBB2_664
.LBB2_662:                              ;   in Loop: Header=BB2_658 Depth=3
	s_mov_b32 s17, 0
	s_mov_b32 s73, 0x7f800001
	s_cbranch_execz .LBB2_664
; %bb.663:                              ;   in Loop: Header=BB2_658 Depth=3
	s_and_b32 s17, 0xffff, s72
	s_mov_b32 s73, 0
	s_cmp_lg_u32 s17, 0
	s_cselect_b32 s17, -1, 0
.LBB2_664:                              ;   in Loop: Header=BB2_658 Depth=3
	s_andn2_b32 vcc_lo, exec_lo, s17
	s_cbranch_vccnz .LBB2_666
; %bb.665:                              ;   in Loop: Header=BB2_658 Depth=3
	s_mov_b32 s73, s63
.LBB2_666:                              ;   in Loop: Header=BB2_658 Depth=3
	v_add_co_u32 v8, vcc_lo, v54, v47
	v_add_co_ci_u32_e64 v9, null, v55, v56, vcc_lo
	s_mov_b32 s17, 0
	global_load_dwordx4 v[8:11], v[8:9], off slc
	s_waitcnt vmcnt(0)
	v_cmp_gt_i16_sdwa s74, v8, v97 src0_sel:BYTE_0 src1_sel:DWORD
	s_and_saveexec_b32 s75, s74
	s_xor_b32 s74, exec_lo, s75
	s_cbranch_execz .LBB2_888
; %bb.667:                              ;   in Loop: Header=BB2_658 Depth=3
	v_cmp_eq_u16_sdwa s76, v8, v98 src0_sel:BYTE_0 src1_sel:DWORD
	s_mov_b32 s17, -1
	s_and_saveexec_b32 s75, s76
; %bb.668:                              ;   in Loop: Header=BB2_658 Depth=3
	s_xor_b32 s17, exec_lo, -1
; %bb.669:                              ;   in Loop: Header=BB2_658 Depth=3
	s_or_b32 exec_lo, exec_lo, s75
	s_and_b32 s17, s17, exec_lo
	s_or_saveexec_b32 s74, s74
	v_mov_b32_e32 v57, 0x7f800001
	s_xor_b32 exec_lo, exec_lo, s74
	s_cbranch_execnz .LBB2_889
.LBB2_670:                              ;   in Loop: Header=BB2_658 Depth=3
	s_or_b32 exec_lo, exec_lo, s74
	s_and_saveexec_b32 s74, s17
	s_cbranch_execz .LBB2_672
.LBB2_671:                              ;   in Loop: Header=BB2_658 Depth=3
	v_and_b32_e32 v57, 3, v8
	v_bfe_u32 v60, v8, 2, 5
	v_lshlrev_b32_e32 v61, 24, v8
	v_ffbh_u32_e32 v58, v57
	v_cmp_eq_u32_e32 vcc_lo, 0, v60
	v_min_u32_e32 v58, 32, v58
	v_subrev_nc_u32_e32 v59, 29, v58
	v_sub_nc_u32_e32 v58, 30, v58
	v_lshlrev_b32_e32 v59, v59, v8
	v_cndmask_b32_e32 v58, v60, v58, vcc_lo
	v_and_b32_e32 v59, 3, v59
	v_lshl_add_u32 v58, v58, 23, 0x37800000
	v_cndmask_b32_e32 v57, v57, v59, vcc_lo
	v_and_b32_e32 v59, 0x80000000, v61
	v_lshlrev_b32_e32 v57, 21, v57
	v_or3_b32 v57, v59, v58, v57
.LBB2_672:                              ;   in Loop: Header=BB2_658 Depth=3
	s_or_b32 exec_lo, exec_lo, s74
	v_mul_f32_e32 v58, s73, v57
	v_and_b32_e32 v57, 0x7f800000, v58
	v_cmp_ne_u32_e32 vcc_lo, 0x7f800000, v57
	v_mov_b32_e32 v57, 0x80
	s_and_saveexec_b32 s74, vcc_lo
	s_cbranch_execz .LBB2_680
; %bb.673:                              ;   in Loop: Header=BB2_658 Depth=3
	v_mov_b32_e32 v57, 0
	s_mov_b32 s75, exec_lo
	v_cmpx_ne_u32_e32 0, v58
	s_cbranch_execz .LBB2_679
; %bb.674:                              ;   in Loop: Header=BB2_658 Depth=3
	v_bfe_u32 v57, v58, 23, 8
	v_and_b32_e32 v59, 0x7fffff, v58
	v_sub_nc_u32_e32 v60, 0x70, v57
	v_cmp_gt_u32_e32 vcc_lo, 0x71, v57
	v_or_b32_e32 v61, 0x800000, v59
	v_cndmask_b32_e32 v60, 0, v60, vcc_lo
	v_cmp_eq_u32_e32 vcc_lo, 0, v57
	v_add_nc_u32_e32 v57, 0xffffff91, v57
	v_cndmask_b32_e64 v60, v60, 0x6f, vcc_lo
	v_cndmask_b32_e32 v59, v61, v59, vcc_lo
	v_cndmask_b32_e64 v57, v57, 0xffffff92, vcc_lo
	v_lshl_add_u32 v61, 0x200000, v60, -1
	v_lshrrev_b32_e32 v62, v60, v59
	v_lshlrev_b32_e64 v72, v60, 0x100000
	v_add_nc_u32_e32 v60, v60, v57
	v_and_b32_e32 v59, v61, v59
	v_bfe_u32 v63, v62, 21, 1
	v_cmp_eq_u32_e64 s17, v59, v72
	v_add_nc_u32_e32 v61, -1, v63
	v_cndmask_b32_e64 v59, 0, v61, s17
	v_lshrrev_b32_e32 v61, 23, v62
	s_mov_b32 s17, exec_lo
	v_add_nc_u32_e32 v59, v59, v62
	v_xor_b32_e32 v61, 1, v61
	v_and_b32_e32 v57, 0x1fffff, v59
	v_add_nc_u32_e32 v59, v57, v62
                                        ; implicit-def: $vgpr57
	v_cmpx_ne_u32_e64 v60, v61
	s_xor_b32 s17, exec_lo, s17
; %bb.675:                              ;   in Loop: Header=BB2_658 Depth=3
	v_cmp_lt_u32_e32 vcc_lo, 0xffffff, v59
	v_sub_nc_u32_e32 v57, v60, v61
	v_cndmask_b32_e64 v60, 0, 1, vcc_lo
	v_add_co_ci_u32_e64 v57, null, 0, v57, vcc_lo
	v_lshrrev_b32_e32 v59, v60, v59
; %bb.676:                              ;   in Loop: Header=BB2_658 Depth=3
	s_andn2_saveexec_b32 s17, s17
; %bb.677:                              ;   in Loop: Header=BB2_658 Depth=3
	v_bfe_u32 v57, v59, 23, 1
; %bb.678:                              ;   in Loop: Header=BB2_658 Depth=3
	s_or_b32 exec_lo, exec_lo, s17
	v_lshrrev_b32_e32 v59, 21, v59
	v_min_i32_e32 v60, 31, v57
	v_cmp_gt_i32_e32 vcc_lo, 32, v57
	v_and_b32_sdwa v58, v58, v98 dst_sel:DWORD dst_unused:UNUSED_PAD src0_sel:BYTE_3 src1_sel:DWORD
	v_lshlrev_b32_e32 v60, 2, v60
	v_cndmask_b32_e32 v59, 3, v59, vcc_lo
	v_and_b32_e32 v60, 0xfc, v60
	v_and_b32_e32 v61, 3, v59
	v_or_b32_e32 v57, v57, v59
	v_or3_b32 v58, v60, v58, v61
	v_cmp_ne_u32_e32 vcc_lo, 0, v57
	v_cndmask_b32_e32 v57, 0, v58, vcc_lo
.LBB2_679:                              ;   in Loop: Header=BB2_658 Depth=3
	s_or_b32 exec_lo, exec_lo, s75
.LBB2_680:                              ;   in Loop: Header=BB2_658 Depth=3
	s_or_b32 exec_lo, exec_lo, s74
	v_cmp_gt_i16_sdwa s74, v8, v97 src0_sel:BYTE_1 src1_sel:DWORD
	s_mov_b32 s17, 0
	s_and_saveexec_b32 s75, s74
	s_xor_b32 s74, exec_lo, s75
	s_cbranch_execz .LBB2_890
; %bb.681:                              ;   in Loop: Header=BB2_658 Depth=3
	v_cmp_eq_u16_sdwa s76, v8, v98 src0_sel:BYTE_1 src1_sel:DWORD
	s_mov_b32 s17, -1
	s_and_saveexec_b32 s75, s76
; %bb.682:                              ;   in Loop: Header=BB2_658 Depth=3
	s_xor_b32 s17, exec_lo, -1
; %bb.683:                              ;   in Loop: Header=BB2_658 Depth=3
	s_or_b32 exec_lo, exec_lo, s75
	s_and_b32 s17, s17, exec_lo
	s_or_saveexec_b32 s74, s74
	v_mov_b32_e32 v58, 0x7f800001
	s_xor_b32 exec_lo, exec_lo, s74
	s_cbranch_execnz .LBB2_891
.LBB2_684:                              ;   in Loop: Header=BB2_658 Depth=3
	s_or_b32 exec_lo, exec_lo, s74
	s_and_saveexec_b32 s74, s17
	s_cbranch_execz .LBB2_686
.LBB2_685:                              ;   in Loop: Header=BB2_658 Depth=3
	v_and_b32_sdwa v58, v99, v8 dst_sel:DWORD dst_unused:UNUSED_PAD src0_sel:DWORD src1_sel:BYTE_1
	v_and_b32_e32 v59, 3, v58
	v_bfe_u32 v62, v58, 2, 5
	v_ffbh_u32_e32 v60, v59
	v_cmp_eq_u32_e32 vcc_lo, 0, v62
	v_min_u32_e32 v60, 32, v60
	v_subrev_nc_u32_e32 v61, 29, v60
	v_sub_nc_u32_e32 v60, 30, v60
	v_lshlrev_b32_e32 v58, v61, v58
	v_lshlrev_b32_sdwa v61, v100, v8 dst_sel:DWORD dst_unused:UNUSED_PAD src0_sel:DWORD src1_sel:BYTE_1
	v_cndmask_b32_e32 v60, v62, v60, vcc_lo
	v_and_b32_e32 v58, 3, v58
	v_lshl_add_u32 v60, v60, 23, 0x37800000
	v_cndmask_b32_e32 v58, v59, v58, vcc_lo
	v_and_b32_e32 v59, 0x80000000, v61
	v_lshlrev_b32_e32 v58, 21, v58
	v_or3_b32 v58, v59, v60, v58
.LBB2_686:                              ;   in Loop: Header=BB2_658 Depth=3
	s_or_b32 exec_lo, exec_lo, s74
	v_mul_f32_e32 v59, s73, v58
	v_and_b32_e32 v58, 0x7f800000, v59
	v_cmp_ne_u32_e32 vcc_lo, 0x7f800000, v58
	v_mov_b32_e32 v58, 0x8000
	s_and_saveexec_b32 s74, vcc_lo
	s_cbranch_execz .LBB2_694
; %bb.687:                              ;   in Loop: Header=BB2_658 Depth=3
	v_mov_b32_e32 v58, 0
	s_mov_b32 s75, exec_lo
	v_cmpx_ne_u32_e32 0, v59
	s_cbranch_execz .LBB2_693
; %bb.688:                              ;   in Loop: Header=BB2_658 Depth=3
	v_bfe_u32 v58, v59, 23, 8
	v_and_b32_e32 v60, 0x7fffff, v59
	v_sub_nc_u32_e32 v61, 0x70, v58
	v_cmp_gt_u32_e32 vcc_lo, 0x71, v58
	v_or_b32_e32 v62, 0x800000, v60
	v_cndmask_b32_e32 v61, 0, v61, vcc_lo
	v_cmp_eq_u32_e32 vcc_lo, 0, v58
	v_add_nc_u32_e32 v58, 0xffffff91, v58
	v_cndmask_b32_e64 v61, v61, 0x6f, vcc_lo
	v_cndmask_b32_e32 v60, v62, v60, vcc_lo
	v_cndmask_b32_e64 v58, v58, 0xffffff92, vcc_lo
	v_lshl_add_u32 v62, 0x200000, v61, -1
	v_lshrrev_b32_e32 v63, v61, v60
	v_lshlrev_b32_e64 v73, v61, 0x100000
	v_add_nc_u32_e32 v61, v61, v58
	v_and_b32_e32 v60, v62, v60
	v_bfe_u32 v72, v63, 21, 1
	v_cmp_eq_u32_e64 s17, v60, v73
	v_add_nc_u32_e32 v62, -1, v72
	v_cndmask_b32_e64 v60, 0, v62, s17
	v_lshrrev_b32_e32 v62, 23, v63
	s_mov_b32 s17, exec_lo
	v_add_nc_u32_e32 v60, v60, v63
	v_xor_b32_e32 v62, 1, v62
	v_and_b32_e32 v58, 0x1fffff, v60
	v_add_nc_u32_e32 v60, v58, v63
                                        ; implicit-def: $vgpr58
	v_cmpx_ne_u32_e64 v61, v62
	s_xor_b32 s17, exec_lo, s17
; %bb.689:                              ;   in Loop: Header=BB2_658 Depth=3
	v_cmp_lt_u32_e32 vcc_lo, 0xffffff, v60
	v_sub_nc_u32_e32 v58, v61, v62
	v_cndmask_b32_e64 v61, 0, 1, vcc_lo
	v_add_co_ci_u32_e64 v58, null, 0, v58, vcc_lo
	v_lshrrev_b32_e32 v60, v61, v60
; %bb.690:                              ;   in Loop: Header=BB2_658 Depth=3
	s_andn2_saveexec_b32 s17, s17
; %bb.691:                              ;   in Loop: Header=BB2_658 Depth=3
	v_bfe_u32 v58, v60, 23, 1
; %bb.692:                              ;   in Loop: Header=BB2_658 Depth=3
	s_or_b32 exec_lo, exec_lo, s17
	v_lshrrev_b32_e32 v60, 21, v60
	v_min_i32_e32 v61, 31, v58
	v_cmp_gt_i32_e32 vcc_lo, 32, v58
	v_and_b32_sdwa v59, v59, v98 dst_sel:DWORD dst_unused:UNUSED_PAD src0_sel:BYTE_3 src1_sel:DWORD
	v_lshlrev_b32_e32 v61, 2, v61
	v_cndmask_b32_e32 v60, 3, v60, vcc_lo
	v_and_b32_e32 v61, 0xfc, v61
	v_and_b32_e32 v62, 3, v60
	v_or_b32_e32 v58, v58, v60
	v_or3_b32 v59, v59, v61, v62
	v_cmp_ne_u32_e32 vcc_lo, 0, v58
	v_lshlrev_b32_e32 v59, 8, v59
	v_cndmask_b32_e32 v58, 0, v59, vcc_lo
.LBB2_693:                              ;   in Loop: Header=BB2_658 Depth=3
	s_or_b32 exec_lo, exec_lo, s75
.LBB2_694:                              ;   in Loop: Header=BB2_658 Depth=3
	s_or_b32 exec_lo, exec_lo, s74
	v_and_b32_sdwa v60, v8, v101 dst_sel:DWORD dst_unused:UNUSED_PAD src0_sel:WORD_1 src1_sel:DWORD
	s_mov_b32 s17, 0
	s_mov_b32 s74, exec_lo
	v_cmpx_lt_i16_e32 0x7f, v60
	s_xor_b32 s74, exec_lo, s74
	s_cbranch_execz .LBB2_892
; %bb.695:                              ;   in Loop: Header=BB2_658 Depth=3
	s_mov_b32 s17, -1
	s_mov_b32 s75, exec_lo
	v_cmpx_eq_u16_e32 0x80, v60
; %bb.696:                              ;   in Loop: Header=BB2_658 Depth=3
	s_xor_b32 s17, exec_lo, -1
; %bb.697:                              ;   in Loop: Header=BB2_658 Depth=3
	s_or_b32 exec_lo, exec_lo, s75
	s_and_b32 s17, s17, exec_lo
                                        ; implicit-def: $vgpr60
	s_or_saveexec_b32 s74, s74
	v_mov_b32_e32 v59, 0x7f800001
	s_xor_b32 exec_lo, exec_lo, s74
	s_cbranch_execnz .LBB2_893
.LBB2_698:                              ;   in Loop: Header=BB2_658 Depth=3
	s_or_b32 exec_lo, exec_lo, s74
	s_and_saveexec_b32 s74, s17
	s_cbranch_execz .LBB2_700
.LBB2_699:                              ;   in Loop: Header=BB2_658 Depth=3
	v_bfe_u32 v59, v8, 16, 2
	v_bfe_u32 v62, v8, 18, 5
	v_lshlrev_b32_e32 v63, 8, v8
	v_ffbh_u32_e32 v60, v59
	v_cmp_eq_u32_e32 vcc_lo, 0, v62
	v_min_u32_e32 v60, 32, v60
	v_subrev_nc_u32_e32 v61, 29, v60
	v_sub_nc_u32_e32 v60, 30, v60
	v_lshlrev_b32_sdwa v61, v61, v8 dst_sel:DWORD dst_unused:UNUSED_PAD src0_sel:DWORD src1_sel:WORD_1
	v_cndmask_b32_e32 v60, v62, v60, vcc_lo
	v_and_b32_e32 v61, 3, v61
	v_lshl_add_u32 v60, v60, 23, 0x37800000
	v_cndmask_b32_e32 v59, v59, v61, vcc_lo
	v_and_b32_e32 v61, 0x80000000, v63
	v_lshlrev_b32_e32 v59, 21, v59
	v_or3_b32 v59, v61, v60, v59
.LBB2_700:                              ;   in Loop: Header=BB2_658 Depth=3
	s_or_b32 exec_lo, exec_lo, s74
	v_mul_f32_e32 v60, s73, v59
	v_and_b32_e32 v59, 0x7f800000, v60
	v_cmp_ne_u32_e32 vcc_lo, 0x7f800000, v59
	v_mov_b32_e32 v59, 0x80
	s_and_saveexec_b32 s74, vcc_lo
	s_cbranch_execz .LBB2_708
; %bb.701:                              ;   in Loop: Header=BB2_658 Depth=3
	v_mov_b32_e32 v59, 0
	s_mov_b32 s75, exec_lo
	v_cmpx_ne_u32_e32 0, v60
	s_cbranch_execz .LBB2_707
; %bb.702:                              ;   in Loop: Header=BB2_658 Depth=3
	v_bfe_u32 v59, v60, 23, 8
	v_and_b32_e32 v61, 0x7fffff, v60
	v_sub_nc_u32_e32 v62, 0x70, v59
	v_cmp_gt_u32_e32 vcc_lo, 0x71, v59
	v_or_b32_e32 v63, 0x800000, v61
	v_cndmask_b32_e32 v62, 0, v62, vcc_lo
	v_cmp_eq_u32_e32 vcc_lo, 0, v59
	v_add_nc_u32_e32 v59, 0xffffff91, v59
	v_cndmask_b32_e64 v62, v62, 0x6f, vcc_lo
	v_cndmask_b32_e32 v61, v63, v61, vcc_lo
	v_cndmask_b32_e64 v59, v59, 0xffffff92, vcc_lo
	v_lshl_add_u32 v63, 0x200000, v62, -1
	v_lshrrev_b32_e32 v72, v62, v61
	v_lshlrev_b32_e64 v74, v62, 0x100000
	v_add_nc_u32_e32 v62, v62, v59
	v_and_b32_e32 v61, v63, v61
	v_bfe_u32 v73, v72, 21, 1
	v_cmp_eq_u32_e64 s17, v61, v74
	v_add_nc_u32_e32 v63, -1, v73
	v_cndmask_b32_e64 v61, 0, v63, s17
	v_lshrrev_b32_e32 v63, 23, v72
	s_mov_b32 s17, exec_lo
	v_add_nc_u32_e32 v61, v61, v72
	v_xor_b32_e32 v63, 1, v63
	v_and_b32_e32 v59, 0x1fffff, v61
	v_add_nc_u32_e32 v61, v59, v72
                                        ; implicit-def: $vgpr59
	v_cmpx_ne_u32_e64 v62, v63
	s_xor_b32 s17, exec_lo, s17
; %bb.703:                              ;   in Loop: Header=BB2_658 Depth=3
	v_cmp_lt_u32_e32 vcc_lo, 0xffffff, v61
	v_sub_nc_u32_e32 v59, v62, v63
	v_cndmask_b32_e64 v62, 0, 1, vcc_lo
	v_add_co_ci_u32_e64 v59, null, 0, v59, vcc_lo
	v_lshrrev_b32_e32 v61, v62, v61
; %bb.704:                              ;   in Loop: Header=BB2_658 Depth=3
	s_andn2_saveexec_b32 s17, s17
; %bb.705:                              ;   in Loop: Header=BB2_658 Depth=3
	v_bfe_u32 v59, v61, 23, 1
; %bb.706:                              ;   in Loop: Header=BB2_658 Depth=3
	s_or_b32 exec_lo, exec_lo, s17
	v_lshrrev_b32_e32 v61, 21, v61
	v_min_i32_e32 v62, 31, v59
	v_cmp_gt_i32_e32 vcc_lo, 32, v59
	v_and_b32_sdwa v60, v60, v98 dst_sel:DWORD dst_unused:UNUSED_PAD src0_sel:BYTE_3 src1_sel:DWORD
	v_lshlrev_b32_e32 v62, 2, v62
	v_cndmask_b32_e32 v61, 3, v61, vcc_lo
	v_and_b32_e32 v62, 0xfc, v62
	v_and_b32_e32 v63, 3, v61
	v_or_b32_e32 v59, v59, v61
	v_or3_b32 v60, v62, v60, v63
	v_cmp_ne_u32_e32 vcc_lo, 0, v59
	v_cndmask_b32_e32 v59, 0, v60, vcc_lo
.LBB2_707:                              ;   in Loop: Header=BB2_658 Depth=3
	s_or_b32 exec_lo, exec_lo, s75
.LBB2_708:                              ;   in Loop: Header=BB2_658 Depth=3
	s_or_b32 exec_lo, exec_lo, s74
	v_cmp_gt_i16_sdwa s74, v8, v97 src0_sel:BYTE_3 src1_sel:DWORD
	s_mov_b32 s17, 0
	s_and_saveexec_b32 s75, s74
	s_xor_b32 s74, exec_lo, s75
	s_cbranch_execz .LBB2_894
; %bb.709:                              ;   in Loop: Header=BB2_658 Depth=3
	v_cmp_eq_u16_sdwa s76, v8, v98 src0_sel:BYTE_3 src1_sel:DWORD
	s_mov_b32 s17, -1
	s_and_saveexec_b32 s75, s76
; %bb.710:                              ;   in Loop: Header=BB2_658 Depth=3
	s_xor_b32 s17, exec_lo, -1
; %bb.711:                              ;   in Loop: Header=BB2_658 Depth=3
	s_or_b32 exec_lo, exec_lo, s75
	s_and_b32 s17, s17, exec_lo
	s_or_saveexec_b32 s74, s74
	v_mov_b32_e32 v60, 0x7f800001
	s_xor_b32 exec_lo, exec_lo, s74
	s_cbranch_execnz .LBB2_895
.LBB2_712:                              ;   in Loop: Header=BB2_658 Depth=3
	s_or_b32 exec_lo, exec_lo, s74
	s_and_saveexec_b32 s74, s17
	s_cbranch_execz .LBB2_714
.LBB2_713:                              ;   in Loop: Header=BB2_658 Depth=3
	v_bfe_u32 v60, v8, 24, 2
	v_bfe_u32 v63, v8, 26, 5
	v_ffbh_u32_e32 v61, v60
	v_cmp_eq_u32_e32 vcc_lo, 0, v63
	v_min_u32_e32 v61, 32, v61
	v_subrev_nc_u32_e32 v62, 29, v61
	v_sub_nc_u32_e32 v61, 30, v61
	v_lshlrev_b32_sdwa v62, v62, v8 dst_sel:DWORD dst_unused:UNUSED_PAD src0_sel:DWORD src1_sel:BYTE_3
	v_cndmask_b32_e32 v61, v63, v61, vcc_lo
	v_and_b32_e32 v8, 0x80000000, v8
	v_and_b32_e32 v62, 3, v62
	v_lshl_add_u32 v61, v61, 23, 0x37800000
	v_cndmask_b32_e32 v60, v60, v62, vcc_lo
	v_lshlrev_b32_e32 v60, 21, v60
	v_or3_b32 v60, v8, v61, v60
.LBB2_714:                              ;   in Loop: Header=BB2_658 Depth=3
	s_or_b32 exec_lo, exec_lo, s74
	v_mul_f32_e32 v60, s73, v60
	v_and_b32_e32 v8, 0x7f800000, v60
	v_cmp_ne_u32_e32 vcc_lo, 0x7f800000, v8
	v_mov_b32_e32 v8, 0x8000
	s_and_saveexec_b32 s74, vcc_lo
	s_cbranch_execz .LBB2_722
; %bb.715:                              ;   in Loop: Header=BB2_658 Depth=3
	v_mov_b32_e32 v8, 0
	s_mov_b32 s75, exec_lo
	v_cmpx_ne_u32_e32 0, v60
	s_cbranch_execz .LBB2_721
; %bb.716:                              ;   in Loop: Header=BB2_658 Depth=3
	v_bfe_u32 v8, v60, 23, 8
	v_and_b32_e32 v61, 0x7fffff, v60
	v_sub_nc_u32_e32 v62, 0x70, v8
	v_cmp_gt_u32_e32 vcc_lo, 0x71, v8
	v_or_b32_e32 v63, 0x800000, v61
	v_cndmask_b32_e32 v62, 0, v62, vcc_lo
	v_cmp_eq_u32_e32 vcc_lo, 0, v8
	v_add_nc_u32_e32 v8, 0xffffff91, v8
	v_cndmask_b32_e64 v62, v62, 0x6f, vcc_lo
	v_cndmask_b32_e32 v61, v63, v61, vcc_lo
	v_cndmask_b32_e64 v8, v8, 0xffffff92, vcc_lo
	v_lshl_add_u32 v63, 0x200000, v62, -1
	v_lshrrev_b32_e32 v72, v62, v61
	v_lshlrev_b32_e64 v74, v62, 0x100000
	v_add_nc_u32_e32 v62, v62, v8
	v_and_b32_e32 v61, v63, v61
	v_bfe_u32 v73, v72, 21, 1
	v_cmp_eq_u32_e64 s17, v61, v74
	v_add_nc_u32_e32 v63, -1, v73
	v_cndmask_b32_e64 v61, 0, v63, s17
	v_lshrrev_b32_e32 v63, 23, v72
	s_mov_b32 s17, exec_lo
	v_add_nc_u32_e32 v61, v61, v72
	v_xor_b32_e32 v63, 1, v63
	v_and_b32_e32 v8, 0x1fffff, v61
	v_add_nc_u32_e32 v61, v8, v72
                                        ; implicit-def: $vgpr8
	v_cmpx_ne_u32_e64 v62, v63
	s_xor_b32 s17, exec_lo, s17
; %bb.717:                              ;   in Loop: Header=BB2_658 Depth=3
	v_cmp_lt_u32_e32 vcc_lo, 0xffffff, v61
	v_sub_nc_u32_e32 v8, v62, v63
	v_cndmask_b32_e64 v62, 0, 1, vcc_lo
	v_add_co_ci_u32_e64 v8, null, 0, v8, vcc_lo
	v_lshrrev_b32_e32 v61, v62, v61
; %bb.718:                              ;   in Loop: Header=BB2_658 Depth=3
	s_andn2_saveexec_b32 s17, s17
; %bb.719:                              ;   in Loop: Header=BB2_658 Depth=3
	v_bfe_u32 v8, v61, 23, 1
; %bb.720:                              ;   in Loop: Header=BB2_658 Depth=3
	s_or_b32 exec_lo, exec_lo, s17
	v_lshrrev_b32_e32 v61, 21, v61
	v_min_i32_e32 v62, 31, v8
	v_cmp_gt_i32_e32 vcc_lo, 32, v8
	v_and_b32_sdwa v60, v60, v98 dst_sel:DWORD dst_unused:UNUSED_PAD src0_sel:BYTE_3 src1_sel:DWORD
	v_lshlrev_b32_e32 v62, 2, v62
	v_cndmask_b32_e32 v61, 3, v61, vcc_lo
	v_and_b32_e32 v62, 0xfc, v62
	v_and_b32_e32 v63, 3, v61
	v_or_b32_e32 v8, v8, v61
	v_or3_b32 v60, v60, v62, v63
	v_cmp_ne_u32_e32 vcc_lo, 0, v8
	v_lshlrev_b32_e32 v60, 8, v60
	v_cndmask_b32_e32 v8, 0, v60, vcc_lo
.LBB2_721:                              ;   in Loop: Header=BB2_658 Depth=3
	s_or_b32 exec_lo, exec_lo, s75
.LBB2_722:                              ;   in Loop: Header=BB2_658 Depth=3
	s_or_b32 exec_lo, exec_lo, s74
	v_cmp_gt_i16_sdwa s74, v9, v97 src0_sel:BYTE_0 src1_sel:DWORD
	s_mov_b32 s17, 0
	s_and_saveexec_b32 s75, s74
	s_xor_b32 s74, exec_lo, s75
	s_cbranch_execz .LBB2_896
; %bb.723:                              ;   in Loop: Header=BB2_658 Depth=3
	v_cmp_eq_u16_sdwa s76, v9, v98 src0_sel:BYTE_0 src1_sel:DWORD
	s_mov_b32 s17, -1
	s_and_saveexec_b32 s75, s76
; %bb.724:                              ;   in Loop: Header=BB2_658 Depth=3
	s_xor_b32 s17, exec_lo, -1
; %bb.725:                              ;   in Loop: Header=BB2_658 Depth=3
	s_or_b32 exec_lo, exec_lo, s75
	s_and_b32 s17, s17, exec_lo
	s_or_saveexec_b32 s74, s74
	v_mov_b32_e32 v60, 0x7f800001
	s_xor_b32 exec_lo, exec_lo, s74
	s_cbranch_execnz .LBB2_897
.LBB2_726:                              ;   in Loop: Header=BB2_658 Depth=3
	s_or_b32 exec_lo, exec_lo, s74
	s_and_saveexec_b32 s74, s17
	s_cbranch_execz .LBB2_728
.LBB2_727:                              ;   in Loop: Header=BB2_658 Depth=3
	v_and_b32_e32 v60, 3, v9
	v_bfe_u32 v63, v9, 2, 5
	v_lshlrev_b32_e32 v72, 24, v9
	v_ffbh_u32_e32 v61, v60
	v_cmp_eq_u32_e32 vcc_lo, 0, v63
	v_min_u32_e32 v61, 32, v61
	v_subrev_nc_u32_e32 v62, 29, v61
	v_sub_nc_u32_e32 v61, 30, v61
	v_lshlrev_b32_e32 v62, v62, v9
	v_cndmask_b32_e32 v61, v63, v61, vcc_lo
	v_and_b32_e32 v62, 3, v62
	v_lshl_add_u32 v61, v61, 23, 0x37800000
	v_cndmask_b32_e32 v60, v60, v62, vcc_lo
	v_and_b32_e32 v62, 0x80000000, v72
	v_lshlrev_b32_e32 v60, 21, v60
	v_or3_b32 v60, v62, v61, v60
.LBB2_728:                              ;   in Loop: Header=BB2_658 Depth=3
	s_or_b32 exec_lo, exec_lo, s74
	v_mul_f32_e32 v61, s73, v60
	v_and_b32_e32 v60, 0x7f800000, v61
	v_cmp_ne_u32_e32 vcc_lo, 0x7f800000, v60
	v_mov_b32_e32 v60, 0x80
	s_and_saveexec_b32 s74, vcc_lo
	s_cbranch_execz .LBB2_736
; %bb.729:                              ;   in Loop: Header=BB2_658 Depth=3
	v_mov_b32_e32 v60, 0
	s_mov_b32 s75, exec_lo
	v_cmpx_ne_u32_e32 0, v61
	s_cbranch_execz .LBB2_735
; %bb.730:                              ;   in Loop: Header=BB2_658 Depth=3
	v_bfe_u32 v60, v61, 23, 8
	v_and_b32_e32 v62, 0x7fffff, v61
	v_sub_nc_u32_e32 v63, 0x70, v60
	v_cmp_gt_u32_e32 vcc_lo, 0x71, v60
	v_or_b32_e32 v72, 0x800000, v62
	v_cndmask_b32_e32 v63, 0, v63, vcc_lo
	v_cmp_eq_u32_e32 vcc_lo, 0, v60
	v_add_nc_u32_e32 v60, 0xffffff91, v60
	v_cndmask_b32_e64 v63, v63, 0x6f, vcc_lo
	v_cndmask_b32_e32 v62, v72, v62, vcc_lo
	v_cndmask_b32_e64 v60, v60, 0xffffff92, vcc_lo
	v_lshl_add_u32 v72, 0x200000, v63, -1
	v_lshrrev_b32_e32 v73, v63, v62
	v_lshlrev_b32_e64 v75, v63, 0x100000
	v_add_nc_u32_e32 v63, v63, v60
	v_and_b32_e32 v62, v72, v62
	v_bfe_u32 v74, v73, 21, 1
	v_cmp_eq_u32_e64 s17, v62, v75
	v_add_nc_u32_e32 v72, -1, v74
	v_cndmask_b32_e64 v62, 0, v72, s17
	v_lshrrev_b32_e32 v72, 23, v73
	s_mov_b32 s17, exec_lo
	v_add_nc_u32_e32 v62, v62, v73
	v_xor_b32_e32 v72, 1, v72
	v_and_b32_e32 v60, 0x1fffff, v62
	v_add_nc_u32_e32 v62, v60, v73
                                        ; implicit-def: $vgpr60
	v_cmpx_ne_u32_e64 v63, v72
	s_xor_b32 s17, exec_lo, s17
; %bb.731:                              ;   in Loop: Header=BB2_658 Depth=3
	v_cmp_lt_u32_e32 vcc_lo, 0xffffff, v62
	v_sub_nc_u32_e32 v60, v63, v72
	v_cndmask_b32_e64 v63, 0, 1, vcc_lo
	v_add_co_ci_u32_e64 v60, null, 0, v60, vcc_lo
	v_lshrrev_b32_e32 v62, v63, v62
; %bb.732:                              ;   in Loop: Header=BB2_658 Depth=3
	s_andn2_saveexec_b32 s17, s17
; %bb.733:                              ;   in Loop: Header=BB2_658 Depth=3
	v_bfe_u32 v60, v62, 23, 1
; %bb.734:                              ;   in Loop: Header=BB2_658 Depth=3
	s_or_b32 exec_lo, exec_lo, s17
	v_lshrrev_b32_e32 v62, 21, v62
	v_min_i32_e32 v63, 31, v60
	v_cmp_gt_i32_e32 vcc_lo, 32, v60
	v_and_b32_sdwa v61, v61, v98 dst_sel:DWORD dst_unused:UNUSED_PAD src0_sel:BYTE_3 src1_sel:DWORD
	v_lshlrev_b32_e32 v63, 2, v63
	v_cndmask_b32_e32 v62, 3, v62, vcc_lo
	v_and_b32_e32 v63, 0xfc, v63
	v_and_b32_e32 v72, 3, v62
	v_or_b32_e32 v60, v60, v62
	v_or3_b32 v61, v63, v61, v72
	v_cmp_ne_u32_e32 vcc_lo, 0, v60
	v_cndmask_b32_e32 v60, 0, v61, vcc_lo
.LBB2_735:                              ;   in Loop: Header=BB2_658 Depth=3
	s_or_b32 exec_lo, exec_lo, s75
.LBB2_736:                              ;   in Loop: Header=BB2_658 Depth=3
	s_or_b32 exec_lo, exec_lo, s74
	v_cmp_gt_i16_sdwa s74, v9, v97 src0_sel:BYTE_1 src1_sel:DWORD
	s_mov_b32 s17, 0
	s_and_saveexec_b32 s75, s74
	s_xor_b32 s74, exec_lo, s75
	s_cbranch_execz .LBB2_898
; %bb.737:                              ;   in Loop: Header=BB2_658 Depth=3
	v_cmp_eq_u16_sdwa s76, v9, v98 src0_sel:BYTE_1 src1_sel:DWORD
	s_mov_b32 s17, -1
	s_and_saveexec_b32 s75, s76
; %bb.738:                              ;   in Loop: Header=BB2_658 Depth=3
	s_xor_b32 s17, exec_lo, -1
; %bb.739:                              ;   in Loop: Header=BB2_658 Depth=3
	s_or_b32 exec_lo, exec_lo, s75
	s_and_b32 s17, s17, exec_lo
	s_or_saveexec_b32 s74, s74
	v_mov_b32_e32 v61, 0x7f800001
	s_xor_b32 exec_lo, exec_lo, s74
	s_cbranch_execnz .LBB2_899
.LBB2_740:                              ;   in Loop: Header=BB2_658 Depth=3
	s_or_b32 exec_lo, exec_lo, s74
	s_and_saveexec_b32 s74, s17
	s_cbranch_execz .LBB2_742
.LBB2_741:                              ;   in Loop: Header=BB2_658 Depth=3
	v_and_b32_sdwa v61, v99, v9 dst_sel:DWORD dst_unused:UNUSED_PAD src0_sel:DWORD src1_sel:BYTE_1
	v_and_b32_e32 v62, 3, v61
	v_bfe_u32 v73, v61, 2, 5
	v_ffbh_u32_e32 v63, v62
	v_cmp_eq_u32_e32 vcc_lo, 0, v73
	v_min_u32_e32 v63, 32, v63
	v_subrev_nc_u32_e32 v72, 29, v63
	v_sub_nc_u32_e32 v63, 30, v63
	v_lshlrev_b32_e32 v61, v72, v61
	v_lshlrev_b32_sdwa v72, v100, v9 dst_sel:DWORD dst_unused:UNUSED_PAD src0_sel:DWORD src1_sel:BYTE_1
	v_cndmask_b32_e32 v63, v73, v63, vcc_lo
	v_and_b32_e32 v61, 3, v61
	v_lshl_add_u32 v63, v63, 23, 0x37800000
	v_cndmask_b32_e32 v61, v62, v61, vcc_lo
	v_and_b32_e32 v62, 0x80000000, v72
	v_lshlrev_b32_e32 v61, 21, v61
	v_or3_b32 v61, v62, v63, v61
.LBB2_742:                              ;   in Loop: Header=BB2_658 Depth=3
	s_or_b32 exec_lo, exec_lo, s74
	v_mul_f32_e32 v62, s73, v61
	v_and_b32_e32 v61, 0x7f800000, v62
	v_cmp_ne_u32_e32 vcc_lo, 0x7f800000, v61
	v_mov_b32_e32 v61, 0x8000
	s_and_saveexec_b32 s74, vcc_lo
	s_cbranch_execz .LBB2_750
; %bb.743:                              ;   in Loop: Header=BB2_658 Depth=3
	v_mov_b32_e32 v61, 0
	s_mov_b32 s75, exec_lo
	v_cmpx_ne_u32_e32 0, v62
	s_cbranch_execz .LBB2_749
; %bb.744:                              ;   in Loop: Header=BB2_658 Depth=3
	v_bfe_u32 v61, v62, 23, 8
	v_and_b32_e32 v63, 0x7fffff, v62
	v_sub_nc_u32_e32 v72, 0x70, v61
	v_cmp_gt_u32_e32 vcc_lo, 0x71, v61
	v_or_b32_e32 v73, 0x800000, v63
	v_cndmask_b32_e32 v72, 0, v72, vcc_lo
	v_cmp_eq_u32_e32 vcc_lo, 0, v61
	v_add_nc_u32_e32 v61, 0xffffff91, v61
	v_cndmask_b32_e64 v72, v72, 0x6f, vcc_lo
	v_cndmask_b32_e32 v63, v73, v63, vcc_lo
	v_cndmask_b32_e64 v61, v61, 0xffffff92, vcc_lo
	v_lshl_add_u32 v73, 0x200000, v72, -1
	v_lshrrev_b32_e32 v74, v72, v63
	v_lshlrev_b32_e64 v76, v72, 0x100000
	v_add_nc_u32_e32 v72, v72, v61
	v_and_b32_e32 v63, v73, v63
	v_bfe_u32 v75, v74, 21, 1
	v_cmp_eq_u32_e64 s17, v63, v76
	v_add_nc_u32_e32 v73, -1, v75
	v_cndmask_b32_e64 v63, 0, v73, s17
	v_lshrrev_b32_e32 v73, 23, v74
	s_mov_b32 s17, exec_lo
	v_add_nc_u32_e32 v63, v63, v74
	v_xor_b32_e32 v73, 1, v73
	v_and_b32_e32 v61, 0x1fffff, v63
	v_add_nc_u32_e32 v63, v61, v74
                                        ; implicit-def: $vgpr61
	v_cmpx_ne_u32_e64 v72, v73
	s_xor_b32 s17, exec_lo, s17
; %bb.745:                              ;   in Loop: Header=BB2_658 Depth=3
	v_cmp_lt_u32_e32 vcc_lo, 0xffffff, v63
	v_sub_nc_u32_e32 v61, v72, v73
	v_cndmask_b32_e64 v72, 0, 1, vcc_lo
	v_add_co_ci_u32_e64 v61, null, 0, v61, vcc_lo
	v_lshrrev_b32_e32 v63, v72, v63
; %bb.746:                              ;   in Loop: Header=BB2_658 Depth=3
	s_andn2_saveexec_b32 s17, s17
; %bb.747:                              ;   in Loop: Header=BB2_658 Depth=3
	v_bfe_u32 v61, v63, 23, 1
; %bb.748:                              ;   in Loop: Header=BB2_658 Depth=3
	s_or_b32 exec_lo, exec_lo, s17
	v_lshrrev_b32_e32 v63, 21, v63
	v_min_i32_e32 v72, 31, v61
	v_cmp_gt_i32_e32 vcc_lo, 32, v61
	v_and_b32_sdwa v62, v62, v98 dst_sel:DWORD dst_unused:UNUSED_PAD src0_sel:BYTE_3 src1_sel:DWORD
	v_lshlrev_b32_e32 v72, 2, v72
	v_cndmask_b32_e32 v63, 3, v63, vcc_lo
	v_and_b32_e32 v72, 0xfc, v72
	v_and_b32_e32 v73, 3, v63
	v_or_b32_e32 v61, v61, v63
	v_or3_b32 v62, v62, v72, v73
	v_cmp_ne_u32_e32 vcc_lo, 0, v61
	v_lshlrev_b32_e32 v62, 8, v62
	v_cndmask_b32_e32 v61, 0, v62, vcc_lo
.LBB2_749:                              ;   in Loop: Header=BB2_658 Depth=3
	s_or_b32 exec_lo, exec_lo, s75
.LBB2_750:                              ;   in Loop: Header=BB2_658 Depth=3
	s_or_b32 exec_lo, exec_lo, s74
	v_and_b32_sdwa v63, v9, v101 dst_sel:DWORD dst_unused:UNUSED_PAD src0_sel:WORD_1 src1_sel:DWORD
	s_mov_b32 s17, 0
	s_mov_b32 s74, exec_lo
	v_cmpx_lt_i16_e32 0x7f, v63
	s_xor_b32 s74, exec_lo, s74
	s_cbranch_execz .LBB2_900
; %bb.751:                              ;   in Loop: Header=BB2_658 Depth=3
	s_mov_b32 s17, -1
	s_mov_b32 s75, exec_lo
	v_cmpx_eq_u16_e32 0x80, v63
; %bb.752:                              ;   in Loop: Header=BB2_658 Depth=3
	s_xor_b32 s17, exec_lo, -1
; %bb.753:                              ;   in Loop: Header=BB2_658 Depth=3
	s_or_b32 exec_lo, exec_lo, s75
	s_and_b32 s17, s17, exec_lo
                                        ; implicit-def: $vgpr63
	s_or_saveexec_b32 s74, s74
	v_mov_b32_e32 v62, 0x7f800001
	s_xor_b32 exec_lo, exec_lo, s74
	s_cbranch_execnz .LBB2_901
.LBB2_754:                              ;   in Loop: Header=BB2_658 Depth=3
	s_or_b32 exec_lo, exec_lo, s74
	s_and_saveexec_b32 s74, s17
	s_cbranch_execz .LBB2_756
.LBB2_755:                              ;   in Loop: Header=BB2_658 Depth=3
	v_bfe_u32 v62, v9, 16, 2
	v_bfe_u32 v73, v9, 18, 5
	v_lshlrev_b32_e32 v74, 8, v9
	v_ffbh_u32_e32 v63, v62
	v_cmp_eq_u32_e32 vcc_lo, 0, v73
	v_min_u32_e32 v63, 32, v63
	v_subrev_nc_u32_e32 v72, 29, v63
	v_sub_nc_u32_e32 v63, 30, v63
	v_lshlrev_b32_sdwa v72, v72, v9 dst_sel:DWORD dst_unused:UNUSED_PAD src0_sel:DWORD src1_sel:WORD_1
	v_cndmask_b32_e32 v63, v73, v63, vcc_lo
	v_and_b32_e32 v72, 3, v72
	v_lshl_add_u32 v63, v63, 23, 0x37800000
	v_cndmask_b32_e32 v62, v62, v72, vcc_lo
	v_and_b32_e32 v72, 0x80000000, v74
	v_lshlrev_b32_e32 v62, 21, v62
	v_or3_b32 v62, v72, v63, v62
.LBB2_756:                              ;   in Loop: Header=BB2_658 Depth=3
	s_or_b32 exec_lo, exec_lo, s74
	v_mul_f32_e32 v63, s73, v62
	v_and_b32_e32 v62, 0x7f800000, v63
	v_cmp_ne_u32_e32 vcc_lo, 0x7f800000, v62
	v_mov_b32_e32 v62, 0x80
	s_and_saveexec_b32 s74, vcc_lo
	s_cbranch_execz .LBB2_764
; %bb.757:                              ;   in Loop: Header=BB2_658 Depth=3
	v_mov_b32_e32 v62, 0
	s_mov_b32 s75, exec_lo
	v_cmpx_ne_u32_e32 0, v63
	s_cbranch_execz .LBB2_763
; %bb.758:                              ;   in Loop: Header=BB2_658 Depth=3
	v_bfe_u32 v62, v63, 23, 8
	v_and_b32_e32 v72, 0x7fffff, v63
	v_sub_nc_u32_e32 v73, 0x70, v62
	v_cmp_gt_u32_e32 vcc_lo, 0x71, v62
	v_or_b32_e32 v74, 0x800000, v72
	v_cndmask_b32_e32 v73, 0, v73, vcc_lo
	v_cmp_eq_u32_e32 vcc_lo, 0, v62
	v_add_nc_u32_e32 v62, 0xffffff91, v62
	v_cndmask_b32_e64 v73, v73, 0x6f, vcc_lo
	v_cndmask_b32_e32 v72, v74, v72, vcc_lo
	v_cndmask_b32_e64 v62, v62, 0xffffff92, vcc_lo
	v_lshl_add_u32 v74, 0x200000, v73, -1
	v_lshrrev_b32_e32 v75, v73, v72
	v_lshlrev_b32_e64 v77, v73, 0x100000
	v_add_nc_u32_e32 v73, v73, v62
	v_and_b32_e32 v72, v74, v72
	v_bfe_u32 v76, v75, 21, 1
	v_cmp_eq_u32_e64 s17, v72, v77
	v_add_nc_u32_e32 v74, -1, v76
	v_cndmask_b32_e64 v72, 0, v74, s17
	v_lshrrev_b32_e32 v74, 23, v75
	s_mov_b32 s17, exec_lo
	v_add_nc_u32_e32 v72, v72, v75
	v_xor_b32_e32 v74, 1, v74
	v_and_b32_e32 v62, 0x1fffff, v72
	v_add_nc_u32_e32 v72, v62, v75
                                        ; implicit-def: $vgpr62
	v_cmpx_ne_u32_e64 v73, v74
	s_xor_b32 s17, exec_lo, s17
; %bb.759:                              ;   in Loop: Header=BB2_658 Depth=3
	v_cmp_lt_u32_e32 vcc_lo, 0xffffff, v72
	v_sub_nc_u32_e32 v62, v73, v74
	v_cndmask_b32_e64 v73, 0, 1, vcc_lo
	v_add_co_ci_u32_e64 v62, null, 0, v62, vcc_lo
	v_lshrrev_b32_e32 v72, v73, v72
; %bb.760:                              ;   in Loop: Header=BB2_658 Depth=3
	s_andn2_saveexec_b32 s17, s17
; %bb.761:                              ;   in Loop: Header=BB2_658 Depth=3
	v_bfe_u32 v62, v72, 23, 1
; %bb.762:                              ;   in Loop: Header=BB2_658 Depth=3
	s_or_b32 exec_lo, exec_lo, s17
	v_lshrrev_b32_e32 v72, 21, v72
	v_min_i32_e32 v73, 31, v62
	v_cmp_gt_i32_e32 vcc_lo, 32, v62
	v_and_b32_sdwa v63, v63, v98 dst_sel:DWORD dst_unused:UNUSED_PAD src0_sel:BYTE_3 src1_sel:DWORD
	v_lshlrev_b32_e32 v73, 2, v73
	v_cndmask_b32_e32 v72, 3, v72, vcc_lo
	v_and_b32_e32 v73, 0xfc, v73
	v_and_b32_e32 v74, 3, v72
	v_or_b32_e32 v62, v62, v72
	v_or3_b32 v63, v73, v63, v74
	v_cmp_ne_u32_e32 vcc_lo, 0, v62
	v_cndmask_b32_e32 v62, 0, v63, vcc_lo
.LBB2_763:                              ;   in Loop: Header=BB2_658 Depth=3
	s_or_b32 exec_lo, exec_lo, s75
.LBB2_764:                              ;   in Loop: Header=BB2_658 Depth=3
	s_or_b32 exec_lo, exec_lo, s74
	v_cmp_gt_i16_sdwa s74, v9, v97 src0_sel:BYTE_3 src1_sel:DWORD
	s_mov_b32 s17, 0
	s_and_saveexec_b32 s75, s74
	s_xor_b32 s74, exec_lo, s75
	s_cbranch_execz .LBB2_902
; %bb.765:                              ;   in Loop: Header=BB2_658 Depth=3
	v_cmp_eq_u16_sdwa s76, v9, v98 src0_sel:BYTE_3 src1_sel:DWORD
	s_mov_b32 s17, -1
	s_and_saveexec_b32 s75, s76
; %bb.766:                              ;   in Loop: Header=BB2_658 Depth=3
	s_xor_b32 s17, exec_lo, -1
; %bb.767:                              ;   in Loop: Header=BB2_658 Depth=3
	s_or_b32 exec_lo, exec_lo, s75
	s_and_b32 s17, s17, exec_lo
	s_or_saveexec_b32 s74, s74
	v_mov_b32_e32 v63, 0x7f800001
	s_xor_b32 exec_lo, exec_lo, s74
	s_cbranch_execnz .LBB2_903
.LBB2_768:                              ;   in Loop: Header=BB2_658 Depth=3
	s_or_b32 exec_lo, exec_lo, s74
	s_and_saveexec_b32 s74, s17
	s_cbranch_execz .LBB2_770
.LBB2_769:                              ;   in Loop: Header=BB2_658 Depth=3
	v_bfe_u32 v63, v9, 24, 2
	v_bfe_u32 v74, v9, 26, 5
	v_ffbh_u32_e32 v72, v63
	v_cmp_eq_u32_e32 vcc_lo, 0, v74
	v_min_u32_e32 v72, 32, v72
	v_subrev_nc_u32_e32 v73, 29, v72
	v_sub_nc_u32_e32 v72, 30, v72
	v_lshlrev_b32_sdwa v73, v73, v9 dst_sel:DWORD dst_unused:UNUSED_PAD src0_sel:DWORD src1_sel:BYTE_3
	v_cndmask_b32_e32 v72, v74, v72, vcc_lo
	v_and_b32_e32 v9, 0x80000000, v9
	v_and_b32_e32 v73, 3, v73
	v_lshl_add_u32 v72, v72, 23, 0x37800000
	v_cndmask_b32_e32 v63, v63, v73, vcc_lo
	v_lshlrev_b32_e32 v63, 21, v63
	v_or3_b32 v63, v9, v72, v63
.LBB2_770:                              ;   in Loop: Header=BB2_658 Depth=3
	s_or_b32 exec_lo, exec_lo, s74
	v_mul_f32_e32 v63, s73, v63
	v_and_b32_e32 v9, 0x7f800000, v63
	v_cmp_ne_u32_e32 vcc_lo, 0x7f800000, v9
	v_mov_b32_e32 v9, 0x8000
	s_and_saveexec_b32 s74, vcc_lo
	s_cbranch_execz .LBB2_778
; %bb.771:                              ;   in Loop: Header=BB2_658 Depth=3
	v_mov_b32_e32 v9, 0
	s_mov_b32 s75, exec_lo
	v_cmpx_ne_u32_e32 0, v63
	s_cbranch_execz .LBB2_777
; %bb.772:                              ;   in Loop: Header=BB2_658 Depth=3
	v_bfe_u32 v9, v63, 23, 8
	v_and_b32_e32 v72, 0x7fffff, v63
	v_sub_nc_u32_e32 v73, 0x70, v9
	v_cmp_gt_u32_e32 vcc_lo, 0x71, v9
	v_or_b32_e32 v74, 0x800000, v72
	v_cndmask_b32_e32 v73, 0, v73, vcc_lo
	v_cmp_eq_u32_e32 vcc_lo, 0, v9
	v_add_nc_u32_e32 v9, 0xffffff91, v9
	v_cndmask_b32_e64 v73, v73, 0x6f, vcc_lo
	v_cndmask_b32_e32 v72, v74, v72, vcc_lo
	v_cndmask_b32_e64 v9, v9, 0xffffff92, vcc_lo
	v_lshl_add_u32 v74, 0x200000, v73, -1
	v_lshrrev_b32_e32 v75, v73, v72
	v_lshlrev_b32_e64 v77, v73, 0x100000
	v_add_nc_u32_e32 v73, v73, v9
	v_and_b32_e32 v72, v74, v72
	v_bfe_u32 v76, v75, 21, 1
	v_cmp_eq_u32_e64 s17, v72, v77
	v_add_nc_u32_e32 v74, -1, v76
	v_cndmask_b32_e64 v72, 0, v74, s17
	v_lshrrev_b32_e32 v74, 23, v75
	s_mov_b32 s17, exec_lo
	v_add_nc_u32_e32 v72, v72, v75
	v_xor_b32_e32 v74, 1, v74
	v_and_b32_e32 v9, 0x1fffff, v72
	v_add_nc_u32_e32 v72, v9, v75
                                        ; implicit-def: $vgpr9
	v_cmpx_ne_u32_e64 v73, v74
	s_xor_b32 s17, exec_lo, s17
; %bb.773:                              ;   in Loop: Header=BB2_658 Depth=3
	v_cmp_lt_u32_e32 vcc_lo, 0xffffff, v72
	v_sub_nc_u32_e32 v9, v73, v74
	v_cndmask_b32_e64 v73, 0, 1, vcc_lo
	v_add_co_ci_u32_e64 v9, null, 0, v9, vcc_lo
	v_lshrrev_b32_e32 v72, v73, v72
; %bb.774:                              ;   in Loop: Header=BB2_658 Depth=3
	s_andn2_saveexec_b32 s17, s17
; %bb.775:                              ;   in Loop: Header=BB2_658 Depth=3
	v_bfe_u32 v9, v72, 23, 1
; %bb.776:                              ;   in Loop: Header=BB2_658 Depth=3
	s_or_b32 exec_lo, exec_lo, s17
	v_lshrrev_b32_e32 v72, 21, v72
	v_min_i32_e32 v73, 31, v9
	v_cmp_gt_i32_e32 vcc_lo, 32, v9
	v_and_b32_sdwa v63, v63, v98 dst_sel:DWORD dst_unused:UNUSED_PAD src0_sel:BYTE_3 src1_sel:DWORD
	v_lshlrev_b32_e32 v73, 2, v73
	v_cndmask_b32_e32 v72, 3, v72, vcc_lo
	v_and_b32_e32 v73, 0xfc, v73
	v_and_b32_e32 v74, 3, v72
	v_or_b32_e32 v9, v9, v72
	v_or3_b32 v63, v63, v73, v74
	v_cmp_ne_u32_e32 vcc_lo, 0, v9
	v_lshlrev_b32_e32 v63, 8, v63
	v_cndmask_b32_e32 v9, 0, v63, vcc_lo
.LBB2_777:                              ;   in Loop: Header=BB2_658 Depth=3
	s_or_b32 exec_lo, exec_lo, s75
.LBB2_778:                              ;   in Loop: Header=BB2_658 Depth=3
	s_or_b32 exec_lo, exec_lo, s74
	v_cmp_gt_i16_sdwa s74, v10, v97 src0_sel:BYTE_0 src1_sel:DWORD
	s_mov_b32 s17, 0
	s_and_saveexec_b32 s75, s74
	s_xor_b32 s74, exec_lo, s75
	s_cbranch_execz .LBB2_904
; %bb.779:                              ;   in Loop: Header=BB2_658 Depth=3
	v_cmp_eq_u16_sdwa s76, v10, v98 src0_sel:BYTE_0 src1_sel:DWORD
	s_mov_b32 s17, -1
	s_and_saveexec_b32 s75, s76
; %bb.780:                              ;   in Loop: Header=BB2_658 Depth=3
	s_xor_b32 s17, exec_lo, -1
; %bb.781:                              ;   in Loop: Header=BB2_658 Depth=3
	s_or_b32 exec_lo, exec_lo, s75
	s_and_b32 s17, s17, exec_lo
	s_or_saveexec_b32 s74, s74
	v_mov_b32_e32 v63, 0x7f800001
	s_xor_b32 exec_lo, exec_lo, s74
	s_cbranch_execnz .LBB2_905
.LBB2_782:                              ;   in Loop: Header=BB2_658 Depth=3
	s_or_b32 exec_lo, exec_lo, s74
	s_and_saveexec_b32 s74, s17
	s_cbranch_execz .LBB2_784
.LBB2_783:                              ;   in Loop: Header=BB2_658 Depth=3
	v_and_b32_e32 v63, 3, v10
	v_bfe_u32 v74, v10, 2, 5
	v_lshlrev_b32_e32 v75, 24, v10
	v_ffbh_u32_e32 v72, v63
	v_cmp_eq_u32_e32 vcc_lo, 0, v74
	v_min_u32_e32 v72, 32, v72
	v_subrev_nc_u32_e32 v73, 29, v72
	v_sub_nc_u32_e32 v72, 30, v72
	v_lshlrev_b32_e32 v73, v73, v10
	v_cndmask_b32_e32 v72, v74, v72, vcc_lo
	v_and_b32_e32 v73, 3, v73
	v_lshl_add_u32 v72, v72, 23, 0x37800000
	v_cndmask_b32_e32 v63, v63, v73, vcc_lo
	v_and_b32_e32 v73, 0x80000000, v75
	v_lshlrev_b32_e32 v63, 21, v63
	v_or3_b32 v63, v73, v72, v63
.LBB2_784:                              ;   in Loop: Header=BB2_658 Depth=3
	s_or_b32 exec_lo, exec_lo, s74
	v_mul_f32_e32 v72, s73, v63
	v_and_b32_e32 v63, 0x7f800000, v72
	v_cmp_ne_u32_e32 vcc_lo, 0x7f800000, v63
	v_mov_b32_e32 v63, 0x80
	s_and_saveexec_b32 s74, vcc_lo
	s_cbranch_execz .LBB2_792
; %bb.785:                              ;   in Loop: Header=BB2_658 Depth=3
	v_mov_b32_e32 v63, 0
	s_mov_b32 s75, exec_lo
	v_cmpx_ne_u32_e32 0, v72
	s_cbranch_execz .LBB2_791
; %bb.786:                              ;   in Loop: Header=BB2_658 Depth=3
	v_bfe_u32 v63, v72, 23, 8
	v_and_b32_e32 v73, 0x7fffff, v72
	v_sub_nc_u32_e32 v74, 0x70, v63
	v_cmp_gt_u32_e32 vcc_lo, 0x71, v63
	v_or_b32_e32 v75, 0x800000, v73
	v_cndmask_b32_e32 v74, 0, v74, vcc_lo
	v_cmp_eq_u32_e32 vcc_lo, 0, v63
	v_add_nc_u32_e32 v63, 0xffffff91, v63
	v_cndmask_b32_e64 v74, v74, 0x6f, vcc_lo
	v_cndmask_b32_e32 v73, v75, v73, vcc_lo
	v_cndmask_b32_e64 v63, v63, 0xffffff92, vcc_lo
	v_lshl_add_u32 v75, 0x200000, v74, -1
	v_lshrrev_b32_e32 v76, v74, v73
	v_lshlrev_b32_e64 v78, v74, 0x100000
	v_add_nc_u32_e32 v74, v74, v63
	v_and_b32_e32 v73, v75, v73
	v_bfe_u32 v77, v76, 21, 1
	v_cmp_eq_u32_e64 s17, v73, v78
	v_add_nc_u32_e32 v75, -1, v77
	v_cndmask_b32_e64 v73, 0, v75, s17
	v_lshrrev_b32_e32 v75, 23, v76
	s_mov_b32 s17, exec_lo
	v_add_nc_u32_e32 v73, v73, v76
	v_xor_b32_e32 v75, 1, v75
	v_and_b32_e32 v63, 0x1fffff, v73
	v_add_nc_u32_e32 v73, v63, v76
                                        ; implicit-def: $vgpr63
	v_cmpx_ne_u32_e64 v74, v75
	s_xor_b32 s17, exec_lo, s17
; %bb.787:                              ;   in Loop: Header=BB2_658 Depth=3
	v_cmp_lt_u32_e32 vcc_lo, 0xffffff, v73
	v_sub_nc_u32_e32 v63, v74, v75
	v_cndmask_b32_e64 v74, 0, 1, vcc_lo
	v_add_co_ci_u32_e64 v63, null, 0, v63, vcc_lo
	v_lshrrev_b32_e32 v73, v74, v73
; %bb.788:                              ;   in Loop: Header=BB2_658 Depth=3
	s_andn2_saveexec_b32 s17, s17
; %bb.789:                              ;   in Loop: Header=BB2_658 Depth=3
	v_bfe_u32 v63, v73, 23, 1
; %bb.790:                              ;   in Loop: Header=BB2_658 Depth=3
	s_or_b32 exec_lo, exec_lo, s17
	v_lshrrev_b32_e32 v73, 21, v73
	v_min_i32_e32 v74, 31, v63
	v_cmp_gt_i32_e32 vcc_lo, 32, v63
	v_and_b32_sdwa v72, v72, v98 dst_sel:DWORD dst_unused:UNUSED_PAD src0_sel:BYTE_3 src1_sel:DWORD
	v_lshlrev_b32_e32 v74, 2, v74
	v_cndmask_b32_e32 v73, 3, v73, vcc_lo
	v_and_b32_e32 v74, 0xfc, v74
	v_and_b32_e32 v75, 3, v73
	v_or_b32_e32 v63, v63, v73
	v_or3_b32 v72, v74, v72, v75
	v_cmp_ne_u32_e32 vcc_lo, 0, v63
	v_cndmask_b32_e32 v63, 0, v72, vcc_lo
.LBB2_791:                              ;   in Loop: Header=BB2_658 Depth=3
	s_or_b32 exec_lo, exec_lo, s75
.LBB2_792:                              ;   in Loop: Header=BB2_658 Depth=3
	s_or_b32 exec_lo, exec_lo, s74
	v_cmp_gt_i16_sdwa s74, v10, v97 src0_sel:BYTE_1 src1_sel:DWORD
	s_mov_b32 s17, 0
	s_and_saveexec_b32 s75, s74
	s_xor_b32 s74, exec_lo, s75
	s_cbranch_execz .LBB2_906
; %bb.793:                              ;   in Loop: Header=BB2_658 Depth=3
	v_cmp_eq_u16_sdwa s76, v10, v98 src0_sel:BYTE_1 src1_sel:DWORD
	s_mov_b32 s17, -1
	s_and_saveexec_b32 s75, s76
; %bb.794:                              ;   in Loop: Header=BB2_658 Depth=3
	s_xor_b32 s17, exec_lo, -1
; %bb.795:                              ;   in Loop: Header=BB2_658 Depth=3
	s_or_b32 exec_lo, exec_lo, s75
	s_and_b32 s17, s17, exec_lo
	s_or_saveexec_b32 s74, s74
	v_mov_b32_e32 v72, 0x7f800001
	s_xor_b32 exec_lo, exec_lo, s74
	s_cbranch_execnz .LBB2_907
.LBB2_796:                              ;   in Loop: Header=BB2_658 Depth=3
	s_or_b32 exec_lo, exec_lo, s74
	s_and_saveexec_b32 s74, s17
	s_cbranch_execz .LBB2_798
.LBB2_797:                              ;   in Loop: Header=BB2_658 Depth=3
	v_and_b32_sdwa v72, v99, v10 dst_sel:DWORD dst_unused:UNUSED_PAD src0_sel:DWORD src1_sel:BYTE_1
	v_and_b32_e32 v73, 3, v72
	v_bfe_u32 v76, v72, 2, 5
	v_ffbh_u32_e32 v74, v73
	v_cmp_eq_u32_e32 vcc_lo, 0, v76
	v_min_u32_e32 v74, 32, v74
	v_subrev_nc_u32_e32 v75, 29, v74
	v_sub_nc_u32_e32 v74, 30, v74
	v_lshlrev_b32_e32 v72, v75, v72
	v_lshlrev_b32_sdwa v75, v100, v10 dst_sel:DWORD dst_unused:UNUSED_PAD src0_sel:DWORD src1_sel:BYTE_1
	v_cndmask_b32_e32 v74, v76, v74, vcc_lo
	v_and_b32_e32 v72, 3, v72
	v_lshl_add_u32 v74, v74, 23, 0x37800000
	v_cndmask_b32_e32 v72, v73, v72, vcc_lo
	v_and_b32_e32 v73, 0x80000000, v75
	v_lshlrev_b32_e32 v72, 21, v72
	v_or3_b32 v72, v73, v74, v72
.LBB2_798:                              ;   in Loop: Header=BB2_658 Depth=3
	s_or_b32 exec_lo, exec_lo, s74
	v_mul_f32_e32 v73, s73, v72
	v_and_b32_e32 v72, 0x7f800000, v73
	v_cmp_ne_u32_e32 vcc_lo, 0x7f800000, v72
	v_mov_b32_e32 v72, 0x8000
	s_and_saveexec_b32 s74, vcc_lo
	s_cbranch_execz .LBB2_806
; %bb.799:                              ;   in Loop: Header=BB2_658 Depth=3
	v_mov_b32_e32 v72, 0
	s_mov_b32 s75, exec_lo
	v_cmpx_ne_u32_e32 0, v73
	s_cbranch_execz .LBB2_805
; %bb.800:                              ;   in Loop: Header=BB2_658 Depth=3
	v_bfe_u32 v72, v73, 23, 8
	v_and_b32_e32 v74, 0x7fffff, v73
	v_sub_nc_u32_e32 v75, 0x70, v72
	v_cmp_gt_u32_e32 vcc_lo, 0x71, v72
	v_or_b32_e32 v76, 0x800000, v74
	v_cndmask_b32_e32 v75, 0, v75, vcc_lo
	v_cmp_eq_u32_e32 vcc_lo, 0, v72
	v_add_nc_u32_e32 v72, 0xffffff91, v72
	v_cndmask_b32_e64 v75, v75, 0x6f, vcc_lo
	v_cndmask_b32_e32 v74, v76, v74, vcc_lo
	v_cndmask_b32_e64 v72, v72, 0xffffff92, vcc_lo
	v_lshl_add_u32 v76, 0x200000, v75, -1
	v_lshrrev_b32_e32 v77, v75, v74
	v_lshlrev_b32_e64 v79, v75, 0x100000
	v_add_nc_u32_e32 v75, v75, v72
	v_and_b32_e32 v74, v76, v74
	v_bfe_u32 v78, v77, 21, 1
	v_cmp_eq_u32_e64 s17, v74, v79
	v_add_nc_u32_e32 v76, -1, v78
	v_cndmask_b32_e64 v74, 0, v76, s17
	v_lshrrev_b32_e32 v76, 23, v77
	s_mov_b32 s17, exec_lo
	v_add_nc_u32_e32 v74, v74, v77
	v_xor_b32_e32 v76, 1, v76
	v_and_b32_e32 v72, 0x1fffff, v74
	v_add_nc_u32_e32 v74, v72, v77
                                        ; implicit-def: $vgpr72
	v_cmpx_ne_u32_e64 v75, v76
	s_xor_b32 s17, exec_lo, s17
; %bb.801:                              ;   in Loop: Header=BB2_658 Depth=3
	v_cmp_lt_u32_e32 vcc_lo, 0xffffff, v74
	v_sub_nc_u32_e32 v72, v75, v76
	v_cndmask_b32_e64 v75, 0, 1, vcc_lo
	v_add_co_ci_u32_e64 v72, null, 0, v72, vcc_lo
	v_lshrrev_b32_e32 v74, v75, v74
; %bb.802:                              ;   in Loop: Header=BB2_658 Depth=3
	s_andn2_saveexec_b32 s17, s17
; %bb.803:                              ;   in Loop: Header=BB2_658 Depth=3
	v_bfe_u32 v72, v74, 23, 1
; %bb.804:                              ;   in Loop: Header=BB2_658 Depth=3
	s_or_b32 exec_lo, exec_lo, s17
	v_lshrrev_b32_e32 v74, 21, v74
	v_min_i32_e32 v75, 31, v72
	v_cmp_gt_i32_e32 vcc_lo, 32, v72
	v_and_b32_sdwa v73, v73, v98 dst_sel:DWORD dst_unused:UNUSED_PAD src0_sel:BYTE_3 src1_sel:DWORD
	v_lshlrev_b32_e32 v75, 2, v75
	v_cndmask_b32_e32 v74, 3, v74, vcc_lo
	v_and_b32_e32 v75, 0xfc, v75
	v_and_b32_e32 v76, 3, v74
	v_or_b32_e32 v72, v72, v74
	v_or3_b32 v73, v73, v75, v76
	v_cmp_ne_u32_e32 vcc_lo, 0, v72
	v_lshlrev_b32_e32 v73, 8, v73
	v_cndmask_b32_e32 v72, 0, v73, vcc_lo
.LBB2_805:                              ;   in Loop: Header=BB2_658 Depth=3
	s_or_b32 exec_lo, exec_lo, s75
.LBB2_806:                              ;   in Loop: Header=BB2_658 Depth=3
	s_or_b32 exec_lo, exec_lo, s74
	v_and_b32_sdwa v74, v10, v101 dst_sel:DWORD dst_unused:UNUSED_PAD src0_sel:WORD_1 src1_sel:DWORD
	s_mov_b32 s17, 0
	s_mov_b32 s74, exec_lo
	v_cmpx_lt_i16_e32 0x7f, v74
	s_xor_b32 s74, exec_lo, s74
	s_cbranch_execz .LBB2_908
; %bb.807:                              ;   in Loop: Header=BB2_658 Depth=3
	s_mov_b32 s17, -1
	s_mov_b32 s75, exec_lo
	v_cmpx_eq_u16_e32 0x80, v74
; %bb.808:                              ;   in Loop: Header=BB2_658 Depth=3
	s_xor_b32 s17, exec_lo, -1
; %bb.809:                              ;   in Loop: Header=BB2_658 Depth=3
	s_or_b32 exec_lo, exec_lo, s75
	s_and_b32 s17, s17, exec_lo
                                        ; implicit-def: $vgpr74
	s_or_saveexec_b32 s74, s74
	v_mov_b32_e32 v73, 0x7f800001
	s_xor_b32 exec_lo, exec_lo, s74
	s_cbranch_execnz .LBB2_909
.LBB2_810:                              ;   in Loop: Header=BB2_658 Depth=3
	s_or_b32 exec_lo, exec_lo, s74
	s_and_saveexec_b32 s74, s17
	s_cbranch_execz .LBB2_812
.LBB2_811:                              ;   in Loop: Header=BB2_658 Depth=3
	v_bfe_u32 v73, v10, 16, 2
	v_bfe_u32 v76, v10, 18, 5
	v_lshlrev_b32_e32 v77, 8, v10
	v_ffbh_u32_e32 v74, v73
	v_cmp_eq_u32_e32 vcc_lo, 0, v76
	v_min_u32_e32 v74, 32, v74
	v_subrev_nc_u32_e32 v75, 29, v74
	v_sub_nc_u32_e32 v74, 30, v74
	v_lshlrev_b32_sdwa v75, v75, v10 dst_sel:DWORD dst_unused:UNUSED_PAD src0_sel:DWORD src1_sel:WORD_1
	v_cndmask_b32_e32 v74, v76, v74, vcc_lo
	v_and_b32_e32 v75, 3, v75
	v_lshl_add_u32 v74, v74, 23, 0x37800000
	v_cndmask_b32_e32 v73, v73, v75, vcc_lo
	v_and_b32_e32 v75, 0x80000000, v77
	v_lshlrev_b32_e32 v73, 21, v73
	v_or3_b32 v73, v75, v74, v73
.LBB2_812:                              ;   in Loop: Header=BB2_658 Depth=3
	s_or_b32 exec_lo, exec_lo, s74
	v_mul_f32_e32 v74, s73, v73
	v_and_b32_e32 v73, 0x7f800000, v74
	v_cmp_ne_u32_e32 vcc_lo, 0x7f800000, v73
	v_mov_b32_e32 v73, 0x80
	s_and_saveexec_b32 s74, vcc_lo
	s_cbranch_execz .LBB2_820
; %bb.813:                              ;   in Loop: Header=BB2_658 Depth=3
	v_mov_b32_e32 v73, 0
	s_mov_b32 s75, exec_lo
	v_cmpx_ne_u32_e32 0, v74
	s_cbranch_execz .LBB2_819
; %bb.814:                              ;   in Loop: Header=BB2_658 Depth=3
	v_bfe_u32 v73, v74, 23, 8
	v_and_b32_e32 v75, 0x7fffff, v74
	v_sub_nc_u32_e32 v76, 0x70, v73
	v_cmp_gt_u32_e32 vcc_lo, 0x71, v73
	v_or_b32_e32 v77, 0x800000, v75
	v_cndmask_b32_e32 v76, 0, v76, vcc_lo
	v_cmp_eq_u32_e32 vcc_lo, 0, v73
	v_add_nc_u32_e32 v73, 0xffffff91, v73
	v_cndmask_b32_e64 v76, v76, 0x6f, vcc_lo
	v_cndmask_b32_e32 v75, v77, v75, vcc_lo
	v_cndmask_b32_e64 v73, v73, 0xffffff92, vcc_lo
	v_lshl_add_u32 v77, 0x200000, v76, -1
	v_lshrrev_b32_e32 v78, v76, v75
	v_lshlrev_b32_e64 v88, v76, 0x100000
	v_add_nc_u32_e32 v76, v76, v73
	v_and_b32_e32 v75, v77, v75
	v_bfe_u32 v79, v78, 21, 1
	v_cmp_eq_u32_e64 s17, v75, v88
	v_add_nc_u32_e32 v77, -1, v79
	v_cndmask_b32_e64 v75, 0, v77, s17
	v_lshrrev_b32_e32 v77, 23, v78
	s_mov_b32 s17, exec_lo
	v_add_nc_u32_e32 v75, v75, v78
	v_xor_b32_e32 v77, 1, v77
	v_and_b32_e32 v73, 0x1fffff, v75
	v_add_nc_u32_e32 v75, v73, v78
                                        ; implicit-def: $vgpr73
	v_cmpx_ne_u32_e64 v76, v77
	s_xor_b32 s17, exec_lo, s17
; %bb.815:                              ;   in Loop: Header=BB2_658 Depth=3
	v_cmp_lt_u32_e32 vcc_lo, 0xffffff, v75
	v_sub_nc_u32_e32 v73, v76, v77
	v_cndmask_b32_e64 v76, 0, 1, vcc_lo
	v_add_co_ci_u32_e64 v73, null, 0, v73, vcc_lo
	v_lshrrev_b32_e32 v75, v76, v75
; %bb.816:                              ;   in Loop: Header=BB2_658 Depth=3
	s_andn2_saveexec_b32 s17, s17
; %bb.817:                              ;   in Loop: Header=BB2_658 Depth=3
	v_bfe_u32 v73, v75, 23, 1
; %bb.818:                              ;   in Loop: Header=BB2_658 Depth=3
	s_or_b32 exec_lo, exec_lo, s17
	v_lshrrev_b32_e32 v75, 21, v75
	v_min_i32_e32 v76, 31, v73
	v_cmp_gt_i32_e32 vcc_lo, 32, v73
	v_and_b32_sdwa v74, v74, v98 dst_sel:DWORD dst_unused:UNUSED_PAD src0_sel:BYTE_3 src1_sel:DWORD
	v_lshlrev_b32_e32 v76, 2, v76
	v_cndmask_b32_e32 v75, 3, v75, vcc_lo
	v_and_b32_e32 v76, 0xfc, v76
	v_and_b32_e32 v77, 3, v75
	v_or_b32_e32 v73, v73, v75
	v_or3_b32 v74, v76, v74, v77
	v_cmp_ne_u32_e32 vcc_lo, 0, v73
	v_cndmask_b32_e32 v73, 0, v74, vcc_lo
.LBB2_819:                              ;   in Loop: Header=BB2_658 Depth=3
	s_or_b32 exec_lo, exec_lo, s75
.LBB2_820:                              ;   in Loop: Header=BB2_658 Depth=3
	s_or_b32 exec_lo, exec_lo, s74
	v_cmp_gt_i16_sdwa s74, v10, v97 src0_sel:BYTE_3 src1_sel:DWORD
	s_mov_b32 s17, 0
	s_and_saveexec_b32 s75, s74
	s_xor_b32 s74, exec_lo, s75
	s_cbranch_execz .LBB2_910
; %bb.821:                              ;   in Loop: Header=BB2_658 Depth=3
	v_cmp_eq_u16_sdwa s76, v10, v98 src0_sel:BYTE_3 src1_sel:DWORD
	s_mov_b32 s17, -1
	s_and_saveexec_b32 s75, s76
; %bb.822:                              ;   in Loop: Header=BB2_658 Depth=3
	s_xor_b32 s17, exec_lo, -1
; %bb.823:                              ;   in Loop: Header=BB2_658 Depth=3
	s_or_b32 exec_lo, exec_lo, s75
	s_and_b32 s17, s17, exec_lo
	s_or_saveexec_b32 s74, s74
	v_mov_b32_e32 v74, 0x7f800001
	s_xor_b32 exec_lo, exec_lo, s74
	s_cbranch_execnz .LBB2_911
.LBB2_824:                              ;   in Loop: Header=BB2_658 Depth=3
	s_or_b32 exec_lo, exec_lo, s74
	s_and_saveexec_b32 s74, s17
	s_cbranch_execz .LBB2_826
.LBB2_825:                              ;   in Loop: Header=BB2_658 Depth=3
	v_bfe_u32 v74, v10, 24, 2
	v_bfe_u32 v77, v10, 26, 5
	v_ffbh_u32_e32 v75, v74
	v_cmp_eq_u32_e32 vcc_lo, 0, v77
	v_min_u32_e32 v75, 32, v75
	v_subrev_nc_u32_e32 v76, 29, v75
	v_sub_nc_u32_e32 v75, 30, v75
	v_lshlrev_b32_sdwa v76, v76, v10 dst_sel:DWORD dst_unused:UNUSED_PAD src0_sel:DWORD src1_sel:BYTE_3
	v_cndmask_b32_e32 v75, v77, v75, vcc_lo
	v_and_b32_e32 v10, 0x80000000, v10
	v_and_b32_e32 v76, 3, v76
	v_lshl_add_u32 v75, v75, 23, 0x37800000
	v_cndmask_b32_e32 v74, v74, v76, vcc_lo
	v_lshlrev_b32_e32 v74, 21, v74
	v_or3_b32 v74, v10, v75, v74
.LBB2_826:                              ;   in Loop: Header=BB2_658 Depth=3
	s_or_b32 exec_lo, exec_lo, s74
	v_mul_f32_e32 v74, s73, v74
	v_and_b32_e32 v10, 0x7f800000, v74
	v_cmp_ne_u32_e32 vcc_lo, 0x7f800000, v10
	v_mov_b32_e32 v10, 0x8000
	s_and_saveexec_b32 s74, vcc_lo
	s_cbranch_execz .LBB2_834
; %bb.827:                              ;   in Loop: Header=BB2_658 Depth=3
	v_mov_b32_e32 v10, 0
	s_mov_b32 s75, exec_lo
	v_cmpx_ne_u32_e32 0, v74
	s_cbranch_execz .LBB2_833
; %bb.828:                              ;   in Loop: Header=BB2_658 Depth=3
	v_bfe_u32 v10, v74, 23, 8
	v_and_b32_e32 v75, 0x7fffff, v74
	v_sub_nc_u32_e32 v76, 0x70, v10
	v_cmp_gt_u32_e32 vcc_lo, 0x71, v10
	v_or_b32_e32 v77, 0x800000, v75
	v_cndmask_b32_e32 v76, 0, v76, vcc_lo
	v_cmp_eq_u32_e32 vcc_lo, 0, v10
	v_add_nc_u32_e32 v10, 0xffffff91, v10
	v_cndmask_b32_e64 v76, v76, 0x6f, vcc_lo
	v_cndmask_b32_e32 v75, v77, v75, vcc_lo
	v_cndmask_b32_e64 v10, v10, 0xffffff92, vcc_lo
	v_lshl_add_u32 v77, 0x200000, v76, -1
	v_lshrrev_b32_e32 v78, v76, v75
	v_lshlrev_b32_e64 v88, v76, 0x100000
	v_add_nc_u32_e32 v76, v76, v10
	v_and_b32_e32 v75, v77, v75
	v_bfe_u32 v79, v78, 21, 1
	v_cmp_eq_u32_e64 s17, v75, v88
	v_add_nc_u32_e32 v77, -1, v79
	v_cndmask_b32_e64 v75, 0, v77, s17
	v_lshrrev_b32_e32 v77, 23, v78
	s_mov_b32 s17, exec_lo
	v_add_nc_u32_e32 v75, v75, v78
	v_xor_b32_e32 v77, 1, v77
	v_and_b32_e32 v10, 0x1fffff, v75
	v_add_nc_u32_e32 v75, v10, v78
                                        ; implicit-def: $vgpr10
	v_cmpx_ne_u32_e64 v76, v77
	s_xor_b32 s17, exec_lo, s17
; %bb.829:                              ;   in Loop: Header=BB2_658 Depth=3
	v_cmp_lt_u32_e32 vcc_lo, 0xffffff, v75
	v_sub_nc_u32_e32 v10, v76, v77
	v_cndmask_b32_e64 v76, 0, 1, vcc_lo
	v_add_co_ci_u32_e64 v10, null, 0, v10, vcc_lo
	v_lshrrev_b32_e32 v75, v76, v75
; %bb.830:                              ;   in Loop: Header=BB2_658 Depth=3
	s_andn2_saveexec_b32 s17, s17
; %bb.831:                              ;   in Loop: Header=BB2_658 Depth=3
	v_bfe_u32 v10, v75, 23, 1
; %bb.832:                              ;   in Loop: Header=BB2_658 Depth=3
	s_or_b32 exec_lo, exec_lo, s17
	v_lshrrev_b32_e32 v75, 21, v75
	v_min_i32_e32 v76, 31, v10
	v_cmp_gt_i32_e32 vcc_lo, 32, v10
	v_and_b32_sdwa v74, v74, v98 dst_sel:DWORD dst_unused:UNUSED_PAD src0_sel:BYTE_3 src1_sel:DWORD
	v_lshlrev_b32_e32 v76, 2, v76
	v_cndmask_b32_e32 v75, 3, v75, vcc_lo
	v_and_b32_e32 v76, 0xfc, v76
	v_and_b32_e32 v77, 3, v75
	v_or_b32_e32 v10, v10, v75
	v_or3_b32 v74, v74, v76, v77
	v_cmp_ne_u32_e32 vcc_lo, 0, v10
	v_lshlrev_b32_e32 v74, 8, v74
	v_cndmask_b32_e32 v10, 0, v74, vcc_lo
.LBB2_833:                              ;   in Loop: Header=BB2_658 Depth=3
	s_or_b32 exec_lo, exec_lo, s75
.LBB2_834:                              ;   in Loop: Header=BB2_658 Depth=3
	s_or_b32 exec_lo, exec_lo, s74
	v_cmp_gt_i16_sdwa s74, v11, v97 src0_sel:BYTE_0 src1_sel:DWORD
	s_mov_b32 s17, 0
	s_and_saveexec_b32 s75, s74
	s_xor_b32 s74, exec_lo, s75
	s_cbranch_execz .LBB2_912
; %bb.835:                              ;   in Loop: Header=BB2_658 Depth=3
	v_cmp_eq_u16_sdwa s76, v11, v98 src0_sel:BYTE_0 src1_sel:DWORD
	s_mov_b32 s17, -1
	s_and_saveexec_b32 s75, s76
; %bb.836:                              ;   in Loop: Header=BB2_658 Depth=3
	s_xor_b32 s17, exec_lo, -1
; %bb.837:                              ;   in Loop: Header=BB2_658 Depth=3
	s_or_b32 exec_lo, exec_lo, s75
	s_and_b32 s17, s17, exec_lo
	s_or_saveexec_b32 s74, s74
	v_mov_b32_e32 v74, 0x7f800001
	s_xor_b32 exec_lo, exec_lo, s74
	s_cbranch_execnz .LBB2_913
.LBB2_838:                              ;   in Loop: Header=BB2_658 Depth=3
	s_or_b32 exec_lo, exec_lo, s74
	s_and_saveexec_b32 s74, s17
	s_cbranch_execz .LBB2_840
.LBB2_839:                              ;   in Loop: Header=BB2_658 Depth=3
	v_and_b32_e32 v74, 3, v11
	v_bfe_u32 v77, v11, 2, 5
	v_lshlrev_b32_e32 v78, 24, v11
	v_ffbh_u32_e32 v75, v74
	v_cmp_eq_u32_e32 vcc_lo, 0, v77
	v_min_u32_e32 v75, 32, v75
	v_subrev_nc_u32_e32 v76, 29, v75
	v_sub_nc_u32_e32 v75, 30, v75
	v_lshlrev_b32_e32 v76, v76, v11
	v_cndmask_b32_e32 v75, v77, v75, vcc_lo
	v_and_b32_e32 v76, 3, v76
	v_lshl_add_u32 v75, v75, 23, 0x37800000
	v_cndmask_b32_e32 v74, v74, v76, vcc_lo
	v_and_b32_e32 v76, 0x80000000, v78
	v_lshlrev_b32_e32 v74, 21, v74
	v_or3_b32 v74, v76, v75, v74
.LBB2_840:                              ;   in Loop: Header=BB2_658 Depth=3
	s_or_b32 exec_lo, exec_lo, s74
	v_mul_f32_e32 v75, s73, v74
	v_and_b32_e32 v74, 0x7f800000, v75
	v_cmp_ne_u32_e32 vcc_lo, 0x7f800000, v74
	v_mov_b32_e32 v74, 0x80
	s_and_saveexec_b32 s74, vcc_lo
	s_cbranch_execz .LBB2_848
; %bb.841:                              ;   in Loop: Header=BB2_658 Depth=3
	v_mov_b32_e32 v74, 0
	s_mov_b32 s75, exec_lo
	v_cmpx_ne_u32_e32 0, v75
	s_cbranch_execz .LBB2_847
; %bb.842:                              ;   in Loop: Header=BB2_658 Depth=3
	v_bfe_u32 v74, v75, 23, 8
	v_and_b32_e32 v76, 0x7fffff, v75
	v_sub_nc_u32_e32 v77, 0x70, v74
	v_cmp_gt_u32_e32 vcc_lo, 0x71, v74
	v_or_b32_e32 v78, 0x800000, v76
	v_cndmask_b32_e32 v77, 0, v77, vcc_lo
	v_cmp_eq_u32_e32 vcc_lo, 0, v74
	v_add_nc_u32_e32 v74, 0xffffff91, v74
	v_cndmask_b32_e64 v77, v77, 0x6f, vcc_lo
	v_cndmask_b32_e32 v76, v78, v76, vcc_lo
	v_cndmask_b32_e64 v74, v74, 0xffffff92, vcc_lo
	v_lshl_add_u32 v78, 0x200000, v77, -1
	v_lshrrev_b32_e32 v79, v77, v76
	v_lshlrev_b32_e64 v89, v77, 0x100000
	v_add_nc_u32_e32 v77, v77, v74
	v_and_b32_e32 v76, v78, v76
	v_bfe_u32 v88, v79, 21, 1
	v_cmp_eq_u32_e64 s17, v76, v89
	v_add_nc_u32_e32 v78, -1, v88
	v_cndmask_b32_e64 v76, 0, v78, s17
	v_lshrrev_b32_e32 v78, 23, v79
	s_mov_b32 s17, exec_lo
	v_add_nc_u32_e32 v76, v76, v79
	v_xor_b32_e32 v78, 1, v78
	v_and_b32_e32 v74, 0x1fffff, v76
	v_add_nc_u32_e32 v76, v74, v79
                                        ; implicit-def: $vgpr74
	v_cmpx_ne_u32_e64 v77, v78
	s_xor_b32 s17, exec_lo, s17
; %bb.843:                              ;   in Loop: Header=BB2_658 Depth=3
	v_cmp_lt_u32_e32 vcc_lo, 0xffffff, v76
	v_sub_nc_u32_e32 v74, v77, v78
	v_cndmask_b32_e64 v77, 0, 1, vcc_lo
	v_add_co_ci_u32_e64 v74, null, 0, v74, vcc_lo
	v_lshrrev_b32_e32 v76, v77, v76
; %bb.844:                              ;   in Loop: Header=BB2_658 Depth=3
	s_andn2_saveexec_b32 s17, s17
; %bb.845:                              ;   in Loop: Header=BB2_658 Depth=3
	v_bfe_u32 v74, v76, 23, 1
; %bb.846:                              ;   in Loop: Header=BB2_658 Depth=3
	s_or_b32 exec_lo, exec_lo, s17
	v_lshrrev_b32_e32 v76, 21, v76
	v_min_i32_e32 v77, 31, v74
	v_cmp_gt_i32_e32 vcc_lo, 32, v74
	v_and_b32_sdwa v75, v75, v98 dst_sel:DWORD dst_unused:UNUSED_PAD src0_sel:BYTE_3 src1_sel:DWORD
	v_lshlrev_b32_e32 v77, 2, v77
	v_cndmask_b32_e32 v76, 3, v76, vcc_lo
	v_and_b32_e32 v77, 0xfc, v77
	v_and_b32_e32 v78, 3, v76
	v_or_b32_e32 v74, v74, v76
	v_or3_b32 v75, v77, v75, v78
	v_cmp_ne_u32_e32 vcc_lo, 0, v74
	v_cndmask_b32_e32 v74, 0, v75, vcc_lo
.LBB2_847:                              ;   in Loop: Header=BB2_658 Depth=3
	s_or_b32 exec_lo, exec_lo, s75
.LBB2_848:                              ;   in Loop: Header=BB2_658 Depth=3
	s_or_b32 exec_lo, exec_lo, s74
	v_cmp_gt_i16_sdwa s74, v11, v97 src0_sel:BYTE_1 src1_sel:DWORD
	s_mov_b32 s17, 0
	s_and_saveexec_b32 s75, s74
	s_xor_b32 s74, exec_lo, s75
	s_cbranch_execz .LBB2_914
; %bb.849:                              ;   in Loop: Header=BB2_658 Depth=3
	v_cmp_eq_u16_sdwa s76, v11, v98 src0_sel:BYTE_1 src1_sel:DWORD
	s_mov_b32 s17, -1
	s_and_saveexec_b32 s75, s76
; %bb.850:                              ;   in Loop: Header=BB2_658 Depth=3
	s_xor_b32 s17, exec_lo, -1
; %bb.851:                              ;   in Loop: Header=BB2_658 Depth=3
	s_or_b32 exec_lo, exec_lo, s75
	s_and_b32 s17, s17, exec_lo
	s_or_saveexec_b32 s74, s74
	v_mov_b32_e32 v75, 0x7f800001
	s_xor_b32 exec_lo, exec_lo, s74
	s_cbranch_execnz .LBB2_915
.LBB2_852:                              ;   in Loop: Header=BB2_658 Depth=3
	s_or_b32 exec_lo, exec_lo, s74
	s_and_saveexec_b32 s74, s17
	s_cbranch_execz .LBB2_854
.LBB2_853:                              ;   in Loop: Header=BB2_658 Depth=3
	v_and_b32_sdwa v75, v99, v11 dst_sel:DWORD dst_unused:UNUSED_PAD src0_sel:DWORD src1_sel:BYTE_1
	v_and_b32_e32 v76, 3, v75
	v_bfe_u32 v79, v75, 2, 5
	v_ffbh_u32_e32 v77, v76
	v_cmp_eq_u32_e32 vcc_lo, 0, v79
	v_min_u32_e32 v77, 32, v77
	v_subrev_nc_u32_e32 v78, 29, v77
	v_sub_nc_u32_e32 v77, 30, v77
	v_lshlrev_b32_e32 v75, v78, v75
	v_lshlrev_b32_sdwa v78, v100, v11 dst_sel:DWORD dst_unused:UNUSED_PAD src0_sel:DWORD src1_sel:BYTE_1
	v_cndmask_b32_e32 v77, v79, v77, vcc_lo
	v_and_b32_e32 v75, 3, v75
	v_lshl_add_u32 v77, v77, 23, 0x37800000
	v_cndmask_b32_e32 v75, v76, v75, vcc_lo
	v_and_b32_e32 v76, 0x80000000, v78
	v_lshlrev_b32_e32 v75, 21, v75
	v_or3_b32 v75, v76, v77, v75
.LBB2_854:                              ;   in Loop: Header=BB2_658 Depth=3
	s_or_b32 exec_lo, exec_lo, s74
	v_mul_f32_e32 v76, s73, v75
	v_and_b32_e32 v75, 0x7f800000, v76
	v_cmp_ne_u32_e32 vcc_lo, 0x7f800000, v75
	v_mov_b32_e32 v75, 0x8000
	s_and_saveexec_b32 s74, vcc_lo
	s_cbranch_execz .LBB2_862
; %bb.855:                              ;   in Loop: Header=BB2_658 Depth=3
	v_mov_b32_e32 v75, 0
	s_mov_b32 s75, exec_lo
	v_cmpx_ne_u32_e32 0, v76
	s_cbranch_execz .LBB2_861
; %bb.856:                              ;   in Loop: Header=BB2_658 Depth=3
	v_bfe_u32 v75, v76, 23, 8
	v_and_b32_e32 v77, 0x7fffff, v76
	v_sub_nc_u32_e32 v78, 0x70, v75
	v_cmp_gt_u32_e32 vcc_lo, 0x71, v75
	v_or_b32_e32 v79, 0x800000, v77
	v_cndmask_b32_e32 v78, 0, v78, vcc_lo
	v_cmp_eq_u32_e32 vcc_lo, 0, v75
	v_add_nc_u32_e32 v75, 0xffffff91, v75
	v_cndmask_b32_e64 v78, v78, 0x6f, vcc_lo
	v_cndmask_b32_e32 v77, v79, v77, vcc_lo
	v_cndmask_b32_e64 v75, v75, 0xffffff92, vcc_lo
	v_lshl_add_u32 v79, 0x200000, v78, -1
	v_lshrrev_b32_e32 v88, v78, v77
	v_lshlrev_b32_e64 v90, v78, 0x100000
	v_add_nc_u32_e32 v78, v78, v75
	v_and_b32_e32 v77, v79, v77
	v_bfe_u32 v89, v88, 21, 1
	v_cmp_eq_u32_e64 s17, v77, v90
	v_add_nc_u32_e32 v79, -1, v89
	v_cndmask_b32_e64 v77, 0, v79, s17
	v_lshrrev_b32_e32 v79, 23, v88
	s_mov_b32 s17, exec_lo
	v_add_nc_u32_e32 v77, v77, v88
	v_xor_b32_e32 v79, 1, v79
	v_and_b32_e32 v75, 0x1fffff, v77
	v_add_nc_u32_e32 v77, v75, v88
                                        ; implicit-def: $vgpr75
	v_cmpx_ne_u32_e64 v78, v79
	s_xor_b32 s17, exec_lo, s17
; %bb.857:                              ;   in Loop: Header=BB2_658 Depth=3
	v_cmp_lt_u32_e32 vcc_lo, 0xffffff, v77
	v_sub_nc_u32_e32 v75, v78, v79
	v_cndmask_b32_e64 v78, 0, 1, vcc_lo
	v_add_co_ci_u32_e64 v75, null, 0, v75, vcc_lo
	v_lshrrev_b32_e32 v77, v78, v77
; %bb.858:                              ;   in Loop: Header=BB2_658 Depth=3
	s_andn2_saveexec_b32 s17, s17
; %bb.859:                              ;   in Loop: Header=BB2_658 Depth=3
	v_bfe_u32 v75, v77, 23, 1
; %bb.860:                              ;   in Loop: Header=BB2_658 Depth=3
	s_or_b32 exec_lo, exec_lo, s17
	v_lshrrev_b32_e32 v77, 21, v77
	v_min_i32_e32 v78, 31, v75
	v_cmp_gt_i32_e32 vcc_lo, 32, v75
	v_and_b32_sdwa v76, v76, v98 dst_sel:DWORD dst_unused:UNUSED_PAD src0_sel:BYTE_3 src1_sel:DWORD
	v_lshlrev_b32_e32 v78, 2, v78
	v_cndmask_b32_e32 v77, 3, v77, vcc_lo
	v_and_b32_e32 v78, 0xfc, v78
	v_and_b32_e32 v79, 3, v77
	v_or_b32_e32 v75, v75, v77
	v_or3_b32 v76, v76, v78, v79
	v_cmp_ne_u32_e32 vcc_lo, 0, v75
	v_lshlrev_b32_e32 v76, 8, v76
	v_cndmask_b32_e32 v75, 0, v76, vcc_lo
.LBB2_861:                              ;   in Loop: Header=BB2_658 Depth=3
	s_or_b32 exec_lo, exec_lo, s75
.LBB2_862:                              ;   in Loop: Header=BB2_658 Depth=3
	s_or_b32 exec_lo, exec_lo, s74
	v_and_b32_sdwa v77, v11, v101 dst_sel:DWORD dst_unused:UNUSED_PAD src0_sel:WORD_1 src1_sel:DWORD
	s_mov_b32 s17, 0
	s_mov_b32 s74, exec_lo
	v_cmpx_lt_i16_e32 0x7f, v77
	s_xor_b32 s74, exec_lo, s74
	s_cbranch_execz .LBB2_916
; %bb.863:                              ;   in Loop: Header=BB2_658 Depth=3
	s_mov_b32 s17, -1
	s_mov_b32 s75, exec_lo
	v_cmpx_eq_u16_e32 0x80, v77
; %bb.864:                              ;   in Loop: Header=BB2_658 Depth=3
	s_xor_b32 s17, exec_lo, -1
; %bb.865:                              ;   in Loop: Header=BB2_658 Depth=3
	s_or_b32 exec_lo, exec_lo, s75
	s_and_b32 s17, s17, exec_lo
                                        ; implicit-def: $vgpr77
	s_or_saveexec_b32 s74, s74
	v_mov_b32_e32 v76, 0x7f800001
	s_xor_b32 exec_lo, exec_lo, s74
	s_cbranch_execnz .LBB2_917
.LBB2_866:                              ;   in Loop: Header=BB2_658 Depth=3
	s_or_b32 exec_lo, exec_lo, s74
	s_and_saveexec_b32 s74, s17
	s_cbranch_execz .LBB2_868
.LBB2_867:                              ;   in Loop: Header=BB2_658 Depth=3
	v_bfe_u32 v76, v11, 16, 2
	v_bfe_u32 v79, v11, 18, 5
	v_lshlrev_b32_e32 v88, 8, v11
	v_ffbh_u32_e32 v77, v76
	v_cmp_eq_u32_e32 vcc_lo, 0, v79
	v_min_u32_e32 v77, 32, v77
	v_subrev_nc_u32_e32 v78, 29, v77
	v_sub_nc_u32_e32 v77, 30, v77
	v_lshlrev_b32_sdwa v78, v78, v11 dst_sel:DWORD dst_unused:UNUSED_PAD src0_sel:DWORD src1_sel:WORD_1
	v_cndmask_b32_e32 v77, v79, v77, vcc_lo
	v_and_b32_e32 v78, 3, v78
	v_lshl_add_u32 v77, v77, 23, 0x37800000
	v_cndmask_b32_e32 v76, v76, v78, vcc_lo
	v_and_b32_e32 v78, 0x80000000, v88
	v_lshlrev_b32_e32 v76, 21, v76
	v_or3_b32 v76, v78, v77, v76
.LBB2_868:                              ;   in Loop: Header=BB2_658 Depth=3
	s_or_b32 exec_lo, exec_lo, s74
	v_mul_f32_e32 v77, s73, v76
	v_and_b32_e32 v76, 0x7f800000, v77
	v_cmp_ne_u32_e32 vcc_lo, 0x7f800000, v76
	v_mov_b32_e32 v76, 0x80
	s_and_saveexec_b32 s74, vcc_lo
	s_cbranch_execz .LBB2_876
; %bb.869:                              ;   in Loop: Header=BB2_658 Depth=3
	v_mov_b32_e32 v76, 0
	s_mov_b32 s75, exec_lo
	v_cmpx_ne_u32_e32 0, v77
	s_cbranch_execz .LBB2_875
; %bb.870:                              ;   in Loop: Header=BB2_658 Depth=3
	v_bfe_u32 v76, v77, 23, 8
	v_and_b32_e32 v78, 0x7fffff, v77
	v_sub_nc_u32_e32 v79, 0x70, v76
	v_cmp_gt_u32_e32 vcc_lo, 0x71, v76
	v_or_b32_e32 v88, 0x800000, v78
	v_cndmask_b32_e32 v79, 0, v79, vcc_lo
	v_cmp_eq_u32_e32 vcc_lo, 0, v76
	v_add_nc_u32_e32 v76, 0xffffff91, v76
	v_cndmask_b32_e64 v79, v79, 0x6f, vcc_lo
	v_cndmask_b32_e32 v78, v88, v78, vcc_lo
	v_cndmask_b32_e64 v76, v76, 0xffffff92, vcc_lo
	v_lshl_add_u32 v88, 0x200000, v79, -1
	v_lshrrev_b32_e32 v89, v79, v78
	v_lshlrev_b32_e64 v91, v79, 0x100000
	v_add_nc_u32_e32 v79, v79, v76
	v_and_b32_e32 v78, v88, v78
	v_bfe_u32 v90, v89, 21, 1
	v_cmp_eq_u32_e64 s17, v78, v91
	v_add_nc_u32_e32 v88, -1, v90
	v_cndmask_b32_e64 v78, 0, v88, s17
	v_lshrrev_b32_e32 v88, 23, v89
	s_mov_b32 s17, exec_lo
	v_add_nc_u32_e32 v78, v78, v89
	v_xor_b32_e32 v88, 1, v88
	v_and_b32_e32 v76, 0x1fffff, v78
	v_add_nc_u32_e32 v78, v76, v89
                                        ; implicit-def: $vgpr76
	v_cmpx_ne_u32_e64 v79, v88
	s_xor_b32 s17, exec_lo, s17
; %bb.871:                              ;   in Loop: Header=BB2_658 Depth=3
	v_cmp_lt_u32_e32 vcc_lo, 0xffffff, v78
	v_sub_nc_u32_e32 v76, v79, v88
	v_cndmask_b32_e64 v79, 0, 1, vcc_lo
	v_add_co_ci_u32_e64 v76, null, 0, v76, vcc_lo
	v_lshrrev_b32_e32 v78, v79, v78
; %bb.872:                              ;   in Loop: Header=BB2_658 Depth=3
	s_andn2_saveexec_b32 s17, s17
; %bb.873:                              ;   in Loop: Header=BB2_658 Depth=3
	v_bfe_u32 v76, v78, 23, 1
; %bb.874:                              ;   in Loop: Header=BB2_658 Depth=3
	s_or_b32 exec_lo, exec_lo, s17
	v_lshrrev_b32_e32 v78, 21, v78
	v_min_i32_e32 v79, 31, v76
	v_cmp_gt_i32_e32 vcc_lo, 32, v76
	v_and_b32_sdwa v77, v77, v98 dst_sel:DWORD dst_unused:UNUSED_PAD src0_sel:BYTE_3 src1_sel:DWORD
	v_lshlrev_b32_e32 v79, 2, v79
	v_cndmask_b32_e32 v78, 3, v78, vcc_lo
	v_and_b32_e32 v79, 0xfc, v79
	v_and_b32_e32 v88, 3, v78
	v_or_b32_e32 v76, v76, v78
	v_or3_b32 v77, v79, v77, v88
	v_cmp_ne_u32_e32 vcc_lo, 0, v76
	v_cndmask_b32_e32 v76, 0, v77, vcc_lo
.LBB2_875:                              ;   in Loop: Header=BB2_658 Depth=3
	s_or_b32 exec_lo, exec_lo, s75
.LBB2_876:                              ;   in Loop: Header=BB2_658 Depth=3
	s_or_b32 exec_lo, exec_lo, s74
	v_cmp_gt_i16_sdwa s74, v11, v97 src0_sel:BYTE_3 src1_sel:DWORD
	s_mov_b32 s17, 0
	s_and_saveexec_b32 s75, s74
	s_xor_b32 s74, exec_lo, s75
	s_cbranch_execz .LBB2_918
; %bb.877:                              ;   in Loop: Header=BB2_658 Depth=3
	v_cmp_eq_u16_sdwa s76, v11, v98 src0_sel:BYTE_3 src1_sel:DWORD
	s_mov_b32 s17, -1
	s_and_saveexec_b32 s75, s76
; %bb.878:                              ;   in Loop: Header=BB2_658 Depth=3
	s_xor_b32 s17, exec_lo, -1
; %bb.879:                              ;   in Loop: Header=BB2_658 Depth=3
	s_or_b32 exec_lo, exec_lo, s75
	s_and_b32 s17, s17, exec_lo
	s_or_saveexec_b32 s74, s74
	v_mov_b32_e32 v77, 0x7f800001
	s_xor_b32 exec_lo, exec_lo, s74
	s_cbranch_execnz .LBB2_919
.LBB2_880:                              ;   in Loop: Header=BB2_658 Depth=3
	s_or_b32 exec_lo, exec_lo, s74
	s_and_saveexec_b32 s74, s17
	s_cbranch_execz .LBB2_882
.LBB2_881:                              ;   in Loop: Header=BB2_658 Depth=3
	v_bfe_u32 v77, v11, 24, 2
	v_bfe_u32 v88, v11, 26, 5
	v_ffbh_u32_e32 v78, v77
	v_cmp_eq_u32_e32 vcc_lo, 0, v88
	v_min_u32_e32 v78, 32, v78
	v_subrev_nc_u32_e32 v79, 29, v78
	v_sub_nc_u32_e32 v78, 30, v78
	v_lshlrev_b32_sdwa v79, v79, v11 dst_sel:DWORD dst_unused:UNUSED_PAD src0_sel:DWORD src1_sel:BYTE_3
	v_cndmask_b32_e32 v78, v88, v78, vcc_lo
	v_and_b32_e32 v11, 0x80000000, v11
	v_and_b32_e32 v79, 3, v79
	v_lshl_add_u32 v78, v78, 23, 0x37800000
	v_cndmask_b32_e32 v77, v77, v79, vcc_lo
	v_lshlrev_b32_e32 v77, 21, v77
	v_or3_b32 v77, v11, v78, v77
.LBB2_882:                              ;   in Loop: Header=BB2_658 Depth=3
	s_or_b32 exec_lo, exec_lo, s74
	v_mul_f32_e32 v11, s73, v77
	v_and_b32_e32 v77, 0x7f800000, v11
	v_cmp_ne_u32_e32 vcc_lo, 0x7f800000, v77
	v_mov_b32_e32 v77, 0x8000
	s_and_saveexec_b32 s73, vcc_lo
	s_cbranch_execz .LBB2_657
; %bb.883:                              ;   in Loop: Header=BB2_658 Depth=3
	v_mov_b32_e32 v77, 0
	s_mov_b32 s74, exec_lo
	v_cmpx_ne_u32_e32 0, v11
	s_cbranch_execz .LBB2_656
; %bb.884:                              ;   in Loop: Header=BB2_658 Depth=3
	v_bfe_u32 v77, v11, 23, 8
	v_and_b32_e32 v78, 0x7fffff, v11
	v_sub_nc_u32_e32 v79, 0x70, v77
	v_cmp_gt_u32_e32 vcc_lo, 0x71, v77
	v_or_b32_e32 v88, 0x800000, v78
	v_cndmask_b32_e32 v79, 0, v79, vcc_lo
	v_cmp_eq_u32_e32 vcc_lo, 0, v77
	v_add_nc_u32_e32 v77, 0xffffff91, v77
	v_cndmask_b32_e64 v79, v79, 0x6f, vcc_lo
	v_cndmask_b32_e32 v78, v88, v78, vcc_lo
	v_cndmask_b32_e64 v77, v77, 0xffffff92, vcc_lo
	v_lshl_add_u32 v88, 0x200000, v79, -1
	v_lshrrev_b32_e32 v89, v79, v78
	v_lshlrev_b32_e64 v91, v79, 0x100000
	v_add_nc_u32_e32 v79, v79, v77
	v_and_b32_e32 v78, v88, v78
	v_bfe_u32 v90, v89, 21, 1
	v_cmp_eq_u32_e64 s17, v78, v91
	v_add_nc_u32_e32 v88, -1, v90
	v_cndmask_b32_e64 v78, 0, v88, s17
	v_lshrrev_b32_e32 v88, 23, v89
	s_mov_b32 s17, exec_lo
	v_add_nc_u32_e32 v78, v78, v89
	v_xor_b32_e32 v88, 1, v88
	v_and_b32_e32 v77, 0x1fffff, v78
	v_add_nc_u32_e32 v78, v77, v89
                                        ; implicit-def: $vgpr77
	v_cmpx_ne_u32_e64 v79, v88
	s_xor_b32 s17, exec_lo, s17
; %bb.885:                              ;   in Loop: Header=BB2_658 Depth=3
	v_cmp_lt_u32_e32 vcc_lo, 0xffffff, v78
	v_sub_nc_u32_e32 v77, v79, v88
	v_cndmask_b32_e64 v79, 0, 1, vcc_lo
	v_add_co_ci_u32_e64 v77, null, 0, v77, vcc_lo
	v_lshrrev_b32_e32 v78, v79, v78
; %bb.886:                              ;   in Loop: Header=BB2_658 Depth=3
	s_andn2_saveexec_b32 s17, s17
	s_cbranch_execz .LBB2_655
; %bb.887:                              ;   in Loop: Header=BB2_658 Depth=3
	v_bfe_u32 v77, v78, 23, 1
	s_branch .LBB2_655
.LBB2_888:                              ;   in Loop: Header=BB2_658 Depth=3
	s_or_saveexec_b32 s74, s74
	v_mov_b32_e32 v57, 0x7f800001
	s_xor_b32 exec_lo, exec_lo, s74
	s_cbranch_execz .LBB2_670
.LBB2_889:                              ;   in Loop: Header=BB2_658 Depth=3
	v_cmp_ne_u16_sdwa s75, v8, v2 src0_sel:BYTE_0 src1_sel:DWORD
	v_mov_b32_e32 v57, 0
	s_andn2_b32 s17, s17, exec_lo
	s_and_b32 s75, s75, exec_lo
	s_or_b32 s17, s17, s75
	s_or_b32 exec_lo, exec_lo, s74
	s_and_saveexec_b32 s74, s17
	s_cbranch_execnz .LBB2_671
	s_branch .LBB2_672
.LBB2_890:                              ;   in Loop: Header=BB2_658 Depth=3
	s_or_saveexec_b32 s74, s74
	v_mov_b32_e32 v58, 0x7f800001
	s_xor_b32 exec_lo, exec_lo, s74
	s_cbranch_execz .LBB2_684
.LBB2_891:                              ;   in Loop: Header=BB2_658 Depth=3
	v_cmp_ne_u16_sdwa s75, v8, v2 src0_sel:BYTE_1 src1_sel:DWORD
	v_mov_b32_e32 v58, 0
	s_andn2_b32 s17, s17, exec_lo
	s_and_b32 s75, s75, exec_lo
	s_or_b32 s17, s17, s75
	s_or_b32 exec_lo, exec_lo, s74
	s_and_saveexec_b32 s74, s17
	s_cbranch_execnz .LBB2_685
	s_branch .LBB2_686
.LBB2_892:                              ;   in Loop: Header=BB2_658 Depth=3
	s_or_saveexec_b32 s74, s74
	v_mov_b32_e32 v59, 0x7f800001
	s_xor_b32 exec_lo, exec_lo, s74
	s_cbranch_execz .LBB2_698
.LBB2_893:                              ;   in Loop: Header=BB2_658 Depth=3
	v_cmp_ne_u16_e32 vcc_lo, 0, v60
	v_mov_b32_e32 v59, 0
	s_andn2_b32 s17, s17, exec_lo
	s_and_b32 s75, vcc_lo, exec_lo
	s_or_b32 s17, s17, s75
	s_or_b32 exec_lo, exec_lo, s74
	s_and_saveexec_b32 s74, s17
	s_cbranch_execnz .LBB2_699
	s_branch .LBB2_700
.LBB2_894:                              ;   in Loop: Header=BB2_658 Depth=3
	s_or_saveexec_b32 s74, s74
	v_mov_b32_e32 v60, 0x7f800001
	s_xor_b32 exec_lo, exec_lo, s74
	s_cbranch_execz .LBB2_712
.LBB2_895:                              ;   in Loop: Header=BB2_658 Depth=3
	v_cmp_ne_u16_sdwa s75, v8, v2 src0_sel:BYTE_3 src1_sel:DWORD
	v_mov_b32_e32 v60, 0
	s_andn2_b32 s17, s17, exec_lo
	s_and_b32 s75, s75, exec_lo
	s_or_b32 s17, s17, s75
	s_or_b32 exec_lo, exec_lo, s74
	s_and_saveexec_b32 s74, s17
	s_cbranch_execnz .LBB2_713
	s_branch .LBB2_714
.LBB2_896:                              ;   in Loop: Header=BB2_658 Depth=3
	s_or_saveexec_b32 s74, s74
	v_mov_b32_e32 v60, 0x7f800001
	s_xor_b32 exec_lo, exec_lo, s74
	s_cbranch_execz .LBB2_726
.LBB2_897:                              ;   in Loop: Header=BB2_658 Depth=3
	v_cmp_ne_u16_sdwa s75, v9, v2 src0_sel:BYTE_0 src1_sel:DWORD
	v_mov_b32_e32 v60, 0
	s_andn2_b32 s17, s17, exec_lo
	s_and_b32 s75, s75, exec_lo
	s_or_b32 s17, s17, s75
	s_or_b32 exec_lo, exec_lo, s74
	s_and_saveexec_b32 s74, s17
	s_cbranch_execnz .LBB2_727
	s_branch .LBB2_728
.LBB2_898:                              ;   in Loop: Header=BB2_658 Depth=3
	s_or_saveexec_b32 s74, s74
	v_mov_b32_e32 v61, 0x7f800001
	s_xor_b32 exec_lo, exec_lo, s74
	s_cbranch_execz .LBB2_740
.LBB2_899:                              ;   in Loop: Header=BB2_658 Depth=3
	v_cmp_ne_u16_sdwa s75, v9, v2 src0_sel:BYTE_1 src1_sel:DWORD
	v_mov_b32_e32 v61, 0
	s_andn2_b32 s17, s17, exec_lo
	s_and_b32 s75, s75, exec_lo
	s_or_b32 s17, s17, s75
	s_or_b32 exec_lo, exec_lo, s74
	s_and_saveexec_b32 s74, s17
	s_cbranch_execnz .LBB2_741
	s_branch .LBB2_742
.LBB2_900:                              ;   in Loop: Header=BB2_658 Depth=3
	s_or_saveexec_b32 s74, s74
	v_mov_b32_e32 v62, 0x7f800001
	s_xor_b32 exec_lo, exec_lo, s74
	s_cbranch_execz .LBB2_754
.LBB2_901:                              ;   in Loop: Header=BB2_658 Depth=3
	v_cmp_ne_u16_e32 vcc_lo, 0, v63
	v_mov_b32_e32 v62, 0
	s_andn2_b32 s17, s17, exec_lo
	s_and_b32 s75, vcc_lo, exec_lo
	s_or_b32 s17, s17, s75
	s_or_b32 exec_lo, exec_lo, s74
	s_and_saveexec_b32 s74, s17
	s_cbranch_execnz .LBB2_755
	s_branch .LBB2_756
.LBB2_902:                              ;   in Loop: Header=BB2_658 Depth=3
	s_or_saveexec_b32 s74, s74
	v_mov_b32_e32 v63, 0x7f800001
	s_xor_b32 exec_lo, exec_lo, s74
	s_cbranch_execz .LBB2_768
.LBB2_903:                              ;   in Loop: Header=BB2_658 Depth=3
	v_cmp_ne_u16_sdwa s75, v9, v2 src0_sel:BYTE_3 src1_sel:DWORD
	v_mov_b32_e32 v63, 0
	s_andn2_b32 s17, s17, exec_lo
	s_and_b32 s75, s75, exec_lo
	s_or_b32 s17, s17, s75
	s_or_b32 exec_lo, exec_lo, s74
	s_and_saveexec_b32 s74, s17
	s_cbranch_execnz .LBB2_769
	s_branch .LBB2_770
.LBB2_904:                              ;   in Loop: Header=BB2_658 Depth=3
	s_or_saveexec_b32 s74, s74
	v_mov_b32_e32 v63, 0x7f800001
	s_xor_b32 exec_lo, exec_lo, s74
	s_cbranch_execz .LBB2_782
.LBB2_905:                              ;   in Loop: Header=BB2_658 Depth=3
	v_cmp_ne_u16_sdwa s75, v10, v2 src0_sel:BYTE_0 src1_sel:DWORD
	v_mov_b32_e32 v63, 0
	s_andn2_b32 s17, s17, exec_lo
	s_and_b32 s75, s75, exec_lo
	s_or_b32 s17, s17, s75
	s_or_b32 exec_lo, exec_lo, s74
	s_and_saveexec_b32 s74, s17
	s_cbranch_execnz .LBB2_783
	s_branch .LBB2_784
.LBB2_906:                              ;   in Loop: Header=BB2_658 Depth=3
	s_or_saveexec_b32 s74, s74
	v_mov_b32_e32 v72, 0x7f800001
	s_xor_b32 exec_lo, exec_lo, s74
	s_cbranch_execz .LBB2_796
.LBB2_907:                              ;   in Loop: Header=BB2_658 Depth=3
	v_cmp_ne_u16_sdwa s75, v10, v2 src0_sel:BYTE_1 src1_sel:DWORD
	v_mov_b32_e32 v72, 0
	s_andn2_b32 s17, s17, exec_lo
	s_and_b32 s75, s75, exec_lo
	s_or_b32 s17, s17, s75
	s_or_b32 exec_lo, exec_lo, s74
	s_and_saveexec_b32 s74, s17
	s_cbranch_execnz .LBB2_797
	s_branch .LBB2_798
.LBB2_908:                              ;   in Loop: Header=BB2_658 Depth=3
	s_or_saveexec_b32 s74, s74
	v_mov_b32_e32 v73, 0x7f800001
	s_xor_b32 exec_lo, exec_lo, s74
	s_cbranch_execz .LBB2_810
.LBB2_909:                              ;   in Loop: Header=BB2_658 Depth=3
	v_cmp_ne_u16_e32 vcc_lo, 0, v74
	v_mov_b32_e32 v73, 0
	s_andn2_b32 s17, s17, exec_lo
	s_and_b32 s75, vcc_lo, exec_lo
	s_or_b32 s17, s17, s75
	s_or_b32 exec_lo, exec_lo, s74
	s_and_saveexec_b32 s74, s17
	s_cbranch_execnz .LBB2_811
	s_branch .LBB2_812
.LBB2_910:                              ;   in Loop: Header=BB2_658 Depth=3
	s_or_saveexec_b32 s74, s74
	v_mov_b32_e32 v74, 0x7f800001
	s_xor_b32 exec_lo, exec_lo, s74
	s_cbranch_execz .LBB2_824
.LBB2_911:                              ;   in Loop: Header=BB2_658 Depth=3
	v_cmp_ne_u16_sdwa s75, v10, v2 src0_sel:BYTE_3 src1_sel:DWORD
	v_mov_b32_e32 v74, 0
	s_andn2_b32 s17, s17, exec_lo
	s_and_b32 s75, s75, exec_lo
	s_or_b32 s17, s17, s75
	s_or_b32 exec_lo, exec_lo, s74
	s_and_saveexec_b32 s74, s17
	s_cbranch_execnz .LBB2_825
	s_branch .LBB2_826
.LBB2_912:                              ;   in Loop: Header=BB2_658 Depth=3
	s_or_saveexec_b32 s74, s74
	v_mov_b32_e32 v74, 0x7f800001
	s_xor_b32 exec_lo, exec_lo, s74
	s_cbranch_execz .LBB2_838
.LBB2_913:                              ;   in Loop: Header=BB2_658 Depth=3
	v_cmp_ne_u16_sdwa s75, v11, v2 src0_sel:BYTE_0 src1_sel:DWORD
	v_mov_b32_e32 v74, 0
	s_andn2_b32 s17, s17, exec_lo
	s_and_b32 s75, s75, exec_lo
	s_or_b32 s17, s17, s75
	s_or_b32 exec_lo, exec_lo, s74
	s_and_saveexec_b32 s74, s17
	s_cbranch_execnz .LBB2_839
	s_branch .LBB2_840
.LBB2_914:                              ;   in Loop: Header=BB2_658 Depth=3
	s_or_saveexec_b32 s74, s74
	v_mov_b32_e32 v75, 0x7f800001
	s_xor_b32 exec_lo, exec_lo, s74
	s_cbranch_execz .LBB2_852
.LBB2_915:                              ;   in Loop: Header=BB2_658 Depth=3
	v_cmp_ne_u16_sdwa s75, v11, v2 src0_sel:BYTE_1 src1_sel:DWORD
	v_mov_b32_e32 v75, 0
	s_andn2_b32 s17, s17, exec_lo
	s_and_b32 s75, s75, exec_lo
	s_or_b32 s17, s17, s75
	s_or_b32 exec_lo, exec_lo, s74
	s_and_saveexec_b32 s74, s17
	s_cbranch_execnz .LBB2_853
	s_branch .LBB2_854
.LBB2_916:                              ;   in Loop: Header=BB2_658 Depth=3
	s_or_saveexec_b32 s74, s74
	v_mov_b32_e32 v76, 0x7f800001
	s_xor_b32 exec_lo, exec_lo, s74
	s_cbranch_execz .LBB2_866
.LBB2_917:                              ;   in Loop: Header=BB2_658 Depth=3
	v_cmp_ne_u16_e32 vcc_lo, 0, v77
	v_mov_b32_e32 v76, 0
	s_andn2_b32 s17, s17, exec_lo
	s_and_b32 s75, vcc_lo, exec_lo
	s_or_b32 s17, s17, s75
	s_or_b32 exec_lo, exec_lo, s74
	s_and_saveexec_b32 s74, s17
	s_cbranch_execnz .LBB2_867
	s_branch .LBB2_868
.LBB2_918:                              ;   in Loop: Header=BB2_658 Depth=3
	s_or_saveexec_b32 s74, s74
	v_mov_b32_e32 v77, 0x7f800001
	s_xor_b32 exec_lo, exec_lo, s74
	s_cbranch_execz .LBB2_880
.LBB2_919:                              ;   in Loop: Header=BB2_658 Depth=3
	v_cmp_ne_u16_sdwa s75, v11, v2 src0_sel:BYTE_3 src1_sel:DWORD
	v_mov_b32_e32 v77, 0
	s_andn2_b32 s17, s17, exec_lo
	s_and_b32 s75, s75, exec_lo
	s_or_b32 s17, s17, s75
	s_or_b32 exec_lo, exec_lo, s74
	s_and_saveexec_b32 s74, s17
	s_cbranch_execnz .LBB2_881
	s_branch .LBB2_882
.LBB2_920:                              ;   in Loop: Header=BB2_57 Depth=2
	s_or_b32 exec_lo, exec_lo, s62
.LBB2_921:                              ;   in Loop: Header=BB2_57 Depth=2
	s_or_b32 exec_lo, exec_lo, s61
	v_and_b32_e32 v8, 15, v3
	v_cmp_lt_i32_e32 vcc_lo, 0, v69
	v_sub_nc_u32_e32 v9, v68, v8
	v_cndmask_b32_e32 v10, 0, v83, vcc_lo
	v_cndmask_b32_e64 v11, v68, v8, s16
	v_cndmask_b32_e64 v8, 0, v9, s16
	v_sub_nc_u32_e32 v9, v10, v69
	v_cmp_ne_u32_e32 vcc_lo, 0, v11
	v_add3_u32 v10, v67, v66, v8
	v_lshl_add_u32 v67, v9, 5, v51
	s_and_b32 s16, vcc_lo, exec_lo
.LBB2_922:                              ;   in Loop: Header=BB2_57 Depth=2
	s_or_b32 exec_lo, exec_lo, s23
	s_and_saveexec_b32 s17, s16
	s_cbranch_execz .LBB2_1091
.LBB2_923:                              ;   in Loop: Header=BB2_57 Depth=2
	v_ashrrev_i32_e32 v8, 31, v67
	v_ashrrev_i32_e32 v9, 31, v11
	s_mov_b32 s23, exec_lo
	v_lshrrev_b32_e32 v8, 27, v8
	v_add_nc_u32_sdwa v9, v11, v9 dst_sel:DWORD dst_unused:UNUSED_PAD src0_sel:DWORD src1_sel:BYTE_3
	v_add_nc_u32_e32 v8, v67, v8
	v_ashrrev_i32_e32 v68, 8, v9
	v_ashrrev_i32_e32 v51, 5, v8
	v_sub_nc_u32_e32 v66, v68, v51
	v_cmpx_lt_i32_e32 0, v66
	s_cbranch_execz .LBB2_1063
; %bb.924:                              ;   in Loop: Header=BB2_57 Depth=2
	v_and_b32_e32 v8, 0xffffffe0, v8
	v_lshlrev_b32_e32 v9, 8, v51
	s_mov_b32 s61, 0
	v_sub_nc_u32_e32 v8, v67, v8
	v_add3_u32 v69, v10, v8, v9
	v_ashrrev_i32_e32 v46, 31, v69
	s_branch .LBB2_928
.LBB2_925:                              ;   in Loop: Header=BB2_928 Depth=3
	s_or_b32 exec_lo, exec_lo, s16
	v_lshrrev_b32_e32 v47, 21, v47
	v_cmp_gt_i32_e32 vcc_lo, 32, v9
	v_min_i32_e32 v63, 31, v9
	v_and_b32_sdwa v8, v8, v98 dst_sel:DWORD dst_unused:UNUSED_PAD src0_sel:BYTE_3 src1_sel:DWORD
	v_cndmask_b32_e32 v47, 3, v47, vcc_lo
	v_lshlrev_b32_e32 v63, 2, v63
	v_and_b32_e32 v72, 3, v47
	v_or_b32_e32 v9, v9, v47
	v_or3_b32 v8, v63, v8, v72
	v_cmp_ne_u32_e32 vcc_lo, 0, v9
	v_cndmask_b32_e32 v9, 0, v8, vcc_lo
.LBB2_926:                              ;   in Loop: Header=BB2_928 Depth=3
	s_or_b32 exec_lo, exec_lo, s63
.LBB2_927:                              ;   in Loop: Header=BB2_928 Depth=3
	s_or_b32 exec_lo, exec_lo, s62
	v_sub_nc_u32_e32 v66, v66, v83
	v_add_co_u32 v72, vcc_lo, v69, v64
	v_add_co_ci_u32_e64 v73, null, v46, v65, vcc_lo
	v_add_co_u32 v54, vcc_lo, v54, v115
	v_add_co_ci_u32_e64 v55, null, 0, v55, vcc_lo
	v_cmp_gt_i32_e32 vcc_lo, 1, v66
	v_add_co_u32 v64, s16, v64, v115
	v_add_co_ci_u32_e64 v65, null, 0, v65, s16
	s_or_b32 s61, vcc_lo, s61
	flat_store_byte v[72:73], v56 glc slc
	flat_store_byte v[72:73], v57 offset:32 glc slc
	flat_store_byte v[72:73], v58 offset:64 glc slc
	;; [unrolled: 1-line block ×7, first 2 shown]
	s_andn2_b32 exec_lo, exec_lo, s61
	s_cbranch_execz .LBB2_1062
.LBB2_928:                              ;   Parent Loop BB2_47 Depth=1
                                        ;     Parent Loop BB2_57 Depth=2
                                        ; =>    This Inner Loop Header: Depth=3
	s_trap 2
	ds_read_b64 v[8:9], v0
	s_waitcnt lgkmcnt(0)
	v_readfirstlane_b32 s16, v8
	s_and_b32 s62, s16, 0xff
	s_cmpk_lt_i32 s62, 0x80
	s_cbranch_scc1 .LBB2_932
; %bb.929:                              ;   in Loop: Header=BB2_928 Depth=3
	s_and_b32 s63, 0xffff, s62
	s_cmpk_eq_i32 s63, 0x80
	s_mov_b32 s63, -1
	s_cbranch_scc0 .LBB2_931
; %bb.930:                              ;   in Loop: Header=BB2_928 Depth=3
	s_mov_b32 s63, 0
.LBB2_931:                              ;   in Loop: Header=BB2_928 Depth=3
	s_mov_b32 s72, 0x7f800001
	s_branch .LBB2_934
.LBB2_932:                              ;   in Loop: Header=BB2_928 Depth=3
	s_mov_b32 s63, 0
	s_mov_b32 s72, 0x7f800001
	s_cbranch_execz .LBB2_934
; %bb.933:                              ;   in Loop: Header=BB2_928 Depth=3
	s_and_b32 s62, 0xffff, s62
	s_mov_b32 s72, 0
	s_cmp_lg_u32 s62, 0
	s_cselect_b32 s63, -1, 0
.LBB2_934:                              ;   in Loop: Header=BB2_928 Depth=3
	v_mov_b32_e32 v47, s72
	s_andn2_b32 vcc_lo, exec_lo, s63
	s_cbranch_vccnz .LBB2_936
; %bb.935:                              ;   in Loop: Header=BB2_928 Depth=3
	s_and_b32 s62, s16, 3
	s_bfe_u32 s72, s16, 0x50002
	s_flbit_i32_b32 s63, s62
	v_lshlrev_b32_e32 v8, 24, v8
	s_min_u32 s63, s63, 32
	s_sub_i32 s73, s63, 29
	s_sub_i32 s63, 30, s63
	s_lshl_b32 s16, s16, s73
	v_and_b32_e32 v8, 0x80000000, v8
	s_and_b32 s16, s16, 3
	s_cmp_eq_u32 s72, 0
	s_cselect_b32 s63, s63, s72
	s_cselect_b32 s16, s16, s62
	s_lshl_b32 s62, s63, 23
	s_lshl_b32 s16, s16, 21
	s_add_i32 s62, s62, 0x37800000
	v_or_b32_e32 v8, s62, v8
	v_or_b32_e32 v47, s16, v8
.LBB2_936:                              ;   in Loop: Header=BB2_928 Depth=3
	v_add_co_u32 v8, vcc_lo, v69, v54
	v_add_co_ci_u32_e64 v9, null, v46, v55, vcc_lo
	s_mov_b32 s16, 0
	s_mov_b32 s62, exec_lo
	flat_load_ubyte v56, v[8:9] slc
	s_waitcnt vmcnt(0) lgkmcnt(0)
	v_cmpx_lt_i16_e32 0x7f, v56
	s_xor_b32 s62, exec_lo, s62
	s_cbranch_execz .LBB2_1046
; %bb.937:                              ;   in Loop: Header=BB2_928 Depth=3
	s_mov_b32 s16, -1
	s_mov_b32 s63, exec_lo
	v_cmpx_eq_u16_e32 0x80, v56
; %bb.938:                              ;   in Loop: Header=BB2_928 Depth=3
	s_xor_b32 s16, exec_lo, -1
; %bb.939:                              ;   in Loop: Header=BB2_928 Depth=3
	s_or_b32 exec_lo, exec_lo, s63
	s_and_b32 s16, s16, exec_lo
	s_or_saveexec_b32 s62, s62
	v_mov_b32_e32 v57, 0x7f800001
	s_xor_b32 exec_lo, exec_lo, s62
	s_cbranch_execnz .LBB2_1047
.LBB2_940:                              ;   in Loop: Header=BB2_928 Depth=3
	s_or_b32 exec_lo, exec_lo, s62
	s_and_saveexec_b32 s62, s16
	s_cbranch_execz .LBB2_942
.LBB2_941:                              ;   in Loop: Header=BB2_928 Depth=3
	v_and_b32_e32 v57, 0xffff, v56
	v_lshlrev_b32_e32 v56, 24, v56
	v_and_b32_e32 v58, 3, v57
	v_bfe_u32 v61, v57, 2, 5
	v_and_b32_e32 v56, 0x80000000, v56
	v_ffbh_u32_e32 v59, v58
	v_cmp_eq_u32_e32 vcc_lo, 0, v61
	v_min_u32_e32 v59, 32, v59
	v_subrev_nc_u32_e32 v60, 29, v59
	v_sub_nc_u32_e32 v59, 30, v59
	v_lshlrev_b32_e32 v57, v60, v57
	v_cndmask_b32_e32 v59, v61, v59, vcc_lo
	v_and_b32_e32 v57, 3, v57
	v_cndmask_b32_e32 v57, v58, v57, vcc_lo
	v_lshl_add_u32 v58, v59, 23, 0x37800000
	v_lshlrev_b32_e32 v57, 21, v57
	v_or3_b32 v57, v56, v58, v57
.LBB2_942:                              ;   in Loop: Header=BB2_928 Depth=3
	s_or_b32 exec_lo, exec_lo, s62
	v_mul_f32_e32 v57, v47, v57
	v_and_b32_e32 v56, 0x7f800000, v57
	v_cmp_ne_u32_e32 vcc_lo, 0x7f800000, v56
	v_mov_b32_e32 v56, 0x80
	s_and_saveexec_b32 s62, vcc_lo
	s_cbranch_execz .LBB2_950
; %bb.943:                              ;   in Loop: Header=BB2_928 Depth=3
	v_mov_b32_e32 v56, 0
	s_mov_b32 s63, exec_lo
	v_cmpx_ne_u32_e32 0, v57
	s_cbranch_execz .LBB2_949
; %bb.944:                              ;   in Loop: Header=BB2_928 Depth=3
	v_bfe_u32 v56, v57, 23, 8
	v_and_b32_e32 v58, 0x7fffff, v57
	v_sub_nc_u32_e32 v59, 0x70, v56
	v_cmp_gt_u32_e32 vcc_lo, 0x71, v56
	v_or_b32_e32 v60, 0x800000, v58
	v_cndmask_b32_e32 v59, 0, v59, vcc_lo
	v_cmp_eq_u32_e32 vcc_lo, 0, v56
	v_add_nc_u32_e32 v56, 0xffffff91, v56
	v_cndmask_b32_e64 v59, v59, 0x6f, vcc_lo
	v_cndmask_b32_e32 v58, v60, v58, vcc_lo
	v_cndmask_b32_e64 v56, v56, 0xffffff92, vcc_lo
	v_lshl_add_u32 v60, 0x200000, v59, -1
	v_lshrrev_b32_e32 v61, v59, v58
	v_lshlrev_b32_e64 v63, v59, 0x100000
	v_add_nc_u32_e32 v59, v59, v56
	v_and_b32_e32 v58, v60, v58
	v_bfe_u32 v62, v61, 21, 1
	v_cmp_eq_u32_e64 s16, v58, v63
	v_add_nc_u32_e32 v60, -1, v62
	v_cndmask_b32_e64 v58, 0, v60, s16
	v_lshrrev_b32_e32 v60, 23, v61
	s_mov_b32 s16, exec_lo
	v_add_nc_u32_e32 v58, v58, v61
	v_xor_b32_e32 v60, 1, v60
	v_and_b32_e32 v56, 0x1fffff, v58
	v_add_nc_u32_e32 v58, v56, v61
                                        ; implicit-def: $vgpr56
	v_cmpx_ne_u32_e64 v59, v60
	s_xor_b32 s16, exec_lo, s16
; %bb.945:                              ;   in Loop: Header=BB2_928 Depth=3
	v_cmp_lt_u32_e32 vcc_lo, 0xffffff, v58
	v_sub_nc_u32_e32 v56, v59, v60
	v_cndmask_b32_e64 v59, 0, 1, vcc_lo
	v_add_co_ci_u32_e64 v56, null, 0, v56, vcc_lo
	v_lshrrev_b32_e32 v58, v59, v58
; %bb.946:                              ;   in Loop: Header=BB2_928 Depth=3
	s_andn2_saveexec_b32 s16, s16
; %bb.947:                              ;   in Loop: Header=BB2_928 Depth=3
	v_bfe_u32 v56, v58, 23, 1
; %bb.948:                              ;   in Loop: Header=BB2_928 Depth=3
	s_or_b32 exec_lo, exec_lo, s16
	v_lshrrev_b32_e32 v58, 21, v58
	v_cmp_gt_i32_e32 vcc_lo, 32, v56
	v_min_i32_e32 v59, 31, v56
	v_and_b32_sdwa v57, v57, v98 dst_sel:DWORD dst_unused:UNUSED_PAD src0_sel:BYTE_3 src1_sel:DWORD
	v_cndmask_b32_e32 v58, 3, v58, vcc_lo
	v_lshlrev_b32_e32 v59, 2, v59
	v_and_b32_e32 v60, 3, v58
	v_or_b32_e32 v56, v56, v58
	v_or3_b32 v57, v59, v57, v60
	v_cmp_ne_u32_e32 vcc_lo, 0, v56
	v_cndmask_b32_e32 v56, 0, v57, vcc_lo
.LBB2_949:                              ;   in Loop: Header=BB2_928 Depth=3
	s_or_b32 exec_lo, exec_lo, s63
.LBB2_950:                              ;   in Loop: Header=BB2_928 Depth=3
	s_or_b32 exec_lo, exec_lo, s62
	flat_load_ubyte v57, v[8:9] offset:32 slc
	s_mov_b32 s16, 0
	s_mov_b32 s62, exec_lo
	s_waitcnt vmcnt(0) lgkmcnt(0)
	v_cmpx_lt_i16_e32 0x7f, v57
	s_xor_b32 s62, exec_lo, s62
	s_cbranch_execz .LBB2_1048
; %bb.951:                              ;   in Loop: Header=BB2_928 Depth=3
	s_mov_b32 s16, -1
	s_mov_b32 s63, exec_lo
	v_cmpx_eq_u16_e32 0x80, v57
; %bb.952:                              ;   in Loop: Header=BB2_928 Depth=3
	s_xor_b32 s16, exec_lo, -1
; %bb.953:                              ;   in Loop: Header=BB2_928 Depth=3
	s_or_b32 exec_lo, exec_lo, s63
	s_and_b32 s16, s16, exec_lo
	s_or_saveexec_b32 s62, s62
	v_mov_b32_e32 v58, 0x7f800001
	s_xor_b32 exec_lo, exec_lo, s62
	s_cbranch_execnz .LBB2_1049
.LBB2_954:                              ;   in Loop: Header=BB2_928 Depth=3
	s_or_b32 exec_lo, exec_lo, s62
	s_and_saveexec_b32 s62, s16
	s_cbranch_execz .LBB2_956
.LBB2_955:                              ;   in Loop: Header=BB2_928 Depth=3
	v_and_b32_e32 v58, 0xffff, v57
	v_lshlrev_b32_e32 v57, 24, v57
	v_and_b32_e32 v59, 3, v58
	v_bfe_u32 v62, v58, 2, 5
	v_and_b32_e32 v57, 0x80000000, v57
	v_ffbh_u32_e32 v60, v59
	v_cmp_eq_u32_e32 vcc_lo, 0, v62
	v_min_u32_e32 v60, 32, v60
	v_subrev_nc_u32_e32 v61, 29, v60
	v_sub_nc_u32_e32 v60, 30, v60
	v_lshlrev_b32_e32 v58, v61, v58
	v_cndmask_b32_e32 v60, v62, v60, vcc_lo
	v_and_b32_e32 v58, 3, v58
	v_cndmask_b32_e32 v58, v59, v58, vcc_lo
	v_lshl_add_u32 v59, v60, 23, 0x37800000
	v_lshlrev_b32_e32 v58, 21, v58
	v_or3_b32 v58, v57, v59, v58
.LBB2_956:                              ;   in Loop: Header=BB2_928 Depth=3
	s_or_b32 exec_lo, exec_lo, s62
	v_mul_f32_e32 v58, v47, v58
	v_and_b32_e32 v57, 0x7f800000, v58
	v_cmp_ne_u32_e32 vcc_lo, 0x7f800000, v57
	v_mov_b32_e32 v57, 0x80
	s_and_saveexec_b32 s62, vcc_lo
	s_cbranch_execz .LBB2_964
; %bb.957:                              ;   in Loop: Header=BB2_928 Depth=3
	v_mov_b32_e32 v57, 0
	s_mov_b32 s63, exec_lo
	v_cmpx_ne_u32_e32 0, v58
	s_cbranch_execz .LBB2_963
; %bb.958:                              ;   in Loop: Header=BB2_928 Depth=3
	v_bfe_u32 v57, v58, 23, 8
	v_and_b32_e32 v59, 0x7fffff, v58
	v_sub_nc_u32_e32 v60, 0x70, v57
	v_cmp_gt_u32_e32 vcc_lo, 0x71, v57
	v_or_b32_e32 v61, 0x800000, v59
	v_cndmask_b32_e32 v60, 0, v60, vcc_lo
	v_cmp_eq_u32_e32 vcc_lo, 0, v57
	v_add_nc_u32_e32 v57, 0xffffff91, v57
	v_cndmask_b32_e64 v60, v60, 0x6f, vcc_lo
	v_cndmask_b32_e32 v59, v61, v59, vcc_lo
	v_cndmask_b32_e64 v57, v57, 0xffffff92, vcc_lo
	v_lshl_add_u32 v61, 0x200000, v60, -1
	v_lshrrev_b32_e32 v62, v60, v59
	v_lshlrev_b32_e64 v72, v60, 0x100000
	v_add_nc_u32_e32 v60, v60, v57
	v_and_b32_e32 v59, v61, v59
	v_bfe_u32 v63, v62, 21, 1
	v_cmp_eq_u32_e64 s16, v59, v72
	v_add_nc_u32_e32 v61, -1, v63
	v_cndmask_b32_e64 v59, 0, v61, s16
	v_lshrrev_b32_e32 v61, 23, v62
	s_mov_b32 s16, exec_lo
	v_add_nc_u32_e32 v59, v59, v62
	v_xor_b32_e32 v61, 1, v61
	v_and_b32_e32 v57, 0x1fffff, v59
	v_add_nc_u32_e32 v59, v57, v62
                                        ; implicit-def: $vgpr57
	v_cmpx_ne_u32_e64 v60, v61
	s_xor_b32 s16, exec_lo, s16
; %bb.959:                              ;   in Loop: Header=BB2_928 Depth=3
	v_cmp_lt_u32_e32 vcc_lo, 0xffffff, v59
	v_sub_nc_u32_e32 v57, v60, v61
	v_cndmask_b32_e64 v60, 0, 1, vcc_lo
	v_add_co_ci_u32_e64 v57, null, 0, v57, vcc_lo
	v_lshrrev_b32_e32 v59, v60, v59
; %bb.960:                              ;   in Loop: Header=BB2_928 Depth=3
	s_andn2_saveexec_b32 s16, s16
; %bb.961:                              ;   in Loop: Header=BB2_928 Depth=3
	v_bfe_u32 v57, v59, 23, 1
; %bb.962:                              ;   in Loop: Header=BB2_928 Depth=3
	s_or_b32 exec_lo, exec_lo, s16
	v_lshrrev_b32_e32 v59, 21, v59
	v_cmp_gt_i32_e32 vcc_lo, 32, v57
	v_min_i32_e32 v60, 31, v57
	v_and_b32_sdwa v58, v58, v98 dst_sel:DWORD dst_unused:UNUSED_PAD src0_sel:BYTE_3 src1_sel:DWORD
	v_cndmask_b32_e32 v59, 3, v59, vcc_lo
	v_lshlrev_b32_e32 v60, 2, v60
	v_and_b32_e32 v61, 3, v59
	v_or_b32_e32 v57, v57, v59
	v_or3_b32 v58, v60, v58, v61
	v_cmp_ne_u32_e32 vcc_lo, 0, v57
	v_cndmask_b32_e32 v57, 0, v58, vcc_lo
.LBB2_963:                              ;   in Loop: Header=BB2_928 Depth=3
	s_or_b32 exec_lo, exec_lo, s63
.LBB2_964:                              ;   in Loop: Header=BB2_928 Depth=3
	s_or_b32 exec_lo, exec_lo, s62
	flat_load_ubyte v58, v[8:9] offset:64 slc
	s_mov_b32 s16, 0
	s_mov_b32 s62, exec_lo
	s_waitcnt vmcnt(0) lgkmcnt(0)
	v_cmpx_lt_i16_e32 0x7f, v58
	s_xor_b32 s62, exec_lo, s62
	s_cbranch_execz .LBB2_1050
; %bb.965:                              ;   in Loop: Header=BB2_928 Depth=3
	s_mov_b32 s16, -1
	s_mov_b32 s63, exec_lo
	v_cmpx_eq_u16_e32 0x80, v58
; %bb.966:                              ;   in Loop: Header=BB2_928 Depth=3
	s_xor_b32 s16, exec_lo, -1
; %bb.967:                              ;   in Loop: Header=BB2_928 Depth=3
	s_or_b32 exec_lo, exec_lo, s63
	s_and_b32 s16, s16, exec_lo
	s_or_saveexec_b32 s62, s62
	v_mov_b32_e32 v59, 0x7f800001
	s_xor_b32 exec_lo, exec_lo, s62
	s_cbranch_execnz .LBB2_1051
.LBB2_968:                              ;   in Loop: Header=BB2_928 Depth=3
	s_or_b32 exec_lo, exec_lo, s62
	s_and_saveexec_b32 s62, s16
	s_cbranch_execz .LBB2_970
.LBB2_969:                              ;   in Loop: Header=BB2_928 Depth=3
	v_and_b32_e32 v59, 0xffff, v58
	v_lshlrev_b32_e32 v58, 24, v58
	v_and_b32_e32 v60, 3, v59
	v_bfe_u32 v63, v59, 2, 5
	v_and_b32_e32 v58, 0x80000000, v58
	v_ffbh_u32_e32 v61, v60
	v_cmp_eq_u32_e32 vcc_lo, 0, v63
	v_min_u32_e32 v61, 32, v61
	v_subrev_nc_u32_e32 v62, 29, v61
	v_sub_nc_u32_e32 v61, 30, v61
	v_lshlrev_b32_e32 v59, v62, v59
	v_cndmask_b32_e32 v61, v63, v61, vcc_lo
	v_and_b32_e32 v59, 3, v59
	v_cndmask_b32_e32 v59, v60, v59, vcc_lo
	v_lshl_add_u32 v60, v61, 23, 0x37800000
	v_lshlrev_b32_e32 v59, 21, v59
	v_or3_b32 v59, v58, v60, v59
.LBB2_970:                              ;   in Loop: Header=BB2_928 Depth=3
	s_or_b32 exec_lo, exec_lo, s62
	v_mul_f32_e32 v59, v47, v59
	v_and_b32_e32 v58, 0x7f800000, v59
	v_cmp_ne_u32_e32 vcc_lo, 0x7f800000, v58
	v_mov_b32_e32 v58, 0x80
	s_and_saveexec_b32 s62, vcc_lo
	s_cbranch_execz .LBB2_978
; %bb.971:                              ;   in Loop: Header=BB2_928 Depth=3
	v_mov_b32_e32 v58, 0
	s_mov_b32 s63, exec_lo
	v_cmpx_ne_u32_e32 0, v59
	s_cbranch_execz .LBB2_977
; %bb.972:                              ;   in Loop: Header=BB2_928 Depth=3
	v_bfe_u32 v58, v59, 23, 8
	v_and_b32_e32 v60, 0x7fffff, v59
	v_sub_nc_u32_e32 v61, 0x70, v58
	v_cmp_gt_u32_e32 vcc_lo, 0x71, v58
	v_or_b32_e32 v62, 0x800000, v60
	v_cndmask_b32_e32 v61, 0, v61, vcc_lo
	v_cmp_eq_u32_e32 vcc_lo, 0, v58
	v_add_nc_u32_e32 v58, 0xffffff91, v58
	v_cndmask_b32_e64 v61, v61, 0x6f, vcc_lo
	v_cndmask_b32_e32 v60, v62, v60, vcc_lo
	v_cndmask_b32_e64 v58, v58, 0xffffff92, vcc_lo
	v_lshl_add_u32 v62, 0x200000, v61, -1
	v_lshrrev_b32_e32 v63, v61, v60
	v_lshlrev_b32_e64 v73, v61, 0x100000
	v_add_nc_u32_e32 v61, v61, v58
	v_and_b32_e32 v60, v62, v60
	v_bfe_u32 v72, v63, 21, 1
	v_cmp_eq_u32_e64 s16, v60, v73
	v_add_nc_u32_e32 v62, -1, v72
	v_cndmask_b32_e64 v60, 0, v62, s16
	v_lshrrev_b32_e32 v62, 23, v63
	s_mov_b32 s16, exec_lo
	v_add_nc_u32_e32 v60, v60, v63
	v_xor_b32_e32 v62, 1, v62
	v_and_b32_e32 v58, 0x1fffff, v60
	v_add_nc_u32_e32 v60, v58, v63
                                        ; implicit-def: $vgpr58
	v_cmpx_ne_u32_e64 v61, v62
	s_xor_b32 s16, exec_lo, s16
; %bb.973:                              ;   in Loop: Header=BB2_928 Depth=3
	v_cmp_lt_u32_e32 vcc_lo, 0xffffff, v60
	v_sub_nc_u32_e32 v58, v61, v62
	v_cndmask_b32_e64 v61, 0, 1, vcc_lo
	v_add_co_ci_u32_e64 v58, null, 0, v58, vcc_lo
	v_lshrrev_b32_e32 v60, v61, v60
; %bb.974:                              ;   in Loop: Header=BB2_928 Depth=3
	s_andn2_saveexec_b32 s16, s16
; %bb.975:                              ;   in Loop: Header=BB2_928 Depth=3
	v_bfe_u32 v58, v60, 23, 1
; %bb.976:                              ;   in Loop: Header=BB2_928 Depth=3
	s_or_b32 exec_lo, exec_lo, s16
	v_lshrrev_b32_e32 v60, 21, v60
	v_cmp_gt_i32_e32 vcc_lo, 32, v58
	v_min_i32_e32 v61, 31, v58
	v_and_b32_sdwa v59, v59, v98 dst_sel:DWORD dst_unused:UNUSED_PAD src0_sel:BYTE_3 src1_sel:DWORD
	v_cndmask_b32_e32 v60, 3, v60, vcc_lo
	v_lshlrev_b32_e32 v61, 2, v61
	v_and_b32_e32 v62, 3, v60
	v_or_b32_e32 v58, v58, v60
	v_or3_b32 v59, v61, v59, v62
	v_cmp_ne_u32_e32 vcc_lo, 0, v58
	v_cndmask_b32_e32 v58, 0, v59, vcc_lo
.LBB2_977:                              ;   in Loop: Header=BB2_928 Depth=3
	s_or_b32 exec_lo, exec_lo, s63
.LBB2_978:                              ;   in Loop: Header=BB2_928 Depth=3
	s_or_b32 exec_lo, exec_lo, s62
	flat_load_ubyte v59, v[8:9] offset:96 slc
	s_mov_b32 s16, 0
	s_mov_b32 s62, exec_lo
	s_waitcnt vmcnt(0) lgkmcnt(0)
	v_cmpx_lt_i16_e32 0x7f, v59
	s_xor_b32 s62, exec_lo, s62
	s_cbranch_execz .LBB2_1052
; %bb.979:                              ;   in Loop: Header=BB2_928 Depth=3
	s_mov_b32 s16, -1
	s_mov_b32 s63, exec_lo
	v_cmpx_eq_u16_e32 0x80, v59
; %bb.980:                              ;   in Loop: Header=BB2_928 Depth=3
	s_xor_b32 s16, exec_lo, -1
; %bb.981:                              ;   in Loop: Header=BB2_928 Depth=3
	s_or_b32 exec_lo, exec_lo, s63
	s_and_b32 s16, s16, exec_lo
	s_or_saveexec_b32 s62, s62
	v_mov_b32_e32 v60, 0x7f800001
	s_xor_b32 exec_lo, exec_lo, s62
	s_cbranch_execnz .LBB2_1053
.LBB2_982:                              ;   in Loop: Header=BB2_928 Depth=3
	s_or_b32 exec_lo, exec_lo, s62
	s_and_saveexec_b32 s62, s16
	s_cbranch_execz .LBB2_984
.LBB2_983:                              ;   in Loop: Header=BB2_928 Depth=3
	v_and_b32_e32 v60, 0xffff, v59
	v_lshlrev_b32_e32 v59, 24, v59
	v_and_b32_e32 v61, 3, v60
	v_bfe_u32 v72, v60, 2, 5
	v_and_b32_e32 v59, 0x80000000, v59
	v_ffbh_u32_e32 v62, v61
	v_cmp_eq_u32_e32 vcc_lo, 0, v72
	v_min_u32_e32 v62, 32, v62
	v_subrev_nc_u32_e32 v63, 29, v62
	v_sub_nc_u32_e32 v62, 30, v62
	v_lshlrev_b32_e32 v60, v63, v60
	v_cndmask_b32_e32 v62, v72, v62, vcc_lo
	v_and_b32_e32 v60, 3, v60
	v_cndmask_b32_e32 v60, v61, v60, vcc_lo
	v_lshl_add_u32 v61, v62, 23, 0x37800000
	v_lshlrev_b32_e32 v60, 21, v60
	v_or3_b32 v60, v59, v61, v60
.LBB2_984:                              ;   in Loop: Header=BB2_928 Depth=3
	s_or_b32 exec_lo, exec_lo, s62
	v_mul_f32_e32 v60, v47, v60
	v_and_b32_e32 v59, 0x7f800000, v60
	v_cmp_ne_u32_e32 vcc_lo, 0x7f800000, v59
	v_mov_b32_e32 v59, 0x80
	s_and_saveexec_b32 s62, vcc_lo
	s_cbranch_execz .LBB2_992
; %bb.985:                              ;   in Loop: Header=BB2_928 Depth=3
	v_mov_b32_e32 v59, 0
	s_mov_b32 s63, exec_lo
	v_cmpx_ne_u32_e32 0, v60
	s_cbranch_execz .LBB2_991
; %bb.986:                              ;   in Loop: Header=BB2_928 Depth=3
	v_bfe_u32 v59, v60, 23, 8
	v_and_b32_e32 v61, 0x7fffff, v60
	v_sub_nc_u32_e32 v62, 0x70, v59
	v_cmp_gt_u32_e32 vcc_lo, 0x71, v59
	v_or_b32_e32 v63, 0x800000, v61
	v_cndmask_b32_e32 v62, 0, v62, vcc_lo
	v_cmp_eq_u32_e32 vcc_lo, 0, v59
	v_add_nc_u32_e32 v59, 0xffffff91, v59
	v_cndmask_b32_e64 v62, v62, 0x6f, vcc_lo
	v_cndmask_b32_e32 v61, v63, v61, vcc_lo
	v_cndmask_b32_e64 v59, v59, 0xffffff92, vcc_lo
	v_lshl_add_u32 v63, 0x200000, v62, -1
	v_lshrrev_b32_e32 v72, v62, v61
	v_lshlrev_b32_e64 v74, v62, 0x100000
	v_add_nc_u32_e32 v62, v62, v59
	v_and_b32_e32 v61, v63, v61
	v_bfe_u32 v73, v72, 21, 1
	v_cmp_eq_u32_e64 s16, v61, v74
	v_add_nc_u32_e32 v63, -1, v73
	v_cndmask_b32_e64 v61, 0, v63, s16
	v_lshrrev_b32_e32 v63, 23, v72
	s_mov_b32 s16, exec_lo
	v_add_nc_u32_e32 v61, v61, v72
	v_xor_b32_e32 v63, 1, v63
	v_and_b32_e32 v59, 0x1fffff, v61
	v_add_nc_u32_e32 v61, v59, v72
                                        ; implicit-def: $vgpr59
	v_cmpx_ne_u32_e64 v62, v63
	s_xor_b32 s16, exec_lo, s16
; %bb.987:                              ;   in Loop: Header=BB2_928 Depth=3
	v_cmp_lt_u32_e32 vcc_lo, 0xffffff, v61
	v_sub_nc_u32_e32 v59, v62, v63
	v_cndmask_b32_e64 v62, 0, 1, vcc_lo
	v_add_co_ci_u32_e64 v59, null, 0, v59, vcc_lo
	v_lshrrev_b32_e32 v61, v62, v61
; %bb.988:                              ;   in Loop: Header=BB2_928 Depth=3
	s_andn2_saveexec_b32 s16, s16
; %bb.989:                              ;   in Loop: Header=BB2_928 Depth=3
	v_bfe_u32 v59, v61, 23, 1
; %bb.990:                              ;   in Loop: Header=BB2_928 Depth=3
	s_or_b32 exec_lo, exec_lo, s16
	v_lshrrev_b32_e32 v61, 21, v61
	v_cmp_gt_i32_e32 vcc_lo, 32, v59
	v_min_i32_e32 v62, 31, v59
	v_and_b32_sdwa v60, v60, v98 dst_sel:DWORD dst_unused:UNUSED_PAD src0_sel:BYTE_3 src1_sel:DWORD
	v_cndmask_b32_e32 v61, 3, v61, vcc_lo
	v_lshlrev_b32_e32 v62, 2, v62
	v_and_b32_e32 v63, 3, v61
	v_or_b32_e32 v59, v59, v61
	v_or3_b32 v60, v62, v60, v63
	v_cmp_ne_u32_e32 vcc_lo, 0, v59
	v_cndmask_b32_e32 v59, 0, v60, vcc_lo
.LBB2_991:                              ;   in Loop: Header=BB2_928 Depth=3
	s_or_b32 exec_lo, exec_lo, s63
.LBB2_992:                              ;   in Loop: Header=BB2_928 Depth=3
	s_or_b32 exec_lo, exec_lo, s62
	flat_load_ubyte v60, v[8:9] offset:128 slc
	s_mov_b32 s16, 0
	s_mov_b32 s62, exec_lo
	s_waitcnt vmcnt(0) lgkmcnt(0)
	v_cmpx_lt_i16_e32 0x7f, v60
	s_xor_b32 s62, exec_lo, s62
	s_cbranch_execz .LBB2_1054
; %bb.993:                              ;   in Loop: Header=BB2_928 Depth=3
	s_mov_b32 s16, -1
	s_mov_b32 s63, exec_lo
	v_cmpx_eq_u16_e32 0x80, v60
; %bb.994:                              ;   in Loop: Header=BB2_928 Depth=3
	s_xor_b32 s16, exec_lo, -1
; %bb.995:                              ;   in Loop: Header=BB2_928 Depth=3
	s_or_b32 exec_lo, exec_lo, s63
	s_and_b32 s16, s16, exec_lo
	s_or_saveexec_b32 s62, s62
	v_mov_b32_e32 v61, 0x7f800001
	s_xor_b32 exec_lo, exec_lo, s62
	s_cbranch_execnz .LBB2_1055
.LBB2_996:                              ;   in Loop: Header=BB2_928 Depth=3
	s_or_b32 exec_lo, exec_lo, s62
	s_and_saveexec_b32 s62, s16
	s_cbranch_execz .LBB2_998
.LBB2_997:                              ;   in Loop: Header=BB2_928 Depth=3
	v_and_b32_e32 v61, 0xffff, v60
	v_lshlrev_b32_e32 v60, 24, v60
	v_and_b32_e32 v62, 3, v61
	v_bfe_u32 v73, v61, 2, 5
	v_and_b32_e32 v60, 0x80000000, v60
	v_ffbh_u32_e32 v63, v62
	v_cmp_eq_u32_e32 vcc_lo, 0, v73
	v_min_u32_e32 v63, 32, v63
	v_subrev_nc_u32_e32 v72, 29, v63
	v_sub_nc_u32_e32 v63, 30, v63
	v_lshlrev_b32_e32 v61, v72, v61
	v_cndmask_b32_e32 v63, v73, v63, vcc_lo
	v_and_b32_e32 v61, 3, v61
	v_cndmask_b32_e32 v61, v62, v61, vcc_lo
	v_lshl_add_u32 v62, v63, 23, 0x37800000
	v_lshlrev_b32_e32 v61, 21, v61
	v_or3_b32 v61, v60, v62, v61
.LBB2_998:                              ;   in Loop: Header=BB2_928 Depth=3
	s_or_b32 exec_lo, exec_lo, s62
	v_mul_f32_e32 v61, v47, v61
	v_and_b32_e32 v60, 0x7f800000, v61
	v_cmp_ne_u32_e32 vcc_lo, 0x7f800000, v60
	v_mov_b32_e32 v60, 0x80
	s_and_saveexec_b32 s62, vcc_lo
	s_cbranch_execz .LBB2_1006
; %bb.999:                              ;   in Loop: Header=BB2_928 Depth=3
	v_mov_b32_e32 v60, 0
	s_mov_b32 s63, exec_lo
	v_cmpx_ne_u32_e32 0, v61
	s_cbranch_execz .LBB2_1005
; %bb.1000:                             ;   in Loop: Header=BB2_928 Depth=3
	v_bfe_u32 v60, v61, 23, 8
	v_and_b32_e32 v62, 0x7fffff, v61
	v_sub_nc_u32_e32 v63, 0x70, v60
	v_cmp_gt_u32_e32 vcc_lo, 0x71, v60
	v_or_b32_e32 v72, 0x800000, v62
	v_cndmask_b32_e32 v63, 0, v63, vcc_lo
	v_cmp_eq_u32_e32 vcc_lo, 0, v60
	v_add_nc_u32_e32 v60, 0xffffff91, v60
	v_cndmask_b32_e64 v63, v63, 0x6f, vcc_lo
	v_cndmask_b32_e32 v62, v72, v62, vcc_lo
	v_cndmask_b32_e64 v60, v60, 0xffffff92, vcc_lo
	v_lshl_add_u32 v72, 0x200000, v63, -1
	v_lshrrev_b32_e32 v73, v63, v62
	v_lshlrev_b32_e64 v75, v63, 0x100000
	v_add_nc_u32_e32 v63, v63, v60
	v_and_b32_e32 v62, v72, v62
	v_bfe_u32 v74, v73, 21, 1
	v_cmp_eq_u32_e64 s16, v62, v75
	v_add_nc_u32_e32 v72, -1, v74
	v_cndmask_b32_e64 v62, 0, v72, s16
	v_lshrrev_b32_e32 v72, 23, v73
	s_mov_b32 s16, exec_lo
	v_add_nc_u32_e32 v62, v62, v73
	v_xor_b32_e32 v72, 1, v72
	v_and_b32_e32 v60, 0x1fffff, v62
	v_add_nc_u32_e32 v62, v60, v73
                                        ; implicit-def: $vgpr60
	v_cmpx_ne_u32_e64 v63, v72
	s_xor_b32 s16, exec_lo, s16
; %bb.1001:                             ;   in Loop: Header=BB2_928 Depth=3
	v_cmp_lt_u32_e32 vcc_lo, 0xffffff, v62
	v_sub_nc_u32_e32 v60, v63, v72
	v_cndmask_b32_e64 v63, 0, 1, vcc_lo
	v_add_co_ci_u32_e64 v60, null, 0, v60, vcc_lo
	v_lshrrev_b32_e32 v62, v63, v62
; %bb.1002:                             ;   in Loop: Header=BB2_928 Depth=3
	s_andn2_saveexec_b32 s16, s16
; %bb.1003:                             ;   in Loop: Header=BB2_928 Depth=3
	v_bfe_u32 v60, v62, 23, 1
; %bb.1004:                             ;   in Loop: Header=BB2_928 Depth=3
	s_or_b32 exec_lo, exec_lo, s16
	v_lshrrev_b32_e32 v62, 21, v62
	v_cmp_gt_i32_e32 vcc_lo, 32, v60
	v_min_i32_e32 v63, 31, v60
	v_and_b32_sdwa v61, v61, v98 dst_sel:DWORD dst_unused:UNUSED_PAD src0_sel:BYTE_3 src1_sel:DWORD
	v_cndmask_b32_e32 v62, 3, v62, vcc_lo
	v_lshlrev_b32_e32 v63, 2, v63
	v_and_b32_e32 v72, 3, v62
	v_or_b32_e32 v60, v60, v62
	v_or3_b32 v61, v63, v61, v72
	v_cmp_ne_u32_e32 vcc_lo, 0, v60
	v_cndmask_b32_e32 v60, 0, v61, vcc_lo
.LBB2_1005:                             ;   in Loop: Header=BB2_928 Depth=3
	s_or_b32 exec_lo, exec_lo, s63
.LBB2_1006:                             ;   in Loop: Header=BB2_928 Depth=3
	s_or_b32 exec_lo, exec_lo, s62
	flat_load_ubyte v61, v[8:9] offset:160 slc
	s_mov_b32 s16, 0
	s_mov_b32 s62, exec_lo
	s_waitcnt vmcnt(0) lgkmcnt(0)
	v_cmpx_lt_i16_e32 0x7f, v61
	s_xor_b32 s62, exec_lo, s62
	s_cbranch_execz .LBB2_1056
; %bb.1007:                             ;   in Loop: Header=BB2_928 Depth=3
	s_mov_b32 s16, -1
	s_mov_b32 s63, exec_lo
	v_cmpx_eq_u16_e32 0x80, v61
; %bb.1008:                             ;   in Loop: Header=BB2_928 Depth=3
	s_xor_b32 s16, exec_lo, -1
; %bb.1009:                             ;   in Loop: Header=BB2_928 Depth=3
	s_or_b32 exec_lo, exec_lo, s63
	s_and_b32 s16, s16, exec_lo
	s_or_saveexec_b32 s62, s62
	v_mov_b32_e32 v62, 0x7f800001
	s_xor_b32 exec_lo, exec_lo, s62
	s_cbranch_execnz .LBB2_1057
.LBB2_1010:                             ;   in Loop: Header=BB2_928 Depth=3
	s_or_b32 exec_lo, exec_lo, s62
	s_and_saveexec_b32 s62, s16
	s_cbranch_execz .LBB2_1012
.LBB2_1011:                             ;   in Loop: Header=BB2_928 Depth=3
	v_and_b32_e32 v62, 0xffff, v61
	v_lshlrev_b32_e32 v61, 24, v61
	v_and_b32_e32 v63, 3, v62
	v_bfe_u32 v74, v62, 2, 5
	v_and_b32_e32 v61, 0x80000000, v61
	v_ffbh_u32_e32 v72, v63
	v_cmp_eq_u32_e32 vcc_lo, 0, v74
	v_min_u32_e32 v72, 32, v72
	v_subrev_nc_u32_e32 v73, 29, v72
	v_sub_nc_u32_e32 v72, 30, v72
	v_lshlrev_b32_e32 v62, v73, v62
	v_cndmask_b32_e32 v72, v74, v72, vcc_lo
	v_and_b32_e32 v62, 3, v62
	v_cndmask_b32_e32 v62, v63, v62, vcc_lo
	v_lshl_add_u32 v63, v72, 23, 0x37800000
	v_lshlrev_b32_e32 v62, 21, v62
	v_or3_b32 v62, v61, v63, v62
.LBB2_1012:                             ;   in Loop: Header=BB2_928 Depth=3
	s_or_b32 exec_lo, exec_lo, s62
	v_mul_f32_e32 v62, v47, v62
	v_and_b32_e32 v61, 0x7f800000, v62
	v_cmp_ne_u32_e32 vcc_lo, 0x7f800000, v61
	v_mov_b32_e32 v61, 0x80
	s_and_saveexec_b32 s62, vcc_lo
	s_cbranch_execz .LBB2_1020
; %bb.1013:                             ;   in Loop: Header=BB2_928 Depth=3
	v_mov_b32_e32 v61, 0
	s_mov_b32 s63, exec_lo
	v_cmpx_ne_u32_e32 0, v62
	s_cbranch_execz .LBB2_1019
; %bb.1014:                             ;   in Loop: Header=BB2_928 Depth=3
	v_bfe_u32 v61, v62, 23, 8
	v_and_b32_e32 v63, 0x7fffff, v62
	v_sub_nc_u32_e32 v72, 0x70, v61
	v_cmp_gt_u32_e32 vcc_lo, 0x71, v61
	v_or_b32_e32 v73, 0x800000, v63
	v_cndmask_b32_e32 v72, 0, v72, vcc_lo
	v_cmp_eq_u32_e32 vcc_lo, 0, v61
	v_add_nc_u32_e32 v61, 0xffffff91, v61
	v_cndmask_b32_e64 v72, v72, 0x6f, vcc_lo
	v_cndmask_b32_e32 v63, v73, v63, vcc_lo
	v_cndmask_b32_e64 v61, v61, 0xffffff92, vcc_lo
	v_lshl_add_u32 v73, 0x200000, v72, -1
	v_lshrrev_b32_e32 v74, v72, v63
	v_lshlrev_b32_e64 v76, v72, 0x100000
	v_add_nc_u32_e32 v72, v72, v61
	v_and_b32_e32 v63, v73, v63
	v_bfe_u32 v75, v74, 21, 1
	v_cmp_eq_u32_e64 s16, v63, v76
	v_add_nc_u32_e32 v73, -1, v75
	v_cndmask_b32_e64 v63, 0, v73, s16
	v_lshrrev_b32_e32 v73, 23, v74
	s_mov_b32 s16, exec_lo
	v_add_nc_u32_e32 v63, v63, v74
	v_xor_b32_e32 v73, 1, v73
	v_and_b32_e32 v61, 0x1fffff, v63
	v_add_nc_u32_e32 v63, v61, v74
                                        ; implicit-def: $vgpr61
	v_cmpx_ne_u32_e64 v72, v73
	s_xor_b32 s16, exec_lo, s16
; %bb.1015:                             ;   in Loop: Header=BB2_928 Depth=3
	v_cmp_lt_u32_e32 vcc_lo, 0xffffff, v63
	v_sub_nc_u32_e32 v61, v72, v73
	v_cndmask_b32_e64 v72, 0, 1, vcc_lo
	v_add_co_ci_u32_e64 v61, null, 0, v61, vcc_lo
	v_lshrrev_b32_e32 v63, v72, v63
; %bb.1016:                             ;   in Loop: Header=BB2_928 Depth=3
	s_andn2_saveexec_b32 s16, s16
; %bb.1017:                             ;   in Loop: Header=BB2_928 Depth=3
	v_bfe_u32 v61, v63, 23, 1
; %bb.1018:                             ;   in Loop: Header=BB2_928 Depth=3
	s_or_b32 exec_lo, exec_lo, s16
	v_lshrrev_b32_e32 v63, 21, v63
	v_cmp_gt_i32_e32 vcc_lo, 32, v61
	v_min_i32_e32 v72, 31, v61
	v_and_b32_sdwa v62, v62, v98 dst_sel:DWORD dst_unused:UNUSED_PAD src0_sel:BYTE_3 src1_sel:DWORD
	v_cndmask_b32_e32 v63, 3, v63, vcc_lo
	v_lshlrev_b32_e32 v72, 2, v72
	v_and_b32_e32 v73, 3, v63
	v_or_b32_e32 v61, v61, v63
	v_or3_b32 v62, v72, v62, v73
	v_cmp_ne_u32_e32 vcc_lo, 0, v61
	v_cndmask_b32_e32 v61, 0, v62, vcc_lo
.LBB2_1019:                             ;   in Loop: Header=BB2_928 Depth=3
	s_or_b32 exec_lo, exec_lo, s63
.LBB2_1020:                             ;   in Loop: Header=BB2_928 Depth=3
	s_or_b32 exec_lo, exec_lo, s62
	flat_load_ubyte v62, v[8:9] offset:192 slc
	s_mov_b32 s16, 0
	s_mov_b32 s62, exec_lo
	s_waitcnt vmcnt(0) lgkmcnt(0)
	v_cmpx_lt_i16_e32 0x7f, v62
	s_xor_b32 s62, exec_lo, s62
	s_cbranch_execz .LBB2_1058
; %bb.1021:                             ;   in Loop: Header=BB2_928 Depth=3
	s_mov_b32 s16, -1
	s_mov_b32 s63, exec_lo
	v_cmpx_eq_u16_e32 0x80, v62
; %bb.1022:                             ;   in Loop: Header=BB2_928 Depth=3
	s_xor_b32 s16, exec_lo, -1
; %bb.1023:                             ;   in Loop: Header=BB2_928 Depth=3
	s_or_b32 exec_lo, exec_lo, s63
	s_and_b32 s16, s16, exec_lo
	s_or_saveexec_b32 s62, s62
	v_mov_b32_e32 v63, 0x7f800001
	s_xor_b32 exec_lo, exec_lo, s62
	s_cbranch_execnz .LBB2_1059
.LBB2_1024:                             ;   in Loop: Header=BB2_928 Depth=3
	s_or_b32 exec_lo, exec_lo, s62
	s_and_saveexec_b32 s62, s16
	s_cbranch_execz .LBB2_1026
.LBB2_1025:                             ;   in Loop: Header=BB2_928 Depth=3
	v_and_b32_e32 v63, 0xffff, v62
	v_lshlrev_b32_e32 v62, 24, v62
	v_and_b32_e32 v72, 3, v63
	v_bfe_u32 v75, v63, 2, 5
	v_and_b32_e32 v62, 0x80000000, v62
	v_ffbh_u32_e32 v73, v72
	v_cmp_eq_u32_e32 vcc_lo, 0, v75
	v_min_u32_e32 v73, 32, v73
	v_subrev_nc_u32_e32 v74, 29, v73
	v_sub_nc_u32_e32 v73, 30, v73
	v_lshlrev_b32_e32 v63, v74, v63
	v_cndmask_b32_e32 v73, v75, v73, vcc_lo
	v_and_b32_e32 v63, 3, v63
	v_cndmask_b32_e32 v63, v72, v63, vcc_lo
	v_lshl_add_u32 v72, v73, 23, 0x37800000
	v_lshlrev_b32_e32 v63, 21, v63
	v_or3_b32 v63, v62, v72, v63
.LBB2_1026:                             ;   in Loop: Header=BB2_928 Depth=3
	s_or_b32 exec_lo, exec_lo, s62
	v_mul_f32_e32 v63, v47, v63
	v_and_b32_e32 v62, 0x7f800000, v63
	v_cmp_ne_u32_e32 vcc_lo, 0x7f800000, v62
	v_mov_b32_e32 v62, 0x80
	s_and_saveexec_b32 s62, vcc_lo
	s_cbranch_execz .LBB2_1034
; %bb.1027:                             ;   in Loop: Header=BB2_928 Depth=3
	v_mov_b32_e32 v62, 0
	s_mov_b32 s63, exec_lo
	v_cmpx_ne_u32_e32 0, v63
	s_cbranch_execz .LBB2_1033
; %bb.1028:                             ;   in Loop: Header=BB2_928 Depth=3
	v_bfe_u32 v62, v63, 23, 8
	v_and_b32_e32 v72, 0x7fffff, v63
	v_sub_nc_u32_e32 v73, 0x70, v62
	v_cmp_gt_u32_e32 vcc_lo, 0x71, v62
	v_or_b32_e32 v74, 0x800000, v72
	v_cndmask_b32_e32 v73, 0, v73, vcc_lo
	v_cmp_eq_u32_e32 vcc_lo, 0, v62
	v_add_nc_u32_e32 v62, 0xffffff91, v62
	v_cndmask_b32_e64 v73, v73, 0x6f, vcc_lo
	v_cndmask_b32_e32 v72, v74, v72, vcc_lo
	v_cndmask_b32_e64 v62, v62, 0xffffff92, vcc_lo
	v_lshl_add_u32 v74, 0x200000, v73, -1
	v_lshrrev_b32_e32 v75, v73, v72
	v_lshlrev_b32_e64 v77, v73, 0x100000
	v_add_nc_u32_e32 v73, v73, v62
	v_and_b32_e32 v72, v74, v72
	v_bfe_u32 v76, v75, 21, 1
	v_cmp_eq_u32_e64 s16, v72, v77
	v_add_nc_u32_e32 v74, -1, v76
	v_cndmask_b32_e64 v72, 0, v74, s16
	v_lshrrev_b32_e32 v74, 23, v75
	s_mov_b32 s16, exec_lo
	v_add_nc_u32_e32 v72, v72, v75
	v_xor_b32_e32 v74, 1, v74
	v_and_b32_e32 v62, 0x1fffff, v72
	v_add_nc_u32_e32 v72, v62, v75
                                        ; implicit-def: $vgpr62
	v_cmpx_ne_u32_e64 v73, v74
	s_xor_b32 s16, exec_lo, s16
; %bb.1029:                             ;   in Loop: Header=BB2_928 Depth=3
	v_cmp_lt_u32_e32 vcc_lo, 0xffffff, v72
	v_sub_nc_u32_e32 v62, v73, v74
	v_cndmask_b32_e64 v73, 0, 1, vcc_lo
	v_add_co_ci_u32_e64 v62, null, 0, v62, vcc_lo
	v_lshrrev_b32_e32 v72, v73, v72
; %bb.1030:                             ;   in Loop: Header=BB2_928 Depth=3
	s_andn2_saveexec_b32 s16, s16
; %bb.1031:                             ;   in Loop: Header=BB2_928 Depth=3
	v_bfe_u32 v62, v72, 23, 1
; %bb.1032:                             ;   in Loop: Header=BB2_928 Depth=3
	s_or_b32 exec_lo, exec_lo, s16
	v_lshrrev_b32_e32 v72, 21, v72
	v_cmp_gt_i32_e32 vcc_lo, 32, v62
	v_min_i32_e32 v73, 31, v62
	v_and_b32_sdwa v63, v63, v98 dst_sel:DWORD dst_unused:UNUSED_PAD src0_sel:BYTE_3 src1_sel:DWORD
	v_cndmask_b32_e32 v72, 3, v72, vcc_lo
	v_lshlrev_b32_e32 v73, 2, v73
	v_and_b32_e32 v74, 3, v72
	v_or_b32_e32 v62, v62, v72
	v_or3_b32 v63, v73, v63, v74
	v_cmp_ne_u32_e32 vcc_lo, 0, v62
	v_cndmask_b32_e32 v62, 0, v63, vcc_lo
.LBB2_1033:                             ;   in Loop: Header=BB2_928 Depth=3
	s_or_b32 exec_lo, exec_lo, s63
.LBB2_1034:                             ;   in Loop: Header=BB2_928 Depth=3
	s_or_b32 exec_lo, exec_lo, s62
	flat_load_ubyte v8, v[8:9] offset:224 slc
	s_mov_b32 s16, 0
	s_mov_b32 s62, exec_lo
	s_waitcnt vmcnt(0) lgkmcnt(0)
	v_cmpx_lt_i16_e32 0x7f, v8
	s_xor_b32 s62, exec_lo, s62
	s_cbranch_execz .LBB2_1060
; %bb.1035:                             ;   in Loop: Header=BB2_928 Depth=3
	s_mov_b32 s16, -1
	s_mov_b32 s63, exec_lo
	v_cmpx_eq_u16_e32 0x80, v8
; %bb.1036:                             ;   in Loop: Header=BB2_928 Depth=3
	s_xor_b32 s16, exec_lo, -1
; %bb.1037:                             ;   in Loop: Header=BB2_928 Depth=3
	s_or_b32 exec_lo, exec_lo, s63
	s_and_b32 s16, s16, exec_lo
	s_or_saveexec_b32 s62, s62
	v_mov_b32_e32 v9, 0x7f800001
	s_xor_b32 exec_lo, exec_lo, s62
	s_cbranch_execnz .LBB2_1061
.LBB2_1038:                             ;   in Loop: Header=BB2_928 Depth=3
	s_or_b32 exec_lo, exec_lo, s62
	s_and_saveexec_b32 s62, s16
	s_cbranch_execz .LBB2_1040
.LBB2_1039:                             ;   in Loop: Header=BB2_928 Depth=3
	v_and_b32_e32 v9, 0xffff, v8
	v_lshlrev_b32_e32 v8, 24, v8
	v_and_b32_e32 v63, 3, v9
	v_bfe_u32 v74, v9, 2, 5
	v_and_b32_e32 v8, 0x80000000, v8
	v_ffbh_u32_e32 v72, v63
	v_cmp_eq_u32_e32 vcc_lo, 0, v74
	v_min_u32_e32 v72, 32, v72
	v_subrev_nc_u32_e32 v73, 29, v72
	v_sub_nc_u32_e32 v72, 30, v72
	v_lshlrev_b32_e32 v9, v73, v9
	v_cndmask_b32_e32 v72, v74, v72, vcc_lo
	v_and_b32_e32 v9, 3, v9
	v_cndmask_b32_e32 v9, v63, v9, vcc_lo
	v_lshl_add_u32 v63, v72, 23, 0x37800000
	v_lshlrev_b32_e32 v9, 21, v9
	v_or3_b32 v9, v8, v63, v9
.LBB2_1040:                             ;   in Loop: Header=BB2_928 Depth=3
	s_or_b32 exec_lo, exec_lo, s62
	v_mul_f32_e32 v8, v47, v9
	v_and_b32_e32 v9, 0x7f800000, v8
	v_cmp_ne_u32_e32 vcc_lo, 0x7f800000, v9
	v_mov_b32_e32 v9, 0x80
	s_and_saveexec_b32 s62, vcc_lo
	s_cbranch_execz .LBB2_927
; %bb.1041:                             ;   in Loop: Header=BB2_928 Depth=3
	v_mov_b32_e32 v9, 0
	s_mov_b32 s63, exec_lo
	v_cmpx_ne_u32_e32 0, v8
	s_cbranch_execz .LBB2_926
; %bb.1042:                             ;   in Loop: Header=BB2_928 Depth=3
	v_bfe_u32 v9, v8, 23, 8
	v_and_b32_e32 v47, 0x7fffff, v8
	v_sub_nc_u32_e32 v63, 0x70, v9
	v_cmp_gt_u32_e32 vcc_lo, 0x71, v9
	v_or_b32_e32 v72, 0x800000, v47
	v_cndmask_b32_e32 v63, 0, v63, vcc_lo
	v_cmp_eq_u32_e32 vcc_lo, 0, v9
	v_add_nc_u32_e32 v9, 0xffffff91, v9
	v_cndmask_b32_e64 v63, v63, 0x6f, vcc_lo
	v_cndmask_b32_e32 v47, v72, v47, vcc_lo
	v_cndmask_b32_e64 v9, v9, 0xffffff92, vcc_lo
	v_lshl_add_u32 v72, 0x200000, v63, -1
	v_lshrrev_b32_e32 v73, v63, v47
	v_lshlrev_b32_e64 v75, v63, 0x100000
	v_add_nc_u32_e32 v63, v63, v9
	v_and_b32_e32 v47, v72, v47
	v_bfe_u32 v74, v73, 21, 1
	v_cmp_eq_u32_e64 s16, v47, v75
	v_add_nc_u32_e32 v72, -1, v74
	v_cndmask_b32_e64 v47, 0, v72, s16
	v_lshrrev_b32_e32 v72, 23, v73
	s_mov_b32 s16, exec_lo
	v_add_nc_u32_e32 v47, v47, v73
	v_xor_b32_e32 v72, 1, v72
	v_and_b32_e32 v9, 0x1fffff, v47
	v_add_nc_u32_e32 v47, v9, v73
                                        ; implicit-def: $vgpr9
	v_cmpx_ne_u32_e64 v63, v72
	s_xor_b32 s16, exec_lo, s16
; %bb.1043:                             ;   in Loop: Header=BB2_928 Depth=3
	v_cmp_lt_u32_e32 vcc_lo, 0xffffff, v47
	v_sub_nc_u32_e32 v9, v63, v72
	v_cndmask_b32_e64 v63, 0, 1, vcc_lo
	v_add_co_ci_u32_e64 v9, null, 0, v9, vcc_lo
	v_lshrrev_b32_e32 v47, v63, v47
; %bb.1044:                             ;   in Loop: Header=BB2_928 Depth=3
	s_andn2_saveexec_b32 s16, s16
	s_cbranch_execz .LBB2_925
; %bb.1045:                             ;   in Loop: Header=BB2_928 Depth=3
	v_bfe_u32 v9, v47, 23, 1
	s_branch .LBB2_925
.LBB2_1046:                             ;   in Loop: Header=BB2_928 Depth=3
	s_or_saveexec_b32 s62, s62
	v_mov_b32_e32 v57, 0x7f800001
	s_xor_b32 exec_lo, exec_lo, s62
	s_cbranch_execz .LBB2_940
.LBB2_1047:                             ;   in Loop: Header=BB2_928 Depth=3
	v_cmp_ne_u16_e32 vcc_lo, 0, v56
	v_mov_b32_e32 v57, 0
	s_andn2_b32 s16, s16, exec_lo
	s_and_b32 s63, vcc_lo, exec_lo
	s_or_b32 s16, s16, s63
	s_or_b32 exec_lo, exec_lo, s62
	s_and_saveexec_b32 s62, s16
	s_cbranch_execnz .LBB2_941
	s_branch .LBB2_942
.LBB2_1048:                             ;   in Loop: Header=BB2_928 Depth=3
	s_or_saveexec_b32 s62, s62
	v_mov_b32_e32 v58, 0x7f800001
	s_xor_b32 exec_lo, exec_lo, s62
	s_cbranch_execz .LBB2_954
.LBB2_1049:                             ;   in Loop: Header=BB2_928 Depth=3
	v_cmp_ne_u16_e32 vcc_lo, 0, v57
	v_mov_b32_e32 v58, 0
	s_andn2_b32 s16, s16, exec_lo
	s_and_b32 s63, vcc_lo, exec_lo
	s_or_b32 s16, s16, s63
	s_or_b32 exec_lo, exec_lo, s62
	s_and_saveexec_b32 s62, s16
	s_cbranch_execnz .LBB2_955
	s_branch .LBB2_956
.LBB2_1050:                             ;   in Loop: Header=BB2_928 Depth=3
	s_or_saveexec_b32 s62, s62
	v_mov_b32_e32 v59, 0x7f800001
	s_xor_b32 exec_lo, exec_lo, s62
	s_cbranch_execz .LBB2_968
.LBB2_1051:                             ;   in Loop: Header=BB2_928 Depth=3
	v_cmp_ne_u16_e32 vcc_lo, 0, v58
	v_mov_b32_e32 v59, 0
	s_andn2_b32 s16, s16, exec_lo
	s_and_b32 s63, vcc_lo, exec_lo
	s_or_b32 s16, s16, s63
	s_or_b32 exec_lo, exec_lo, s62
	s_and_saveexec_b32 s62, s16
	s_cbranch_execnz .LBB2_969
	s_branch .LBB2_970
.LBB2_1052:                             ;   in Loop: Header=BB2_928 Depth=3
	s_or_saveexec_b32 s62, s62
	v_mov_b32_e32 v60, 0x7f800001
	s_xor_b32 exec_lo, exec_lo, s62
	s_cbranch_execz .LBB2_982
.LBB2_1053:                             ;   in Loop: Header=BB2_928 Depth=3
	v_cmp_ne_u16_e32 vcc_lo, 0, v59
	v_mov_b32_e32 v60, 0
	s_andn2_b32 s16, s16, exec_lo
	s_and_b32 s63, vcc_lo, exec_lo
	s_or_b32 s16, s16, s63
	s_or_b32 exec_lo, exec_lo, s62
	s_and_saveexec_b32 s62, s16
	s_cbranch_execnz .LBB2_983
	s_branch .LBB2_984
.LBB2_1054:                             ;   in Loop: Header=BB2_928 Depth=3
	s_or_saveexec_b32 s62, s62
	v_mov_b32_e32 v61, 0x7f800001
	s_xor_b32 exec_lo, exec_lo, s62
	s_cbranch_execz .LBB2_996
.LBB2_1055:                             ;   in Loop: Header=BB2_928 Depth=3
	v_cmp_ne_u16_e32 vcc_lo, 0, v60
	v_mov_b32_e32 v61, 0
	s_andn2_b32 s16, s16, exec_lo
	s_and_b32 s63, vcc_lo, exec_lo
	s_or_b32 s16, s16, s63
	s_or_b32 exec_lo, exec_lo, s62
	s_and_saveexec_b32 s62, s16
	s_cbranch_execnz .LBB2_997
	s_branch .LBB2_998
.LBB2_1056:                             ;   in Loop: Header=BB2_928 Depth=3
	s_or_saveexec_b32 s62, s62
	v_mov_b32_e32 v62, 0x7f800001
	s_xor_b32 exec_lo, exec_lo, s62
	s_cbranch_execz .LBB2_1010
.LBB2_1057:                             ;   in Loop: Header=BB2_928 Depth=3
	v_cmp_ne_u16_e32 vcc_lo, 0, v61
	v_mov_b32_e32 v62, 0
	s_andn2_b32 s16, s16, exec_lo
	s_and_b32 s63, vcc_lo, exec_lo
	s_or_b32 s16, s16, s63
	s_or_b32 exec_lo, exec_lo, s62
	s_and_saveexec_b32 s62, s16
	s_cbranch_execnz .LBB2_1011
	s_branch .LBB2_1012
.LBB2_1058:                             ;   in Loop: Header=BB2_928 Depth=3
	s_or_saveexec_b32 s62, s62
	v_mov_b32_e32 v63, 0x7f800001
	s_xor_b32 exec_lo, exec_lo, s62
	s_cbranch_execz .LBB2_1024
.LBB2_1059:                             ;   in Loop: Header=BB2_928 Depth=3
	v_cmp_ne_u16_e32 vcc_lo, 0, v62
	v_mov_b32_e32 v63, 0
	s_andn2_b32 s16, s16, exec_lo
	s_and_b32 s63, vcc_lo, exec_lo
	s_or_b32 s16, s16, s63
	s_or_b32 exec_lo, exec_lo, s62
	s_and_saveexec_b32 s62, s16
	s_cbranch_execnz .LBB2_1025
	s_branch .LBB2_1026
.LBB2_1060:                             ;   in Loop: Header=BB2_928 Depth=3
	s_or_saveexec_b32 s62, s62
	v_mov_b32_e32 v9, 0x7f800001
	s_xor_b32 exec_lo, exec_lo, s62
	s_cbranch_execz .LBB2_1038
.LBB2_1061:                             ;   in Loop: Header=BB2_928 Depth=3
	v_cmp_ne_u16_e32 vcc_lo, 0, v8
	v_mov_b32_e32 v9, 0
	s_andn2_b32 s16, s16, exec_lo
	s_and_b32 s63, vcc_lo, exec_lo
	s_or_b32 s16, s16, s63
	s_or_b32 exec_lo, exec_lo, s62
	s_and_saveexec_b32 s62, s16
	s_cbranch_execnz .LBB2_1039
	s_branch .LBB2_1040
.LBB2_1062:                             ;   in Loop: Header=BB2_57 Depth=2
	s_or_b32 exec_lo, exec_lo, s61
.LBB2_1063:                             ;   in Loop: Header=BB2_57 Depth=2
	s_or_b32 exec_lo, exec_lo, s23
	v_lshlrev_b32_e32 v8, 8, v68
	v_cmp_ne_u32_e32 vcc_lo, v11, v8
	s_and_b32 exec_lo, exec_lo, vcc_lo
	s_cbranch_execz .LBB2_1091
; %bb.1064:                             ;   in Loop: Header=BB2_57 Depth=2
	v_lshlrev_b32_e32 v9, 5, v51
	v_lshlrev_b32_e32 v51, 5, v66
	v_sub_nc_u32_e32 v9, v67, v9
	v_sub_nc_u32_e32 v9, v9, v51
	v_add_nc_u32_e32 v54, v8, v9
	v_sub_nc_u32_e32 v51, v11, v54
	v_cmp_lt_i32_e32 vcc_lo, 0, v51
	s_and_b32 exec_lo, exec_lo, vcc_lo
	s_cbranch_execz .LBB2_1091
; %bb.1065:                             ;   in Loop: Header=BB2_57 Depth=2
	s_trap 2
	ds_read_b64 v[8:9], v0
	v_add_nc_u32_e32 v54, v54, v10
	s_mov_b32 s23, 0
	v_ashrrev_i32_e32 v55, 31, v54
	s_branch .LBB2_1069
.LBB2_1066:                             ;   in Loop: Header=BB2_1069 Depth=3
	s_or_b32 exec_lo, exec_lo, s16
	v_lshrrev_b32_e32 v66, 21, v66
	v_cmp_gt_i32_e32 vcc_lo, 32, v65
	v_min_i32_e32 v67, 31, v65
	v_and_b32_sdwa v64, v64, v98 dst_sel:DWORD dst_unused:UNUSED_PAD src0_sel:BYTE_3 src1_sel:DWORD
	v_cndmask_b32_e32 v66, 3, v66, vcc_lo
	v_lshlrev_b32_e32 v67, 2, v67
	v_and_b32_e32 v68, 3, v66
	v_or_b32_e32 v65, v65, v66
	v_or3_b32 v64, v67, v64, v68
	v_cmp_ne_u32_e32 vcc_lo, 0, v65
	v_cndmask_b32_e32 v65, 0, v64, vcc_lo
.LBB2_1067:                             ;   in Loop: Header=BB2_1069 Depth=3
	s_or_b32 exec_lo, exec_lo, s62
.LBB2_1068:                             ;   in Loop: Header=BB2_1069 Depth=3
	s_or_b32 exec_lo, exec_lo, s61
	v_sub_nc_u32_e32 v51, v51, v86
	v_add_co_u32 v54, s16, v54, v86
	v_add_co_ci_u32_e64 v55, null, 0, v55, s16
	v_cmp_gt_i32_e32 vcc_lo, 1, v51
	flat_store_byte v[10:11], v65 glc slc
	s_or_b32 s23, vcc_lo, s23
	s_andn2_b32 exec_lo, exec_lo, s23
	s_cbranch_execz .LBB2_1091
.LBB2_1069:                             ;   Parent Loop BB2_47 Depth=1
                                        ;     Parent Loop BB2_57 Depth=2
                                        ; =>    This Inner Loop Header: Depth=3
	s_trap 2
	ds_read_b64 v[10:11], v0
	s_waitcnt lgkmcnt(0)
	v_readfirstlane_b32 s16, v10
	s_and_b32 s61, s16, 0xff
	s_cmpk_lt_i32 s61, 0x80
	s_cbranch_scc1 .LBB2_1073
; %bb.1070:                             ;   in Loop: Header=BB2_1069 Depth=3
	s_and_b32 s62, 0xffff, s61
	s_cmpk_eq_i32 s62, 0x80
	s_mov_b32 s62, -1
	s_cbranch_scc0 .LBB2_1072
; %bb.1071:                             ;   in Loop: Header=BB2_1069 Depth=3
	s_mov_b32 s62, 0
.LBB2_1072:                             ;   in Loop: Header=BB2_1069 Depth=3
	s_mov_b32 s63, 0x7f800001
	s_branch .LBB2_1075
.LBB2_1073:                             ;   in Loop: Header=BB2_1069 Depth=3
	s_mov_b32 s62, 0
	s_mov_b32 s63, 0x7f800001
	s_cbranch_execz .LBB2_1075
; %bb.1074:                             ;   in Loop: Header=BB2_1069 Depth=3
	s_and_b32 s61, 0xffff, s61
	s_mov_b32 s63, 0
	s_cmp_lg_u32 s61, 0
	s_cselect_b32 s62, -1, 0
.LBB2_1075:                             ;   in Loop: Header=BB2_1069 Depth=3
	v_mov_b32_e32 v64, s63
	s_andn2_b32 vcc_lo, exec_lo, s62
	s_cbranch_vccnz .LBB2_1077
; %bb.1076:                             ;   in Loop: Header=BB2_1069 Depth=3
	s_and_b32 s61, s16, 3
	s_bfe_u32 s63, s16, 0x50002
	s_flbit_i32_b32 s62, s61
	v_lshlrev_b32_e32 v10, 24, v10
	s_min_u32 s62, s62, 32
	s_sub_i32 s72, s62, 29
	s_sub_i32 s62, 30, s62
	s_lshl_b32 s16, s16, s72
	v_and_b32_e32 v10, 0x80000000, v10
	s_and_b32 s16, s16, 3
	s_cmp_eq_u32 s63, 0
	s_cselect_b32 s62, s62, s63
	s_cselect_b32 s16, s16, s61
	s_lshl_b32 s61, s62, 23
	s_lshl_b32 s16, s16, 21
	s_add_i32 s61, s61, 0x37800000
	v_or_b32_e32 v10, s61, v10
	v_or_b32_e32 v64, s16, v10
.LBB2_1077:                             ;   in Loop: Header=BB2_1069 Depth=3
	v_add_co_u32 v10, vcc_lo, v8, v54
	v_add_co_ci_u32_e64 v11, null, v9, v55, vcc_lo
	s_mov_b32 s16, 0
	s_mov_b32 s61, exec_lo
	flat_load_ubyte v65, v[10:11] slc
	s_waitcnt vmcnt(0) lgkmcnt(0)
	v_cmpx_lt_i16_e32 0x7f, v65
	s_xor_b32 s61, exec_lo, s61
	s_cbranch_execz .LBB2_1089
; %bb.1078:                             ;   in Loop: Header=BB2_1069 Depth=3
	s_mov_b32 s16, -1
	s_mov_b32 s62, exec_lo
	v_cmpx_eq_u16_e32 0x80, v65
; %bb.1079:                             ;   in Loop: Header=BB2_1069 Depth=3
	s_xor_b32 s16, exec_lo, -1
; %bb.1080:                             ;   in Loop: Header=BB2_1069 Depth=3
	s_or_b32 exec_lo, exec_lo, s62
	s_and_b32 s16, s16, exec_lo
	s_or_saveexec_b32 s61, s61
	v_mov_b32_e32 v66, 0x7f800001
	s_xor_b32 exec_lo, exec_lo, s61
	s_cbranch_execnz .LBB2_1090
.LBB2_1081:                             ;   in Loop: Header=BB2_1069 Depth=3
	s_or_b32 exec_lo, exec_lo, s61
	s_and_saveexec_b32 s61, s16
	s_cbranch_execz .LBB2_1083
.LBB2_1082:                             ;   in Loop: Header=BB2_1069 Depth=3
	v_and_b32_e32 v66, 0xffff, v65
	v_lshlrev_b32_e32 v65, 24, v65
	v_and_b32_e32 v67, 3, v66
	v_bfe_u32 v46, v66, 2, 5
	v_and_b32_e32 v65, 0x80000000, v65
	v_ffbh_u32_e32 v68, v67
	v_cmp_eq_u32_e32 vcc_lo, 0, v46
	v_min_u32_e32 v68, 32, v68
	v_subrev_nc_u32_e32 v69, 29, v68
	v_sub_nc_u32_e32 v68, 30, v68
	v_lshlrev_b32_e32 v66, v69, v66
	v_cndmask_b32_e32 v68, v46, v68, vcc_lo
	v_and_b32_e32 v66, 3, v66
	v_cndmask_b32_e32 v66, v67, v66, vcc_lo
	v_lshl_add_u32 v67, v68, 23, 0x37800000
	v_lshlrev_b32_e32 v66, 21, v66
	v_or3_b32 v66, v65, v67, v66
.LBB2_1083:                             ;   in Loop: Header=BB2_1069 Depth=3
	s_or_b32 exec_lo, exec_lo, s61
	v_mul_f32_e32 v64, v64, v66
	v_and_b32_e32 v65, 0x7f800000, v64
	v_cmp_ne_u32_e32 vcc_lo, 0x7f800000, v65
	v_mov_b32_e32 v65, 0x80
	s_and_saveexec_b32 s61, vcc_lo
	s_cbranch_execz .LBB2_1068
; %bb.1084:                             ;   in Loop: Header=BB2_1069 Depth=3
	v_mov_b32_e32 v65, 0
	s_mov_b32 s62, exec_lo
	v_cmpx_ne_u32_e32 0, v64
	s_cbranch_execz .LBB2_1067
; %bb.1085:                             ;   in Loop: Header=BB2_1069 Depth=3
	v_bfe_u32 v65, v64, 23, 8
	v_and_b32_e32 v66, 0x7fffff, v64
	v_sub_nc_u32_e32 v67, 0x70, v65
	v_cmp_gt_u32_e32 vcc_lo, 0x71, v65
	v_or_b32_e32 v68, 0x800000, v66
	v_cndmask_b32_e32 v67, 0, v67, vcc_lo
	v_cmp_eq_u32_e32 vcc_lo, 0, v65
	v_add_nc_u32_e32 v65, 0xffffff91, v65
	v_cndmask_b32_e64 v67, v67, 0x6f, vcc_lo
	v_cndmask_b32_e32 v66, v68, v66, vcc_lo
	v_cndmask_b32_e64 v65, v65, 0xffffff92, vcc_lo
	v_lshl_add_u32 v68, 0x200000, v67, -1
	v_lshrrev_b32_e32 v69, v67, v66
	v_lshlrev_b32_e64 v47, v67, 0x100000
	v_add_nc_u32_e32 v67, v67, v65
	v_and_b32_e32 v66, v68, v66
	v_bfe_u32 v46, v69, 21, 1
	v_cmp_eq_u32_e64 s16, v66, v47
	v_add_nc_u32_e32 v68, -1, v46
	v_cndmask_b32_e64 v66, 0, v68, s16
	v_lshrrev_b32_e32 v68, 23, v69
	s_mov_b32 s16, exec_lo
	v_add_nc_u32_e32 v66, v66, v69
	v_xor_b32_e32 v68, 1, v68
	v_and_b32_e32 v65, 0x1fffff, v66
	v_add_nc_u32_e32 v66, v65, v69
                                        ; implicit-def: $vgpr65
	v_cmpx_ne_u32_e64 v67, v68
	s_xor_b32 s16, exec_lo, s16
; %bb.1086:                             ;   in Loop: Header=BB2_1069 Depth=3
	v_cmp_lt_u32_e32 vcc_lo, 0xffffff, v66
	v_sub_nc_u32_e32 v65, v67, v68
	v_cndmask_b32_e64 v67, 0, 1, vcc_lo
	v_add_co_ci_u32_e64 v65, null, 0, v65, vcc_lo
	v_lshrrev_b32_e32 v66, v67, v66
; %bb.1087:                             ;   in Loop: Header=BB2_1069 Depth=3
	s_andn2_saveexec_b32 s16, s16
	s_cbranch_execz .LBB2_1066
; %bb.1088:                             ;   in Loop: Header=BB2_1069 Depth=3
	v_bfe_u32 v65, v66, 23, 1
	s_branch .LBB2_1066
.LBB2_1089:                             ;   in Loop: Header=BB2_1069 Depth=3
	s_or_saveexec_b32 s61, s61
	v_mov_b32_e32 v66, 0x7f800001
	s_xor_b32 exec_lo, exec_lo, s61
	s_cbranch_execz .LBB2_1081
.LBB2_1090:                             ;   in Loop: Header=BB2_1069 Depth=3
	v_cmp_ne_u16_e32 vcc_lo, 0, v65
	v_mov_b32_e32 v66, 0
	s_andn2_b32 s16, s16, exec_lo
	s_and_b32 s62, vcc_lo, exec_lo
	s_or_b32 s16, s16, s62
	s_or_b32 exec_lo, exec_lo, s61
	s_and_saveexec_b32 s61, s16
	s_cbranch_execnz .LBB2_1082
	s_branch .LBB2_1083
.LBB2_1091:                             ;   in Loop: Header=BB2_57 Depth=2
	s_or_b32 exec_lo, exec_lo, s17
	v_cmp_lt_i32_e64 s16, 0, v3
	s_and_saveexec_b32 s17, s6
	s_cbranch_execz .LBB2_1110
.LBB2_1092:                             ;   in Loop: Header=BB2_57 Depth=2
	s_and_saveexec_b32 s23, s29
	s_xor_b32 s23, exec_lo, s23
	s_cbranch_execz .LBB2_1107
; %bb.1093:                             ;   in Loop: Header=BB2_57 Depth=2
	s_and_saveexec_b32 s61, s11
	s_cbranch_execz .LBB2_1106
; %bb.1094:                             ;   in Loop: Header=BB2_57 Depth=2
	s_mov_b32 s63, exec_lo
	s_mov_b32 s62, exec_lo
	v_mbcnt_lo_u32_b32 v3, s63, 0
	s_waitcnt vmcnt(0) lgkmcnt(0)
	s_waitcnt_vscnt null, 0x0
	buffer_gl1_inv
	buffer_gl0_inv
	v_cmpx_eq_u32_e32 0, v3
	s_cbranch_execz .LBB2_1096
; %bb.1095:                             ;   in Loop: Header=BB2_57 Depth=2
	s_bcnt1_i32_b32 s63, s63
	v_mov_b32_e32 v9, v2
	v_mov_b32_e32 v8, s63
	ds_add_u64 v0, v[8:9]
	s_trap 2
.LBB2_1096:                             ;   in Loop: Header=BB2_57 Depth=2
	s_or_b32 exec_lo, exec_lo, s62
	s_trap 2
	ds_read_b64 v[8:9], v0
	s_waitcnt lgkmcnt(0)
	buffer_gl0_inv
	v_add_co_u32 v12, vcc_lo, v12, v83
	v_add_co_ci_u32_e64 v13, null, 0, v13, vcc_lo
	s_mov_b32 s62, exec_lo
	v_cmpx_lt_u64_e64 v[8:9], v[12:13]
	s_cbranch_execz .LBB2_1105
; %bb.1097:                             ;   in Loop: Header=BB2_57 Depth=2
	s_mov_b32 s63, 0
	s_mov_b32 s74, 0
                                        ; implicit-def: $sgpr72
                                        ; implicit-def: $sgpr73
	s_inst_prefetch 0x1
	s_branch .LBB2_1099
	.p2align	6
.LBB2_1098:                             ;   in Loop: Header=BB2_1099 Depth=3
	s_or_b32 exec_lo, exec_lo, s76
	s_and_b32 s75, exec_lo, s77
	s_or_b32 s63, s75, s63
	s_andn2_b32 s72, s72, exec_lo
	s_and_b32 s75, s73, exec_lo
	s_or_b32 s72, s72, s75
	s_andn2_b32 exec_lo, exec_lo, s63
	s_cbranch_execz .LBB2_1103
.LBB2_1099:                             ;   Parent Loop BB2_47 Depth=1
                                        ;     Parent Loop BB2_57 Depth=2
                                        ; =>    This Inner Loop Header: Depth=3
	s_add_i32 s74, s74, 1
	s_cmpk_lg_i32 s74, 0x2710
	s_cselect_b32 s75, -1, 0
	s_and_b32 vcc_lo, exec_lo, s75
	s_cbranch_vccz .LBB2_1101
; %bb.1100:                             ;   in Loop: Header=BB2_1099 Depth=3
	s_mov_b32 s77, -1
	s_or_b32 s73, s73, exec_lo
	s_and_saveexec_b32 s76, s75
	s_cbranch_execz .LBB2_1098
	s_branch .LBB2_1102
	.p2align	6
.LBB2_1101:                             ;   in Loop: Header=BB2_1099 Depth=3
	s_trap 2
	ds_read_b64 v[8:9], v0
	s_andn2_b32 s75, s75, exec_lo
	s_mov_b32 s74, 0
	s_waitcnt lgkmcnt(0)
	flat_load_dword v3, v[8:9] glc dlc
	s_waitcnt vmcnt(0) lgkmcnt(0)
	buffer_gl1_inv
	buffer_gl0_inv
	v_cmp_eq_u32_e32 vcc_lo, 0, v3
	s_and_b32 s76, vcc_lo, exec_lo
	s_or_b32 s75, s75, s76
	s_mov_b32 s77, -1
	s_or_b32 s73, s73, exec_lo
	s_and_saveexec_b32 s76, s75
	s_cbranch_execz .LBB2_1098
.LBB2_1102:                             ;   in Loop: Header=BB2_1099 Depth=3
	s_sleep 1
	s_trap 2
	ds_read_b64 v[8:9], v0
	s_waitcnt lgkmcnt(0)
	buffer_gl0_inv
	s_andn2_b32 s73, s73, exec_lo
	v_cmp_ge_u64_e32 vcc_lo, v[8:9], v[12:13]
	s_orn2_b32 s77, vcc_lo, exec_lo
	s_branch .LBB2_1098
.LBB2_1103:                             ;   in Loop: Header=BB2_57 Depth=2
	s_inst_prefetch 0x2
	s_or_b32 exec_lo, exec_lo, s63
	s_and_saveexec_b32 s63, s72
	s_xor_b32 s63, exec_lo, s63
	s_cbranch_execz .LBB2_1105
; %bb.1104:                             ;   in Loop: Header=BB2_57 Depth=2
	ds_write_b32 v0, v96
	s_trap 2
.LBB2_1105:                             ;   in Loop: Header=BB2_57 Depth=2
	s_or_b32 exec_lo, exec_lo, s62
	;;#ASMSTART
	s_wakeup
	;;#ASMEND
.LBB2_1106:                             ;   in Loop: Header=BB2_57 Depth=2
	s_or_b32 exec_lo, exec_lo, s61
.LBB2_1107:                             ;   in Loop: Header=BB2_57 Depth=2
	s_andn2_saveexec_b32 s23, s23
	s_cbranch_execz .LBB2_1109
; %bb.1108:                             ;   in Loop: Header=BB2_57 Depth=2
	s_waitcnt vmcnt(0) lgkmcnt(0)
	s_waitcnt_vscnt null, 0x0
	buffer_gl1_inv
	buffer_gl0_inv
	s_barrier
.LBB2_1109:                             ;   in Loop: Header=BB2_57 Depth=2
	s_or_b32 exec_lo, exec_lo, s23
.LBB2_1110:                             ;   in Loop: Header=BB2_57 Depth=2
	s_or_b32 exec_lo, exec_lo, s17
	v_and_b32_e32 v3, 16, v81
	s_and_saveexec_b32 s17, s15
	s_xor_b32 s17, exec_lo, s17
	s_cbranch_execz .LBB2_1114
; %bb.1111:                             ;   in Loop: Header=BB2_57 Depth=2
	v_and_b32_e32 v3, 16, v81
	v_cmp_ne_u32_e32 vcc_lo, 0, v3
	v_and_b32_e32 v3, 16, v81
	s_and_b32 s23, vcc_lo, s16
	s_and_saveexec_b32 s16, s23
	s_cbranch_execz .LBB2_1113
; %bb.1112:                             ;   in Loop: Header=BB2_57 Depth=2
	v_mov_b32_e32 v3, 1
	s_waitcnt vmcnt(0) lgkmcnt(0)
	s_waitcnt_vscnt null, 0x0
	buffer_gl1_inv
	buffer_gl0_inv
.LBB2_1113:                             ;   in Loop: Header=BB2_57 Depth=2
	s_or_b32 exec_lo, exec_lo, s16
.LBB2_1114:                             ;   in Loop: Header=BB2_57 Depth=2
	s_andn2_saveexec_b32 s16, s17
	s_cbranch_execz .LBB2_1133
; %bb.1115:                             ;   in Loop: Header=BB2_57 Depth=2
	s_and_saveexec_b32 s17, s29
	s_xor_b32 s17, exec_lo, s17
	s_cbranch_execz .LBB2_1130
; %bb.1116:                             ;   in Loop: Header=BB2_57 Depth=2
	s_and_saveexec_b32 s23, s11
	s_cbranch_execz .LBB2_1129
; %bb.1117:                             ;   in Loop: Header=BB2_57 Depth=2
	s_mov_b32 s62, exec_lo
	s_mov_b32 s61, exec_lo
	v_mbcnt_lo_u32_b32 v8, s62, 0
	;;#ASMSTART
	s_waitcnt lgkmcnt(0) vmcnt(0)
	;;#ASMEND
	v_cmpx_eq_u32_e32 0, v8
	s_cbranch_execz .LBB2_1119
; %bb.1118:                             ;   in Loop: Header=BB2_57 Depth=2
	s_bcnt1_i32_b32 s62, s62
	v_mov_b32_e32 v9, v2
	v_mov_b32_e32 v8, s62
	s_waitcnt vmcnt(0) lgkmcnt(0)
	s_waitcnt_vscnt null, 0x0
	ds_add_u64 v0, v[8:9]
	s_trap 2
.LBB2_1119:                             ;   in Loop: Header=BB2_57 Depth=2
	s_or_b32 exec_lo, exec_lo, s61
	s_trap 2
	ds_read_b64 v[8:9], v0
	s_waitcnt vmcnt(0) lgkmcnt(0)
	buffer_gl0_inv
	v_add_co_u32 v12, vcc_lo, v12, v83
	v_add_co_ci_u32_e64 v13, null, 0, v13, vcc_lo
	s_mov_b32 s61, exec_lo
	v_cmpx_lt_u64_e64 v[8:9], v[12:13]
	s_cbranch_execz .LBB2_1128
; %bb.1120:                             ;   in Loop: Header=BB2_57 Depth=2
	s_mov_b32 s62, 0
	s_mov_b32 s73, 0
                                        ; implicit-def: $sgpr63
                                        ; implicit-def: $sgpr72
	s_inst_prefetch 0x1
	s_branch .LBB2_1122
	.p2align	6
.LBB2_1121:                             ;   in Loop: Header=BB2_1122 Depth=3
	s_or_b32 exec_lo, exec_lo, s75
	s_and_b32 s74, exec_lo, s76
	s_or_b32 s62, s74, s62
	s_andn2_b32 s63, s63, exec_lo
	s_and_b32 s74, s72, exec_lo
	s_or_b32 s63, s63, s74
	s_andn2_b32 exec_lo, exec_lo, s62
	s_cbranch_execz .LBB2_1126
.LBB2_1122:                             ;   Parent Loop BB2_47 Depth=1
                                        ;     Parent Loop BB2_57 Depth=2
                                        ; =>    This Inner Loop Header: Depth=3
	s_add_i32 s73, s73, 1
	s_cmpk_lg_i32 s73, 0x2710
	s_cselect_b32 s74, -1, 0
	s_and_b32 vcc_lo, exec_lo, s74
	s_cbranch_vccz .LBB2_1124
; %bb.1123:                             ;   in Loop: Header=BB2_1122 Depth=3
	s_mov_b32 s76, -1
	s_or_b32 s72, s72, exec_lo
	s_and_saveexec_b32 s75, s74
	s_cbranch_execz .LBB2_1121
	s_branch .LBB2_1125
	.p2align	6
.LBB2_1124:                             ;   in Loop: Header=BB2_1122 Depth=3
	s_trap 2
	ds_read_b64 v[8:9], v0
	s_andn2_b32 s74, s74, exec_lo
	s_mov_b32 s73, 0
	s_waitcnt lgkmcnt(0)
	s_waitcnt_vscnt null, 0x0
	flat_load_dword v8, v[8:9] glc dlc
	s_waitcnt vmcnt(0) lgkmcnt(0)
	buffer_gl1_inv
	buffer_gl0_inv
	v_cmp_eq_u32_e32 vcc_lo, 0, v8
	s_and_b32 s75, vcc_lo, exec_lo
	s_or_b32 s74, s74, s75
	s_mov_b32 s76, -1
	s_or_b32 s72, s72, exec_lo
	s_and_saveexec_b32 s75, s74
	s_cbranch_execz .LBB2_1121
.LBB2_1125:                             ;   in Loop: Header=BB2_1122 Depth=3
	s_sleep 1
	s_trap 2
	ds_read_b64 v[8:9], v0
	s_waitcnt lgkmcnt(0)
	buffer_gl0_inv
	s_andn2_b32 s72, s72, exec_lo
	v_cmp_ge_u64_e32 vcc_lo, v[8:9], v[12:13]
	s_orn2_b32 s76, vcc_lo, exec_lo
	s_branch .LBB2_1121
.LBB2_1126:                             ;   in Loop: Header=BB2_57 Depth=2
	s_inst_prefetch 0x2
	s_or_b32 exec_lo, exec_lo, s62
	s_and_saveexec_b32 s62, s63
	s_xor_b32 s62, exec_lo, s62
	s_cbranch_execz .LBB2_1128
; %bb.1127:                             ;   in Loop: Header=BB2_57 Depth=2
	ds_write_b32 v0, v96
	s_trap 2
.LBB2_1128:                             ;   in Loop: Header=BB2_57 Depth=2
	s_or_b32 exec_lo, exec_lo, s61
	;;#ASMSTART
	s_wakeup
	;;#ASMEND
.LBB2_1129:                             ;   in Loop: Header=BB2_57 Depth=2
	s_or_b32 exec_lo, exec_lo, s23
.LBB2_1130:                             ;   in Loop: Header=BB2_57 Depth=2
	s_andn2_saveexec_b32 s17, s17
	s_cbranch_execz .LBB2_1132
; %bb.1131:                             ;   in Loop: Header=BB2_57 Depth=2
	;;#ASMSTART
	s_waitcnt lgkmcnt(0) vmcnt(0)
	;;#ASMEND
	s_barrier
.LBB2_1132:                             ;   in Loop: Header=BB2_57 Depth=2
	s_or_b32 exec_lo, exec_lo, s17
.LBB2_1133:                             ;   in Loop: Header=BB2_57 Depth=2
	s_or_b32 exec_lo, exec_lo, s16
	s_mov_b32 s16, exec_lo
	v_cmpx_ne_u32_e32 0, v3
	s_cbranch_execz .LBB2_56
; %bb.1134:                             ;   in Loop: Header=BB2_57 Depth=2
	s_and_saveexec_b32 s17, s10
	s_cbranch_execz .LBB2_55
; %bb.1135:                             ;   in Loop: Header=BB2_57 Depth=2
	s_waitcnt vmcnt(0) lgkmcnt(0)
	s_waitcnt_vscnt null, 0x0
	flat_store_dword v[24:25], v96
	s_branch .LBB2_55
.LBB2_1136:                             ;   in Loop: Header=BB2_47 Depth=1
	s_or_b32 exec_lo, exec_lo, s19
.LBB2_1137:                             ;   in Loop: Header=BB2_47 Depth=1
	s_or_b32 exec_lo, exec_lo, s18
	s_mov_b32 s17, exec_lo
	v_cmpx_gt_i32_e32 2, v3
	s_cbranch_execz .LBB2_1209
; %bb.1138:                             ;   in Loop: Header=BB2_47 Depth=1
	v_cmp_eq_u32_e64 s19, 0, v3
	s_mov_b32 s18, 0
	s_branch .LBB2_1141
.LBB2_1139:                             ;   in Loop: Header=BB2_1141 Depth=2
	s_or_b32 exec_lo, exec_lo, s19
	v_add_co_u32 v38, vcc_lo, v38, 2
	v_add_co_ci_u32_e64 v39, null, 0, v39, vcc_lo
	s_waitcnt vmcnt(0) lgkmcnt(0)
	s_waitcnt_vscnt null, 0x0
	flat_store_dwordx2 v[20:21], v[38:39]
.LBB2_1140:                             ;   in Loop: Header=BB2_1141 Depth=2
	s_or_b32 exec_lo, exec_lo, s16
	v_add_nc_u32_e32 v71, v50, v71
	s_mov_b32 s19, 0
	s_andn2_b32 exec_lo, exec_lo, s18
	s_cbranch_execz .LBB2_1208
.LBB2_1141:                             ;   Parent Loop BB2_47 Depth=1
                                        ; =>  This Loop Header: Depth=2
                                        ;       Child Loop BB2_1147 Depth 3
                                        ;       Child Loop BB2_1171 Depth 3
                                        ;       Child Loop BB2_1194 Depth 3
	v_sub_nc_u32_e32 v3, v70, v71
	v_and_b32_e32 v8, 8, v81
	s_mov_b32 s21, exec_lo
	v_min_i32_e32 v50, v50, v3
	v_cmpx_ne_u32_e32 0, v8
	s_cbranch_execz .LBB2_1163
; %bb.1142:                             ;   in Loop: Header=BB2_1141 Depth=2
	s_waitcnt vmcnt(0) lgkmcnt(1)
	v_add_co_u32 v10, vcc_lo, v26, 8
	v_add_co_ci_u32_e64 v11, null, 0, v27, vcc_lo
	v_add_co_u32 v8, vcc_lo, v38, 2
	v_add_co_ci_u32_e64 v9, null, 0, v39, vcc_lo
	s_mov_b32 s22, exec_lo
	v_cmpx_lt_u64_e64 v[10:11], v[8:9]
	s_cbranch_execz .LBB2_1154
; %bb.1143:                             ;   in Loop: Header=BB2_1141 Depth=2
	v_and_b32_e32 v3, 64, v81
	s_mov_b32 s23, 0
	s_mov_b32 s72, 0
                                        ; implicit-def: $sgpr61
                                        ; implicit-def: $sgpr62
                                        ; implicit-def: $sgpr63
	v_cmp_eq_u32_e32 vcc_lo, 0, v3
	s_branch .LBB2_1147
.LBB2_1144:                             ;   in Loop: Header=BB2_1147 Depth=3
	s_waitcnt vmcnt(0) lgkmcnt(0)
	v_add_co_u32 v10, s16, v26, 8
	v_add_co_ci_u32_e64 v11, null, 0, v27, s16
	s_or_b32 s75, s75, exec_lo
	v_cmp_ge_u64_e64 s16, v[10:11], v[8:9]
	s_orn2_b32 s74, s16, exec_lo
.LBB2_1145:                             ;   in Loop: Header=BB2_1147 Depth=3
	s_or_b32 exec_lo, exec_lo, s77
	s_andn2_b32 s16, s63, exec_lo
	s_and_b32 s63, s75, exec_lo
	s_andn2_b32 s62, s62, exec_lo
	s_and_b32 s74, s74, exec_lo
	s_or_b32 s63, s16, s63
	s_or_b32 s62, s62, s74
.LBB2_1146:                             ;   in Loop: Header=BB2_1147 Depth=3
	s_or_b32 exec_lo, exec_lo, s73
	s_and_b32 s16, exec_lo, s62
	s_or_b32 s23, s16, s23
	s_andn2_b32 s16, s61, exec_lo
	s_and_b32 s61, s63, exec_lo
	s_or_b32 s61, s16, s61
	s_andn2_b32 exec_lo, exec_lo, s23
	s_cbranch_execz .LBB2_1151
.LBB2_1147:                             ;   Parent Loop BB2_47 Depth=1
                                        ;     Parent Loop BB2_1141 Depth=2
                                        ; =>    This Inner Loop Header: Depth=3
	s_sleep 1
	s_waitcnt vmcnt(0) lgkmcnt(0)
	flat_load_dwordx2 v[26:27], v[20:21] glc dlc
	s_or_b32 s63, s63, exec_lo
	s_or_b32 s62, s62, exec_lo
                                        ; implicit-def: $vgpr3
	s_and_saveexec_b32 s73, vcc_lo
	s_cbranch_execz .LBB2_1146
; %bb.1148:                             ;   in Loop: Header=BB2_1147 Depth=3
	s_cmpk_lt_i32 s72, 0x270f
	s_mov_b32 s74, -1
	s_cselect_b32 s76, -1, 0
	s_cmpk_gt_i32 s72, 0x270e
	s_cbranch_scc0 .LBB2_1150
; %bb.1149:                             ;   in Loop: Header=BB2_1147 Depth=3
	s_trap 2
	ds_read_b64 v[10:11], v0
	s_andn2_b32 s72, s76, exec_lo
	s_mov_b32 s75, 0
	s_waitcnt vmcnt(0) lgkmcnt(0)
	s_waitcnt_vscnt null, 0x0
	flat_load_dword v3, v[10:11] glc dlc
	s_waitcnt vmcnt(0) lgkmcnt(0)
	buffer_gl1_inv
	buffer_gl0_inv
	v_cmp_eq_u32_e64 s16, 0, v3
	s_and_b32 s16, s16, exec_lo
	s_or_b32 s76, s72, s16
	s_mov_b32 s72, 0
	s_and_saveexec_b32 s77, s76
	s_cbranch_execz .LBB2_1145
	s_branch .LBB2_1144
.LBB2_1150:                             ;   in Loop: Header=BB2_1147 Depth=3
	s_add_i32 s72, s72, 1
	s_mov_b32 s75, -1
                                        ; implicit-def: $vgpr3
	s_and_saveexec_b32 s77, s76
	s_cbranch_execz .LBB2_1145
	s_branch .LBB2_1144
.LBB2_1151:                             ;   in Loop: Header=BB2_1141 Depth=2
	s_or_b32 exec_lo, exec_lo, s23
	s_xor_b32 s16, s61, -1
	s_and_saveexec_b32 s23, s16
	s_xor_b32 s16, exec_lo, s23
	s_cbranch_execz .LBB2_1153
; %bb.1152:                             ;   in Loop: Header=BB2_1141 Depth=2
	v_or_b32_e32 v81, 64, v81
	s_waitcnt vmcnt(0) lgkmcnt(0)
	s_waitcnt_vscnt null, 0x0
	ds_write_b32 v0, v3
	s_trap 2
.LBB2_1153:                             ;   in Loop: Header=BB2_1141 Depth=2
	s_or_b32 exec_lo, exec_lo, s16
.LBB2_1154:                             ;   in Loop: Header=BB2_1141 Depth=2
	s_or_b32 exec_lo, exec_lo, s22
	v_and_b32_e32 v3, 0x100, v81
	s_mov_b32 s16, -1
	;;#ASMSTART
	s_wakeup
	;;#ASMEND
                                        ; implicit-def: $vgpr10_vgpr11
	v_cmp_ne_u32_e32 vcc_lo, 0, v3
	v_and_b32_e32 v3, 7, v38
	s_and_saveexec_b32 s22, vcc_lo
	s_cbranch_execz .LBB2_1158
; %bb.1155:                             ;   in Loop: Header=BB2_1141 Depth=2
	v_mad_u64_u32 v[38:39], null, v3, 24, v[6:7]
	v_ashrrev_i32_e32 v51, 31, v50
	flat_load_dword v10, v[38:39]
	flat_store_dwordx2 v[38:39], v[50:51] offset:8
	s_waitcnt vmcnt(0) lgkmcnt(1)
	v_cmp_eq_u32_e64 s16, 1, v10
	v_cmp_ne_u32_e32 vcc_lo, 1, v10
                                        ; implicit-def: $vgpr10_vgpr11
	s_and_saveexec_b32 s23, s16
	s_cbranch_execz .LBB2_1157
; %bb.1156:                             ;   in Loop: Header=BB2_1141 Depth=2
	flat_load_dword v10, v[38:39] offset:4 glc dlc
	s_waitcnt vmcnt(0) lgkmcnt(0)
	v_ashrrev_i32_e32 v11, 31, v10
.LBB2_1157:                             ;   in Loop: Header=BB2_1141 Depth=2
	s_or_b32 exec_lo, exec_lo, s23
	s_orn2_b32 s16, vcc_lo, exec_lo
.LBB2_1158:                             ;   in Loop: Header=BB2_1141 Depth=2
	s_or_b32 exec_lo, exec_lo, s22
	s_and_saveexec_b32 s22, s16
; %bb.1159:                             ;   in Loop: Header=BB2_1141 Depth=2
	v_mad_i64_i32 v[10:11], null, v3, v82, 0
; %bb.1160:                             ;   in Loop: Header=BB2_1141 Depth=2
	s_or_b32 exec_lo, exec_lo, s22
	v_add_co_u32 v10, vcc_lo, v22, v10
	v_and_b32_e32 v3, 0x2000, v81
	v_add_co_ci_u32_e64 v11, null, v23, v11, vcc_lo
	s_mov_b32 s16, exec_lo
	ds_write_b64 v0, v[10:11] offset:784
	v_cmpx_ne_u32_e32 0, v3
	s_cbranch_execz .LBB2_1162
; %bb.1161:                             ;   in Loop: Header=BB2_1141 Depth=2
	ds_read_b64 v[10:11], v0 offset:872
	s_waitcnt lgkmcnt(0)
	v_add_co_u32 v10, vcc_lo, v10, 1
	v_add_co_ci_u32_e64 v11, null, 0, v11, vcc_lo
	ds_write_b64 v0, v[10:11] offset:872
.LBB2_1162:                             ;   in Loop: Header=BB2_1141 Depth=2
	s_or_b32 exec_lo, exec_lo, s16
	v_mov_b32_e32 v39, v9
	v_mov_b32_e32 v38, v8
.LBB2_1163:                             ;   in Loop: Header=BB2_1141 Depth=2
	s_or_b32 exec_lo, exec_lo, s21
	s_xor_b32 s16, s19, -1
	s_and_b32 s16, exec_lo, s16
	s_or_b32 s18, s16, s18
	s_and_saveexec_b32 s16, s6
	s_cbranch_execz .LBB2_1182
; %bb.1164:                             ;   in Loop: Header=BB2_1141 Depth=2
	s_and_saveexec_b32 s19, s29
	s_xor_b32 s19, exec_lo, s19
	s_cbranch_execz .LBB2_1179
; %bb.1165:                             ;   in Loop: Header=BB2_1141 Depth=2
	s_and_saveexec_b32 s21, s11
	s_cbranch_execz .LBB2_1178
; %bb.1166:                             ;   in Loop: Header=BB2_1141 Depth=2
	s_mov_b32 s23, exec_lo
	s_mov_b32 s22, exec_lo
	v_mbcnt_lo_u32_b32 v3, s23, 0
	s_waitcnt vmcnt(0) lgkmcnt(0)
	s_waitcnt_vscnt null, 0x0
	buffer_gl1_inv
	buffer_gl0_inv
	v_cmpx_eq_u32_e32 0, v3
	s_cbranch_execz .LBB2_1168
; %bb.1167:                             ;   in Loop: Header=BB2_1141 Depth=2
	s_bcnt1_i32_b32 s23, s23
	v_mov_b32_e32 v9, v2
	v_mov_b32_e32 v8, s23
	ds_add_u64 v0, v[8:9]
	s_trap 2
.LBB2_1168:                             ;   in Loop: Header=BB2_1141 Depth=2
	s_or_b32 exec_lo, exec_lo, s22
	s_trap 2
	ds_read_b64 v[8:9], v0
	s_waitcnt lgkmcnt(0)
	buffer_gl0_inv
	v_add_co_u32 v12, vcc_lo, v12, v83
	v_add_co_ci_u32_e64 v13, null, 0, v13, vcc_lo
	s_mov_b32 s22, exec_lo
	v_cmpx_lt_u64_e64 v[8:9], v[12:13]
	s_cbranch_execz .LBB2_1177
; %bb.1169:                             ;   in Loop: Header=BB2_1141 Depth=2
	s_mov_b32 s23, 0
	s_mov_b32 s63, 0
                                        ; implicit-def: $sgpr61
                                        ; implicit-def: $sgpr62
	s_inst_prefetch 0x1
	s_branch .LBB2_1171
	.p2align	6
.LBB2_1170:                             ;   in Loop: Header=BB2_1171 Depth=3
	s_or_b32 exec_lo, exec_lo, s73
	s_and_b32 s72, exec_lo, s74
	s_or_b32 s23, s72, s23
	s_andn2_b32 s61, s61, exec_lo
	s_and_b32 s72, s62, exec_lo
	s_or_b32 s61, s61, s72
	s_andn2_b32 exec_lo, exec_lo, s23
	s_cbranch_execz .LBB2_1175
.LBB2_1171:                             ;   Parent Loop BB2_47 Depth=1
                                        ;     Parent Loop BB2_1141 Depth=2
                                        ; =>    This Inner Loop Header: Depth=3
	s_add_i32 s63, s63, 1
	s_cmpk_lg_i32 s63, 0x2710
	s_cselect_b32 s72, -1, 0
	s_and_b32 vcc_lo, exec_lo, s72
	s_cbranch_vccz .LBB2_1173
; %bb.1172:                             ;   in Loop: Header=BB2_1171 Depth=3
	s_mov_b32 s74, -1
	s_or_b32 s62, s62, exec_lo
	s_and_saveexec_b32 s73, s72
	s_cbranch_execz .LBB2_1170
	s_branch .LBB2_1174
	.p2align	6
.LBB2_1173:                             ;   in Loop: Header=BB2_1171 Depth=3
	s_trap 2
	ds_read_b64 v[8:9], v0
	s_andn2_b32 s72, s72, exec_lo
	s_mov_b32 s63, 0
	s_waitcnt lgkmcnt(0)
	flat_load_dword v3, v[8:9] glc dlc
	s_waitcnt vmcnt(0) lgkmcnt(0)
	buffer_gl1_inv
	buffer_gl0_inv
	v_cmp_eq_u32_e32 vcc_lo, 0, v3
	s_and_b32 s73, vcc_lo, exec_lo
	s_or_b32 s72, s72, s73
	s_mov_b32 s74, -1
	s_or_b32 s62, s62, exec_lo
	s_and_saveexec_b32 s73, s72
	s_cbranch_execz .LBB2_1170
.LBB2_1174:                             ;   in Loop: Header=BB2_1171 Depth=3
	s_sleep 1
	s_trap 2
	ds_read_b64 v[8:9], v0
	s_waitcnt lgkmcnt(0)
	buffer_gl0_inv
	s_andn2_b32 s62, s62, exec_lo
	v_cmp_ge_u64_e32 vcc_lo, v[8:9], v[12:13]
	s_orn2_b32 s74, vcc_lo, exec_lo
	s_branch .LBB2_1170
.LBB2_1175:                             ;   in Loop: Header=BB2_1141 Depth=2
	s_inst_prefetch 0x2
	s_or_b32 exec_lo, exec_lo, s23
	s_and_saveexec_b32 s23, s61
	s_xor_b32 s23, exec_lo, s23
	s_cbranch_execz .LBB2_1177
; %bb.1176:                             ;   in Loop: Header=BB2_1141 Depth=2
	ds_write_b32 v0, v96
	s_trap 2
.LBB2_1177:                             ;   in Loop: Header=BB2_1141 Depth=2
	s_or_b32 exec_lo, exec_lo, s22
	;;#ASMSTART
	s_wakeup
	;;#ASMEND
.LBB2_1178:                             ;   in Loop: Header=BB2_1141 Depth=2
	s_or_b32 exec_lo, exec_lo, s21
.LBB2_1179:                             ;   in Loop: Header=BB2_1141 Depth=2
	s_andn2_saveexec_b32 s19, s19
	s_cbranch_execz .LBB2_1181
; %bb.1180:                             ;   in Loop: Header=BB2_1141 Depth=2
	s_waitcnt vmcnt(0) lgkmcnt(0)
	s_waitcnt_vscnt null, 0x0
	buffer_gl1_inv
	buffer_gl0_inv
	s_barrier
.LBB2_1181:                             ;   in Loop: Header=BB2_1141 Depth=2
	s_or_b32 exec_lo, exec_lo, s19
.LBB2_1182:                             ;   in Loop: Header=BB2_1141 Depth=2
	s_or_b32 exec_lo, exec_lo, s16
	v_and_b32_e32 v3, 16, v81
	s_and_saveexec_b32 s16, s15
	s_xor_b32 s19, exec_lo, s16
	s_cbranch_execz .LBB2_1186
; %bb.1183:                             ;   in Loop: Header=BB2_1141 Depth=2
	s_trap 2
	ds_read_b32 v3, v0
	v_cmp_lt_i32_e32 vcc_lo, 0, v50
	s_waitcnt lgkmcnt(0)
	v_readfirstlane_b32 s16, v3
	v_and_b32_e32 v3, 16, v81
	s_cmp_eq_u32 s16, 0
	v_cmp_ne_u32_e64 s16, 0, v3
	s_cselect_b32 s21, -1, 0
	v_and_b32_e32 v3, 16, v81
	s_and_b32 s21, vcc_lo, s21
	s_and_b32 s21, s16, s21
	s_and_saveexec_b32 s16, s21
	s_cbranch_execz .LBB2_1185
; %bb.1184:                             ;   in Loop: Header=BB2_1141 Depth=2
	v_mov_b32_e32 v3, 1
	s_waitcnt vmcnt(0)
	s_waitcnt_vscnt null, 0x0
	buffer_gl1_inv
	buffer_gl0_inv
.LBB2_1185:                             ;   in Loop: Header=BB2_1141 Depth=2
	s_or_b32 exec_lo, exec_lo, s16
.LBB2_1186:                             ;   in Loop: Header=BB2_1141 Depth=2
	s_andn2_saveexec_b32 s16, s19
	s_cbranch_execz .LBB2_1205
; %bb.1187:                             ;   in Loop: Header=BB2_1141 Depth=2
	s_and_saveexec_b32 s19, s29
	s_xor_b32 s19, exec_lo, s19
	s_cbranch_execz .LBB2_1202
; %bb.1188:                             ;   in Loop: Header=BB2_1141 Depth=2
	s_and_saveexec_b32 s21, s11
	s_cbranch_execz .LBB2_1201
; %bb.1189:                             ;   in Loop: Header=BB2_1141 Depth=2
	s_mov_b32 s23, exec_lo
	s_mov_b32 s22, exec_lo
	v_mbcnt_lo_u32_b32 v8, s23, 0
	;;#ASMSTART
	s_waitcnt lgkmcnt(0) vmcnt(0)
	;;#ASMEND
	v_cmpx_eq_u32_e32 0, v8
	s_cbranch_execz .LBB2_1191
; %bb.1190:                             ;   in Loop: Header=BB2_1141 Depth=2
	s_bcnt1_i32_b32 s23, s23
	v_mov_b32_e32 v9, v2
	v_mov_b32_e32 v8, s23
	s_waitcnt vmcnt(0) lgkmcnt(0)
	s_waitcnt_vscnt null, 0x0
	ds_add_u64 v0, v[8:9]
	s_trap 2
.LBB2_1191:                             ;   in Loop: Header=BB2_1141 Depth=2
	s_or_b32 exec_lo, exec_lo, s22
	s_trap 2
	ds_read_b64 v[8:9], v0
	s_waitcnt vmcnt(0) lgkmcnt(0)
	buffer_gl0_inv
	v_add_co_u32 v12, vcc_lo, v12, v83
	v_add_co_ci_u32_e64 v13, null, 0, v13, vcc_lo
	s_mov_b32 s22, exec_lo
	v_cmpx_lt_u64_e64 v[8:9], v[12:13]
	s_cbranch_execz .LBB2_1200
; %bb.1192:                             ;   in Loop: Header=BB2_1141 Depth=2
	s_mov_b32 s23, 0
	s_mov_b32 s63, 0
                                        ; implicit-def: $sgpr61
                                        ; implicit-def: $sgpr62
	s_inst_prefetch 0x1
	s_branch .LBB2_1194
	.p2align	6
.LBB2_1193:                             ;   in Loop: Header=BB2_1194 Depth=3
	s_or_b32 exec_lo, exec_lo, s73
	s_and_b32 s72, exec_lo, s74
	s_or_b32 s23, s72, s23
	s_andn2_b32 s61, s61, exec_lo
	s_and_b32 s72, s62, exec_lo
	s_or_b32 s61, s61, s72
	s_andn2_b32 exec_lo, exec_lo, s23
	s_cbranch_execz .LBB2_1198
.LBB2_1194:                             ;   Parent Loop BB2_47 Depth=1
                                        ;     Parent Loop BB2_1141 Depth=2
                                        ; =>    This Inner Loop Header: Depth=3
	s_add_i32 s63, s63, 1
	s_cmpk_lg_i32 s63, 0x2710
	s_cselect_b32 s72, -1, 0
	s_and_b32 vcc_lo, exec_lo, s72
	s_cbranch_vccz .LBB2_1196
; %bb.1195:                             ;   in Loop: Header=BB2_1194 Depth=3
	s_mov_b32 s74, -1
	s_or_b32 s62, s62, exec_lo
	s_and_saveexec_b32 s73, s72
	s_cbranch_execz .LBB2_1193
	s_branch .LBB2_1197
	.p2align	6
.LBB2_1196:                             ;   in Loop: Header=BB2_1194 Depth=3
	s_trap 2
	ds_read_b64 v[8:9], v0
	s_andn2_b32 s72, s72, exec_lo
	s_mov_b32 s63, 0
	s_waitcnt lgkmcnt(0)
	s_waitcnt_vscnt null, 0x0
	flat_load_dword v8, v[8:9] glc dlc
	s_waitcnt vmcnt(0) lgkmcnt(0)
	buffer_gl1_inv
	buffer_gl0_inv
	v_cmp_eq_u32_e32 vcc_lo, 0, v8
	s_and_b32 s73, vcc_lo, exec_lo
	s_or_b32 s72, s72, s73
	s_mov_b32 s74, -1
	s_or_b32 s62, s62, exec_lo
	s_and_saveexec_b32 s73, s72
	s_cbranch_execz .LBB2_1193
.LBB2_1197:                             ;   in Loop: Header=BB2_1194 Depth=3
	s_sleep 1
	s_trap 2
	ds_read_b64 v[8:9], v0
	s_waitcnt lgkmcnt(0)
	buffer_gl0_inv
	s_andn2_b32 s62, s62, exec_lo
	v_cmp_ge_u64_e32 vcc_lo, v[8:9], v[12:13]
	s_orn2_b32 s74, vcc_lo, exec_lo
	s_branch .LBB2_1193
.LBB2_1198:                             ;   in Loop: Header=BB2_1141 Depth=2
	s_inst_prefetch 0x2
	s_or_b32 exec_lo, exec_lo, s23
	s_and_saveexec_b32 s23, s61
	s_xor_b32 s23, exec_lo, s23
	s_cbranch_execz .LBB2_1200
; %bb.1199:                             ;   in Loop: Header=BB2_1141 Depth=2
	ds_write_b32 v0, v96
	s_trap 2
.LBB2_1200:                             ;   in Loop: Header=BB2_1141 Depth=2
	s_or_b32 exec_lo, exec_lo, s22
	;;#ASMSTART
	s_wakeup
	;;#ASMEND
.LBB2_1201:                             ;   in Loop: Header=BB2_1141 Depth=2
	s_or_b32 exec_lo, exec_lo, s21
.LBB2_1202:                             ;   in Loop: Header=BB2_1141 Depth=2
	s_andn2_saveexec_b32 s19, s19
	s_cbranch_execz .LBB2_1204
; %bb.1203:                             ;   in Loop: Header=BB2_1141 Depth=2
	;;#ASMSTART
	s_waitcnt lgkmcnt(0) vmcnt(0)
	;;#ASMEND
	s_barrier
.LBB2_1204:                             ;   in Loop: Header=BB2_1141 Depth=2
	s_or_b32 exec_lo, exec_lo, s19
.LBB2_1205:                             ;   in Loop: Header=BB2_1141 Depth=2
	s_or_b32 exec_lo, exec_lo, s16
	s_mov_b32 s16, exec_lo
	v_cmpx_ne_u32_e32 0, v3
	s_cbranch_execz .LBB2_1140
; %bb.1206:                             ;   in Loop: Header=BB2_1141 Depth=2
	s_and_saveexec_b32 s19, s10
	s_cbranch_execz .LBB2_1139
; %bb.1207:                             ;   in Loop: Header=BB2_1141 Depth=2
	s_waitcnt vmcnt(0) lgkmcnt(0)
	s_waitcnt_vscnt null, 0x0
	flat_store_dword v[24:25], v96
	s_branch .LBB2_1139
.LBB2_1208:                             ;   in Loop: Header=BB2_47 Depth=1
	s_or_b32 exec_lo, exec_lo, s18
.LBB2_1209:                             ;   in Loop: Header=BB2_47 Depth=1
	s_or_b32 exec_lo, exec_lo, s17
	s_andn2_b32 vcc_lo, exec_lo, s46
	s_cbranch_vccnz .LBB2_3104
; %bb.1210:                             ;   in Loop: Header=BB2_47 Depth=1
	s_mov_b32 s18, 2
	s_branch .LBB2_1213
.LBB2_1211:                             ;   in Loop: Header=BB2_1213 Depth=2
	s_or_b32 exec_lo, exec_lo, s19
.LBB2_1212:                             ;   in Loop: Header=BB2_1213 Depth=2
	s_or_b32 exec_lo, exec_lo, s17
	s_add_i32 s18, s18, 1
	s_cmp_eq_u32 s18, s25
	s_cbranch_scc1 .LBB2_3104
.LBB2_1213:                             ;   Parent Loop BB2_47 Depth=1
                                        ; =>  This Loop Header: Depth=2
                                        ;       Child Loop BB2_1216 Depth 3
                                        ;         Child Loop BB2_1224 Depth 4
                                        ;         Child Loop BB2_1252 Depth 4
	;; [unrolled: 1-line block ×9, first 2 shown]
                                        ;       Child Loop BB2_3032 Depth 3
                                        ;         Child Loop BB2_3038 Depth 4
                                        ;         Child Loop BB2_3066 Depth 4
	;; [unrolled: 1-line block ×3, first 2 shown]
	s_sub_i32 s16, s42, s18
	v_mov_b32_e32 v47, 0
	s_cmp_ge_i32 s16, s25
	s_mov_b32 s21, 0
	s_cselect_b32 s17, s25, 0
	s_sub_i32 s16, s16, s17
	s_ashr_i32 s17, s16, 31
	v_mul_lo_u32 v3, v37, s16
	v_mad_u64_u32 v[52:53], null, v36, s16, 0
	v_mul_lo_u32 v8, v36, s17
	v_add3_u32 v53, v53, v8, v3
	v_sub_co_u32 v8, vcc_lo, v48, v52
	v_sub_co_ci_u32_e64 v9, null, v49, v53, vcc_lo
	v_cmp_lt_i64_e32 vcc_lo, v[36:37], v[8:9]
	v_cndmask_b32_e32 v8, v8, v36, vcc_lo
	v_max_i32_e32 v46, 0, v8
	v_cmp_lt_i32_e32 vcc_lo, 0, v8
	v_add_nc_u32_e32 v3, 31, v46
	s_and_b32 s16, s57, vcc_lo
	v_lshrrev_b32_e32 v3, 1, v3
	v_and_b32_e32 v9, 0x3ffffff0, v3
	v_mov_b32_e32 v3, 0
	v_max_i32_e32 v50, s45, v9
	s_and_saveexec_b32 s19, s16
	s_cbranch_execz .LBB2_3029
; %bb.1214:                             ;   in Loop: Header=BB2_1213 Depth=2
	v_mov_b32_e32 v47, 0
	s_mov_b32 s23, 1
	s_mov_b32 s22, -1
	s_branch .LBB2_1216
.LBB2_1215:                             ;   in Loop: Header=BB2_1216 Depth=3
	s_or_b32 exec_lo, exec_lo, s16
	v_add_nc_u32_e32 v47, v50, v47
	s_xor_b32 s16, s22, -1
	v_mov_b32_e32 v3, s23
	s_mov_b32 s22, 0
	s_mov_b32 s23, 2
	v_cmp_ge_i32_e32 vcc_lo, v47, v46
	s_or_b32 s16, s16, vcc_lo
	s_and_b32 s16, exec_lo, s16
	s_or_b32 s21, s16, s21
	s_andn2_b32 exec_lo, exec_lo, s21
	s_cbranch_execz .LBB2_3028
.LBB2_1216:                             ;   Parent Loop BB2_47 Depth=1
                                        ;     Parent Loop BB2_1213 Depth=2
                                        ; =>    This Loop Header: Depth=3
                                        ;         Child Loop BB2_1224 Depth 4
                                        ;         Child Loop BB2_1252 Depth 4
                                        ;         Child Loop BB2_1271 Depth 4
                                        ;         Child Loop BB2_1296 Depth 4
                                        ;         Child Loop BB2_1949 Depth 4
                                        ;         Child Loop BB2_2603 Depth 4
                                        ;         Child Loop BB2_2936 Depth 4
                                        ;         Child Loop BB2_2990 Depth 4
                                        ;         Child Loop BB2_3013 Depth 4
	s_and_saveexec_b32 s16, s4
	s_cbranch_execz .LBB2_1218
; %bb.1217:                             ;   in Loop: Header=BB2_1216 Depth=3
	s_trap 2
	ds_read_b64 v[8:9], v0
	s_waitcnt lgkmcnt(0)
	v_add_co_u32 v3, vcc_lo, v8, v44
	v_add_co_ci_u32_e64 v8, null, v9, v45, vcc_lo
	v_ashrrev_i32_e32 v9, 31, v47
	v_add_co_u32 v3, vcc_lo, v3, v52
	v_add_co_ci_u32_e64 v10, null, v8, v53, vcc_lo
	v_add_co_u32 v8, vcc_lo, v3, v47
	v_add_co_ci_u32_e64 v9, null, v10, v9, vcc_lo
	v_mov_b32_e32 v3, v2
	ds_write_b64 v0, v[8:9]
	ds_write_b64 v0, v[2:3]
.LBB2_1218:                             ;   in Loop: Header=BB2_1216 Depth=3
	s_or_b32 exec_lo, exec_lo, s16
	v_sub_nc_u32_e32 v3, v46, v47
	v_and_b32_e32 v8, 12, v81
	s_mov_b32 s17, exec_lo
	v_min_i32_e32 v50, v50, v3
	v_cmpx_ne_u32_e32 0, v8
	s_cbranch_execz .LBB2_1244
; %bb.1219:                             ;   in Loop: Header=BB2_1216 Depth=3
	v_and_b32_e32 v3, 8, v81
	s_mov_b32 s61, exec_lo
	s_waitcnt vmcnt(0) lgkmcnt(1)
	v_add_co_u32 v10, vcc_lo, v26, v3
	v_add_co_ci_u32_e64 v11, null, 0, v27, vcc_lo
	v_add_co_u32 v8, vcc_lo, v38, 2
	v_add_co_ci_u32_e64 v9, null, 0, v39, vcc_lo
	v_cmpx_lt_u64_e64 v[10:11], v[8:9]
	s_cbranch_execz .LBB2_1231
; %bb.1220:                             ;   in Loop: Header=BB2_1216 Depth=3
	v_and_b32_e32 v10, 64, v81
	s_mov_b32 s62, 0
	s_mov_b32 s74, 0
                                        ; implicit-def: $sgpr63
                                        ; implicit-def: $sgpr72
                                        ; implicit-def: $sgpr73
	v_cmp_eq_u32_e32 vcc_lo, 0, v10
	s_branch .LBB2_1224
.LBB2_1221:                             ;   in Loop: Header=BB2_1224 Depth=4
	s_waitcnt vmcnt(0) lgkmcnt(0)
	v_add_co_u32 v54, s16, v26, v3
	v_add_co_ci_u32_e64 v55, null, 0, v27, s16
	s_or_b32 s77, s77, exec_lo
	v_cmp_ge_u64_e64 s16, v[54:55], v[8:9]
	s_orn2_b32 s76, s16, exec_lo
.LBB2_1222:                             ;   in Loop: Header=BB2_1224 Depth=4
	s_or_b32 exec_lo, exec_lo, s79
	s_andn2_b32 s16, s73, exec_lo
	s_and_b32 s73, s77, exec_lo
	s_andn2_b32 s72, s72, exec_lo
	s_and_b32 s76, s76, exec_lo
	s_or_b32 s73, s16, s73
	s_or_b32 s72, s72, s76
.LBB2_1223:                             ;   in Loop: Header=BB2_1224 Depth=4
	s_or_b32 exec_lo, exec_lo, s75
	s_and_b32 s16, exec_lo, s72
	s_or_b32 s62, s16, s62
	s_andn2_b32 s16, s63, exec_lo
	s_and_b32 s63, s73, exec_lo
	s_or_b32 s63, s16, s63
	s_andn2_b32 exec_lo, exec_lo, s62
	s_cbranch_execz .LBB2_1228
.LBB2_1224:                             ;   Parent Loop BB2_47 Depth=1
                                        ;     Parent Loop BB2_1213 Depth=2
                                        ;       Parent Loop BB2_1216 Depth=3
                                        ; =>      This Inner Loop Header: Depth=4
	s_sleep 1
	s_waitcnt vmcnt(0) lgkmcnt(0)
	flat_load_dwordx2 v[26:27], v[20:21] glc dlc
	s_or_b32 s73, s73, exec_lo
	s_or_b32 s72, s72, exec_lo
                                        ; implicit-def: $vgpr10
	s_and_saveexec_b32 s75, vcc_lo
	s_cbranch_execz .LBB2_1223
; %bb.1225:                             ;   in Loop: Header=BB2_1224 Depth=4
	s_cmpk_lt_i32 s74, 0x270f
	s_mov_b32 s76, -1
	s_cselect_b32 s78, -1, 0
	s_cmpk_gt_i32 s74, 0x270e
	s_cbranch_scc0 .LBB2_1227
; %bb.1226:                             ;   in Loop: Header=BB2_1224 Depth=4
	s_trap 2
	ds_read_b64 v[10:11], v0
	s_andn2_b32 s74, s78, exec_lo
	s_mov_b32 s77, 0
	s_waitcnt vmcnt(0) lgkmcnt(0)
	s_waitcnt_vscnt null, 0x0
	flat_load_dword v10, v[10:11] glc dlc
	s_waitcnt vmcnt(0) lgkmcnt(0)
	buffer_gl1_inv
	buffer_gl0_inv
	v_cmp_eq_u32_e64 s16, 0, v10
	s_and_b32 s16, s16, exec_lo
	s_or_b32 s78, s74, s16
	s_mov_b32 s74, 0
	s_and_saveexec_b32 s79, s78
	s_cbranch_execz .LBB2_1222
	s_branch .LBB2_1221
.LBB2_1227:                             ;   in Loop: Header=BB2_1224 Depth=4
	s_add_i32 s74, s74, 1
	s_mov_b32 s77, -1
                                        ; implicit-def: $vgpr10
	s_and_saveexec_b32 s79, s78
	s_cbranch_execz .LBB2_1222
	s_branch .LBB2_1221
.LBB2_1228:                             ;   in Loop: Header=BB2_1216 Depth=3
	s_or_b32 exec_lo, exec_lo, s62
	s_xor_b32 s16, s63, -1
	s_and_saveexec_b32 s62, s16
	s_xor_b32 s16, exec_lo, s62
	s_cbranch_execz .LBB2_1230
; %bb.1229:                             ;   in Loop: Header=BB2_1216 Depth=3
	v_or_b32_e32 v81, 64, v81
	s_waitcnt vmcnt(0) lgkmcnt(0)
	s_waitcnt_vscnt null, 0x0
	ds_write_b32 v0, v10
	s_trap 2
.LBB2_1230:                             ;   in Loop: Header=BB2_1216 Depth=3
	s_or_b32 exec_lo, exec_lo, s16
.LBB2_1231:                             ;   in Loop: Header=BB2_1216 Depth=3
	s_or_b32 exec_lo, exec_lo, s61
	v_and_b32_e32 v10, 0x108, v81
	;;#ASMSTART
	s_wakeup
	;;#ASMEND
	v_cmp_ne_u32_e32 vcc_lo, 0x108, v10
                                        ; implicit-def: $vgpr10_vgpr11
	s_and_saveexec_b32 s16, vcc_lo
	s_xor_b32 s16, exec_lo, s16
; %bb.1232:                             ;   in Loop: Header=BB2_1216 Depth=3
	v_and_b32_e32 v10, 7, v38
	v_mov_b32_e32 v11, v2
                                        ; implicit-def: $vgpr38_vgpr39
; %bb.1233:                             ;   in Loop: Header=BB2_1216 Depth=3
	s_andn2_saveexec_b32 s16, s16
	s_cbranch_execz .LBB2_1235
; %bb.1234:                             ;   in Loop: Header=BB2_1216 Depth=3
	v_and_b32_e32 v10, 7, v38
	v_ashrrev_i32_e32 v51, 31, v50
	v_mov_b32_e32 v11, v2
	v_mad_u64_u32 v[38:39], null, v10, 24, v[6:7]
	flat_store_dwordx2 v[38:39], v[50:51] offset:8
.LBB2_1235:                             ;   in Loop: Header=BB2_1216 Depth=3
	s_or_b32 exec_lo, exec_lo, s16
	v_and_b32_e32 v38, 0x100, v81
	s_mov_b32 s16, -1
	v_cmp_ne_u32_e32 vcc_lo, 0, v38
                                        ; implicit-def: $vgpr38_vgpr39
	s_and_saveexec_b32 s61, vcc_lo
	s_cbranch_execz .LBB2_1239
; %bb.1236:                             ;   in Loop: Header=BB2_1216 Depth=3
	v_mad_u64_u32 v[54:55], null, v10, 24, v[6:7]
	v_mov_b32_e32 v38, v55
	v_mad_u64_u32 v[38:39], null, v11, 24, v[38:39]
	v_mov_b32_e32 v55, v38
	flat_load_dword v38, v[54:55]
	s_waitcnt vmcnt(0) lgkmcnt(0)
	v_cmp_eq_u32_e64 s16, 1, v38
	v_cmp_ne_u32_e32 vcc_lo, 1, v38
                                        ; implicit-def: $vgpr38_vgpr39
	s_and_saveexec_b32 s62, s16
	s_cbranch_execz .LBB2_1238
; %bb.1237:                             ;   in Loop: Header=BB2_1216 Depth=3
	flat_load_dword v38, v[54:55] offset:4 glc dlc
	s_waitcnt vmcnt(0) lgkmcnt(0)
	v_ashrrev_i32_e32 v39, 31, v38
.LBB2_1238:                             ;   in Loop: Header=BB2_1216 Depth=3
	s_or_b32 exec_lo, exec_lo, s62
	s_orn2_b32 s16, vcc_lo, exec_lo
.LBB2_1239:                             ;   in Loop: Header=BB2_1216 Depth=3
	s_or_b32 exec_lo, exec_lo, s61
	s_and_saveexec_b32 s61, s16
; %bb.1240:                             ;   in Loop: Header=BB2_1216 Depth=3
	v_mul_lo_u32 v11, v11, v82
	v_mul_lo_u32 v51, v10, v30
	v_mad_u64_u32 v[38:39], null, v10, v82, 0
	v_add3_u32 v39, v39, v51, v11
; %bb.1241:                             ;   in Loop: Header=BB2_1216 Depth=3
	s_or_b32 exec_lo, exec_lo, s61
	v_cmp_eq_u32_e32 vcc_lo, 0, v3
	v_and_b32_e32 v51, 0x2000, v81
	s_mov_b32 s16, exec_lo
	v_cndmask_b32_e32 v3, 0xc8, v102, vcc_lo
	v_add_co_u32 v10, vcc_lo, v22, v38
	v_add_co_ci_u32_e64 v11, null, v23, v39, vcc_lo
	v_add_nc_u32_e32 v3, v0, v3
	ds_write_b64 v3, v[10:11] offset:584
	v_cmpx_ne_u32_e32 0, v51
	s_cbranch_execz .LBB2_1243
; %bb.1242:                             ;   in Loop: Header=BB2_1216 Depth=3
	ds_read_b64 v[10:11], v0 offset:872
	s_waitcnt lgkmcnt(0)
	v_add_co_u32 v10, vcc_lo, v10, 1
	v_add_co_ci_u32_e64 v11, null, 0, v11, vcc_lo
	ds_write_b64 v0, v[10:11] offset:872
.LBB2_1243:                             ;   in Loop: Header=BB2_1216 Depth=3
	s_or_b32 exec_lo, exec_lo, s16
	v_mov_b32_e32 v39, v9
	v_mov_b32_e32 v38, v8
.LBB2_1244:                             ;   in Loop: Header=BB2_1216 Depth=3
	s_or_b32 exec_lo, exec_lo, s17
	s_and_saveexec_b32 s16, s6
	s_cbranch_execz .LBB2_1263
; %bb.1245:                             ;   in Loop: Header=BB2_1216 Depth=3
	s_and_saveexec_b32 s17, s29
	s_xor_b32 s17, exec_lo, s17
	s_cbranch_execz .LBB2_1260
; %bb.1246:                             ;   in Loop: Header=BB2_1216 Depth=3
	s_and_saveexec_b32 s61, s11
	s_cbranch_execz .LBB2_1259
; %bb.1247:                             ;   in Loop: Header=BB2_1216 Depth=3
	s_mov_b32 s63, exec_lo
	s_mov_b32 s62, exec_lo
	v_mbcnt_lo_u32_b32 v3, s63, 0
	s_waitcnt vmcnt(0) lgkmcnt(0)
	s_waitcnt_vscnt null, 0x0
	buffer_gl1_inv
	buffer_gl0_inv
	v_cmpx_eq_u32_e32 0, v3
	s_cbranch_execz .LBB2_1249
; %bb.1248:                             ;   in Loop: Header=BB2_1216 Depth=3
	s_bcnt1_i32_b32 s63, s63
	v_mov_b32_e32 v9, v2
	v_mov_b32_e32 v8, s63
	ds_add_u64 v0, v[8:9]
	s_trap 2
.LBB2_1249:                             ;   in Loop: Header=BB2_1216 Depth=3
	s_or_b32 exec_lo, exec_lo, s62
	s_trap 2
	ds_read_b64 v[8:9], v0
	s_waitcnt lgkmcnt(0)
	buffer_gl0_inv
	v_add_co_u32 v12, vcc_lo, v12, v83
	v_add_co_ci_u32_e64 v13, null, 0, v13, vcc_lo
	s_mov_b32 s62, exec_lo
	v_cmpx_lt_u64_e64 v[8:9], v[12:13]
	s_cbranch_execz .LBB2_1258
; %bb.1250:                             ;   in Loop: Header=BB2_1216 Depth=3
	s_mov_b32 s63, 0
	s_mov_b32 s74, 0
                                        ; implicit-def: $sgpr72
                                        ; implicit-def: $sgpr73
	s_inst_prefetch 0x1
	s_branch .LBB2_1252
	.p2align	6
.LBB2_1251:                             ;   in Loop: Header=BB2_1252 Depth=4
	s_or_b32 exec_lo, exec_lo, s76
	s_and_b32 s75, exec_lo, s77
	s_or_b32 s63, s75, s63
	s_andn2_b32 s72, s72, exec_lo
	s_and_b32 s75, s73, exec_lo
	s_or_b32 s72, s72, s75
	s_andn2_b32 exec_lo, exec_lo, s63
	s_cbranch_execz .LBB2_1256
.LBB2_1252:                             ;   Parent Loop BB2_47 Depth=1
                                        ;     Parent Loop BB2_1213 Depth=2
                                        ;       Parent Loop BB2_1216 Depth=3
                                        ; =>      This Inner Loop Header: Depth=4
	s_add_i32 s74, s74, 1
	s_cmpk_lg_i32 s74, 0x2710
	s_cselect_b32 s75, -1, 0
	s_and_b32 vcc_lo, exec_lo, s75
	s_cbranch_vccz .LBB2_1254
; %bb.1253:                             ;   in Loop: Header=BB2_1252 Depth=4
	s_mov_b32 s77, -1
	s_or_b32 s73, s73, exec_lo
	s_and_saveexec_b32 s76, s75
	s_cbranch_execz .LBB2_1251
	s_branch .LBB2_1255
	.p2align	6
.LBB2_1254:                             ;   in Loop: Header=BB2_1252 Depth=4
	s_trap 2
	ds_read_b64 v[8:9], v0
	s_andn2_b32 s75, s75, exec_lo
	s_mov_b32 s74, 0
	s_waitcnt lgkmcnt(0)
	flat_load_dword v3, v[8:9] glc dlc
	s_waitcnt vmcnt(0) lgkmcnt(0)
	buffer_gl1_inv
	buffer_gl0_inv
	v_cmp_eq_u32_e32 vcc_lo, 0, v3
	s_and_b32 s76, vcc_lo, exec_lo
	s_or_b32 s75, s75, s76
	s_mov_b32 s77, -1
	s_or_b32 s73, s73, exec_lo
	s_and_saveexec_b32 s76, s75
	s_cbranch_execz .LBB2_1251
.LBB2_1255:                             ;   in Loop: Header=BB2_1252 Depth=4
	s_sleep 1
	s_trap 2
	ds_read_b64 v[8:9], v0
	s_waitcnt lgkmcnt(0)
	buffer_gl0_inv
	s_andn2_b32 s73, s73, exec_lo
	v_cmp_ge_u64_e32 vcc_lo, v[8:9], v[12:13]
	s_orn2_b32 s77, vcc_lo, exec_lo
	s_branch .LBB2_1251
.LBB2_1256:                             ;   in Loop: Header=BB2_1216 Depth=3
	s_inst_prefetch 0x2
	s_or_b32 exec_lo, exec_lo, s63
	s_and_saveexec_b32 s63, s72
	s_xor_b32 s63, exec_lo, s63
	s_cbranch_execz .LBB2_1258
; %bb.1257:                             ;   in Loop: Header=BB2_1216 Depth=3
	ds_write_b32 v0, v96
	s_trap 2
.LBB2_1258:                             ;   in Loop: Header=BB2_1216 Depth=3
	s_or_b32 exec_lo, exec_lo, s62
	;;#ASMSTART
	s_wakeup
	;;#ASMEND
.LBB2_1259:                             ;   in Loop: Header=BB2_1216 Depth=3
	s_or_b32 exec_lo, exec_lo, s61
.LBB2_1260:                             ;   in Loop: Header=BB2_1216 Depth=3
	s_andn2_saveexec_b32 s17, s17
	s_cbranch_execz .LBB2_1262
; %bb.1261:                             ;   in Loop: Header=BB2_1216 Depth=3
	s_waitcnt vmcnt(0) lgkmcnt(0)
	s_waitcnt_vscnt null, 0x0
	buffer_gl1_inv
	buffer_gl0_inv
	s_barrier
.LBB2_1262:                             ;   in Loop: Header=BB2_1216 Depth=3
	s_or_b32 exec_lo, exec_lo, s17
.LBB2_1263:                             ;   in Loop: Header=BB2_1216 Depth=3
	s_or_b32 exec_lo, exec_lo, s16
	s_trap 2
	ds_read_b32 v3, v0
	v_and_b32_e32 v8, 0x4000, v81
	s_xor_b32 s16, s5, -1
	v_cmp_ne_u32_e32 vcc_lo, 0, v8
	s_and_b32 s17, s16, vcc_lo
	s_and_saveexec_b32 s16, s17
	s_cbranch_execz .LBB2_1282
; %bb.1264:                             ;   in Loop: Header=BB2_1216 Depth=3
	s_and_saveexec_b32 s17, s29
	s_xor_b32 s17, exec_lo, s17
	s_cbranch_execz .LBB2_1279
; %bb.1265:                             ;   in Loop: Header=BB2_1216 Depth=3
	s_and_saveexec_b32 s61, s11
	s_cbranch_execz .LBB2_1278
; %bb.1266:                             ;   in Loop: Header=BB2_1216 Depth=3
	s_mov_b32 s63, exec_lo
	s_mov_b32 s62, exec_lo
	v_mbcnt_lo_u32_b32 v8, s63, 0
	s_waitcnt vmcnt(0) lgkmcnt(0)
	s_waitcnt_vscnt null, 0x0
	buffer_gl1_inv
	buffer_gl0_inv
	v_cmpx_eq_u32_e32 0, v8
	s_cbranch_execz .LBB2_1268
; %bb.1267:                             ;   in Loop: Header=BB2_1216 Depth=3
	s_bcnt1_i32_b32 s63, s63
	v_mov_b32_e32 v9, v2
	v_mov_b32_e32 v8, s63
	ds_add_u64 v0, v[8:9]
	s_trap 2
.LBB2_1268:                             ;   in Loop: Header=BB2_1216 Depth=3
	s_or_b32 exec_lo, exec_lo, s62
	s_trap 2
	ds_read_b64 v[8:9], v0
	s_waitcnt lgkmcnt(0)
	buffer_gl0_inv
	v_add_co_u32 v12, vcc_lo, v12, v83
	v_add_co_ci_u32_e64 v13, null, 0, v13, vcc_lo
	s_mov_b32 s62, exec_lo
	v_cmpx_lt_u64_e64 v[8:9], v[12:13]
	s_cbranch_execz .LBB2_1277
; %bb.1269:                             ;   in Loop: Header=BB2_1216 Depth=3
	s_mov_b32 s63, 0
	s_mov_b32 s74, 0
                                        ; implicit-def: $sgpr72
                                        ; implicit-def: $sgpr73
	s_inst_prefetch 0x1
	s_branch .LBB2_1271
	.p2align	6
.LBB2_1270:                             ;   in Loop: Header=BB2_1271 Depth=4
	s_or_b32 exec_lo, exec_lo, s76
	s_and_b32 s75, exec_lo, s77
	s_or_b32 s63, s75, s63
	s_andn2_b32 s72, s72, exec_lo
	s_and_b32 s75, s73, exec_lo
	s_or_b32 s72, s72, s75
	s_andn2_b32 exec_lo, exec_lo, s63
	s_cbranch_execz .LBB2_1275
.LBB2_1271:                             ;   Parent Loop BB2_47 Depth=1
                                        ;     Parent Loop BB2_1213 Depth=2
                                        ;       Parent Loop BB2_1216 Depth=3
                                        ; =>      This Inner Loop Header: Depth=4
	s_add_i32 s74, s74, 1
	s_cmpk_lg_i32 s74, 0x2710
	s_cselect_b32 s75, -1, 0
	s_and_b32 vcc_lo, exec_lo, s75
	s_cbranch_vccz .LBB2_1273
; %bb.1272:                             ;   in Loop: Header=BB2_1271 Depth=4
	s_mov_b32 s77, -1
	s_or_b32 s73, s73, exec_lo
	s_and_saveexec_b32 s76, s75
	s_cbranch_execz .LBB2_1270
	s_branch .LBB2_1274
	.p2align	6
.LBB2_1273:                             ;   in Loop: Header=BB2_1271 Depth=4
	s_trap 2
	ds_read_b64 v[8:9], v0
	s_andn2_b32 s75, s75, exec_lo
	s_mov_b32 s74, 0
	s_waitcnt lgkmcnt(0)
	flat_load_dword v8, v[8:9] glc dlc
	s_waitcnt vmcnt(0) lgkmcnt(0)
	buffer_gl1_inv
	buffer_gl0_inv
	v_cmp_eq_u32_e32 vcc_lo, 0, v8
	s_and_b32 s76, vcc_lo, exec_lo
	s_or_b32 s75, s75, s76
	s_mov_b32 s77, -1
	s_or_b32 s73, s73, exec_lo
	s_and_saveexec_b32 s76, s75
	s_cbranch_execz .LBB2_1270
.LBB2_1274:                             ;   in Loop: Header=BB2_1271 Depth=4
	s_sleep 1
	s_trap 2
	ds_read_b64 v[8:9], v0
	s_waitcnt lgkmcnt(0)
	buffer_gl0_inv
	s_andn2_b32 s73, s73, exec_lo
	v_cmp_ge_u64_e32 vcc_lo, v[8:9], v[12:13]
	s_orn2_b32 s77, vcc_lo, exec_lo
	s_branch .LBB2_1270
.LBB2_1275:                             ;   in Loop: Header=BB2_1216 Depth=3
	s_inst_prefetch 0x2
	s_or_b32 exec_lo, exec_lo, s63
	s_and_saveexec_b32 s63, s72
	s_xor_b32 s63, exec_lo, s63
	s_cbranch_execz .LBB2_1277
; %bb.1276:                             ;   in Loop: Header=BB2_1216 Depth=3
	ds_write_b32 v0, v96
	s_trap 2
.LBB2_1277:                             ;   in Loop: Header=BB2_1216 Depth=3
	s_or_b32 exec_lo, exec_lo, s62
	;;#ASMSTART
	s_wakeup
	;;#ASMEND
.LBB2_1278:                             ;   in Loop: Header=BB2_1216 Depth=3
	s_or_b32 exec_lo, exec_lo, s61
.LBB2_1279:                             ;   in Loop: Header=BB2_1216 Depth=3
	s_andn2_saveexec_b32 s17, s17
	s_cbranch_execz .LBB2_1281
; %bb.1280:                             ;   in Loop: Header=BB2_1216 Depth=3
	s_waitcnt vmcnt(0) lgkmcnt(0)
	s_waitcnt_vscnt null, 0x0
	buffer_gl1_inv
	buffer_gl0_inv
	s_barrier
.LBB2_1281:                             ;   in Loop: Header=BB2_1216 Depth=3
	s_or_b32 exec_lo, exec_lo, s17
.LBB2_1282:                             ;   in Loop: Header=BB2_1216 Depth=3
	s_or_b32 exec_lo, exec_lo, s16
	s_trap 2
	ds_read_b64 v[54:55], v0
	s_waitcnt lgkmcnt(0)
	v_cmp_eq_u64_e32 vcc_lo, 0, v[54:55]
	s_cbranch_vccnz .LBB2_1290
; %bb.1283:                             ;   in Loop: Header=BB2_1216 Depth=3
	s_trap 2
	ds_read_b64 v[64:65], v0
	s_waitcnt lgkmcnt(0)
	v_cmp_eq_u64_e32 vcc_lo, 0, v[64:65]
	s_cbranch_vccnz .LBB2_1290
; %bb.1284:                             ;   in Loop: Header=BB2_1216 Depth=3
	s_mov_b32 s16, -1
	s_and_saveexec_b32 s17, s14
	s_cbranch_execz .LBB2_1286
; %bb.1285:                             ;   in Loop: Header=BB2_1216 Depth=3
	ds_read_b32 v8, v0 offset:720
	s_waitcnt lgkmcnt(0)
	v_and_b32_e32 v8, 15, v8
	v_cmp_eq_u32_e32 vcc_lo, 0, v8
	s_orn2_b32 s16, vcc_lo, exec_lo
.LBB2_1286:                             ;   in Loop: Header=BB2_1216 Depth=3
	s_or_b32 exec_lo, exec_lo, s17
	s_and_saveexec_b32 s17, s13
	s_cbranch_execz .LBB2_1288
; %bb.1287:                             ;   in Loop: Header=BB2_1216 Depth=3
	ds_read_b32 v8, v0 offset:784
	s_waitcnt lgkmcnt(0)
	v_and_b32_e32 v8, 15, v8
	v_cmp_eq_u32_e32 vcc_lo, 0, v8
	s_and_b32 s61, s16, vcc_lo
	s_andn2_b32 s16, s16, exec_lo
	s_and_b32 s61, s61, exec_lo
	s_or_b32 s16, s16, s61
.LBB2_1288:                             ;   in Loop: Header=BB2_1216 Depth=3
	s_or_b32 exec_lo, exec_lo, s17
	v_cmp_eq_u32_e32 vcc_lo, 0, v3
	s_xor_b32 s16, s16, -1
	v_mov_b32_e32 v66, 0
	v_cndmask_b32_e64 v8, 0, 1, s16
	v_mov_b32_e32 v68, v0
	v_cndmask_b32_e32 v3, 0, v50, vcc_lo
	s_mov_b32 s62, -1
	v_cmp_ne_u32_e32 vcc_lo, 0, v8
	v_mov_b32_e32 v67, v3
	s_cbranch_vccz .LBB2_1291
; %bb.1289:                             ;   in Loop: Header=BB2_1216 Depth=3
	s_and_saveexec_b32 s17, s62
	s_cbranch_execnz .LBB2_2598
	s_branch .LBB2_2982
.LBB2_1290:                             ;   in Loop: Header=BB2_1216 Depth=3
	s_mov_b32 s16, 0
	s_and_saveexec_b32 s17, s6
	s_cbranch_execnz .LBB2_2983
	s_branch .LBB2_3001
.LBB2_1291:                             ;   in Loop: Header=BB2_1216 Depth=3
	v_ashrrev_i32_e32 v8, 31, v3
	v_sub_nc_u32_e32 v56, v3, v87
	s_mov_b32 s61, exec_lo
	v_lshrrev_b32_e32 v8, 23, v8
	v_add_nc_u32_e32 v8, v3, v8
	v_and_b32_e32 v51, 0xfffffe00, v8
	v_ashrrev_i32_e32 v8, 9, v8
	v_sub_nc_u32_e32 v57, v3, v51
	v_sub_nc_u32_e32 v8, v8, v85
	v_cmp_lt_i32_e64 s16, 15, v57
	v_add_co_ci_u32_e64 v58, null, 0, v8, s16
	v_cmpx_lt_i32_e32 15, v56
	s_cbranch_execz .LBB2_1943
; %bb.1292:                             ;   in Loop: Header=BB2_1216 Depth=3
	s_trap 2
	ds_read_b64 v[8:9], v0
	v_add_co_u32 v66, vcc_lo, v54, v87
	v_add_co_ci_u32_e64 v67, null, 0, v55, vcc_lo
	v_add_co_u32 v68, vcc_lo, v64, v87
	v_add_co_ci_u32_e64 v69, null, 0, v65, vcc_lo
	s_waitcnt lgkmcnt(0)
	v_readfirstlane_b32 s17, v8
	v_add_co_u32 v70, vcc_lo, v8, v87
	v_add_co_ci_u32_e64 v71, null, 0, v9, vcc_lo
	s_and_b32 s62, s17, 3
	s_bfe_u32 s73, s17, 0x50002
	s_flbit_i32_b32 s63, s62
	s_min_u32 s63, s63, 32
	s_sub_i32 s72, s63, 29
	s_sub_i32 s63, 30, s63
	s_lshl_b32 s72, s17, s72
	s_and_b32 s72, s72, 3
	s_cmp_eq_u32 s73, 0
	s_cselect_b32 s63, s63, s73
	s_cselect_b32 s62, s72, s62
	s_lshl_b32 s72, s17, 24
	s_lshl_b32 s63, s63, 23
	s_and_b32 s72, s72, 0x80000000
	s_add_i32 s63, s63, 0x37800000
	s_lshl_b32 s73, s62, 21
	s_or_b32 s63, s72, s63
	s_mov_b32 s62, 0
	s_or_b32 s63, s63, s73
	s_and_b32 s72, s17, 0xff
	s_branch .LBB2_1296
.LBB2_1293:                             ;   in Loop: Header=BB2_1296 Depth=4
	s_or_b32 exec_lo, exec_lo, s17
	v_lshrrev_b32_e32 v73, 21, v73
	v_min_i32_e32 v88, 31, v63
	v_cmp_gt_i32_e32 vcc_lo, 32, v63
	v_and_b32_sdwa v11, v11, v98 dst_sel:DWORD dst_unused:UNUSED_PAD src0_sel:BYTE_3 src1_sel:DWORD
	v_lshlrev_b32_e32 v88, 2, v88
	v_cndmask_b32_e32 v73, 3, v73, vcc_lo
	v_and_b32_e32 v88, 0xfc, v88
	v_and_b32_e32 v90, 3, v73
	v_or_b32_e32 v63, v63, v73
	v_or3_b32 v11, v11, v88, v90
	v_cmp_ne_u32_e32 vcc_lo, 0, v63
	v_lshlrev_b32_e32 v11, 8, v11
	v_cndmask_b32_e32 v63, 0, v11, vcc_lo
.LBB2_1294:                             ;   in Loop: Header=BB2_1296 Depth=4
	s_or_b32 exec_lo, exec_lo, s74
.LBB2_1295:                             ;   in Loop: Header=BB2_1296 Depth=4
	s_or_b32 exec_lo, exec_lo, s73
	v_or_b32_sdwa v9, v9, v77 dst_sel:WORD_1 dst_unused:UNUSED_PAD src0_sel:DWORD src1_sel:DWORD
	v_or_b32_sdwa v8, v8, v75 dst_sel:WORD_1 dst_unused:UNUSED_PAD src0_sel:DWORD src1_sel:DWORD
	;; [unrolled: 1-line block ×4, first 2 shown]
	v_sub_nc_u32_e32 v56, v56, v114
	v_or3_b32 v9, v89, v79, v9
	v_or3_b32 v8, v62, v59, v8
	;; [unrolled: 1-line block ×4, first 2 shown]
	v_add_co_u32 v66, vcc_lo, v66, v114
	v_add_co_ci_u32_e64 v67, null, 0, v67, vcc_lo
	v_add_co_u32 v70, vcc_lo, v70, v114
	global_store_dwordx4 v[68:69], v[8:11], off glc slc
	v_add_co_ci_u32_e64 v71, null, 0, v71, vcc_lo
	v_cmp_gt_i32_e32 vcc_lo, 16, v56
	v_add_co_u32 v68, s17, v68, v114
	v_add_co_ci_u32_e64 v69, null, 0, v69, s17
	v_sub_nc_u32_e32 v58, v58, v83
	s_or_b32 s62, vcc_lo, s62
	s_andn2_b32 exec_lo, exec_lo, s62
	s_cbranch_execz .LBB2_1942
.LBB2_1296:                             ;   Parent Loop BB2_47 Depth=1
                                        ;     Parent Loop BB2_1213 Depth=2
                                        ;       Parent Loop BB2_1216 Depth=3
                                        ; =>      This Inner Loop Header: Depth=4
	s_cmpk_lt_i32 s72, 0x80
	s_cbranch_scc1 .LBB2_1300
; %bb.1297:                             ;   in Loop: Header=BB2_1296 Depth=4
	s_and_b32 s17, 0xffff, s72
	s_cmpk_eq_i32 s17, 0x80
	s_mov_b32 s17, -1
	s_cbranch_scc0 .LBB2_1299
; %bb.1298:                             ;   in Loop: Header=BB2_1296 Depth=4
	s_mov_b32 s17, 0
.LBB2_1299:                             ;   in Loop: Header=BB2_1296 Depth=4
	s_mov_b32 s73, 0x7f800001
	s_branch .LBB2_1302
.LBB2_1300:                             ;   in Loop: Header=BB2_1296 Depth=4
	s_mov_b32 s17, 0
	s_mov_b32 s73, 0x7f800001
	s_cbranch_execz .LBB2_1302
; %bb.1301:                             ;   in Loop: Header=BB2_1296 Depth=4
	s_and_b32 s17, 0xffff, s72
	s_mov_b32 s73, 0
	s_cmp_lg_u32 s17, 0
	s_cselect_b32 s17, -1, 0
.LBB2_1302:                             ;   in Loop: Header=BB2_1296 Depth=4
	s_andn2_b32 vcc_lo, exec_lo, s17
	s_cbranch_vccnz .LBB2_1304
; %bb.1303:                             ;   in Loop: Header=BB2_1296 Depth=4
	s_mov_b32 s73, s63
.LBB2_1304:                             ;   in Loop: Header=BB2_1296 Depth=4
	global_load_dwordx4 v[8:11], v[66:67], off slc
	s_mov_b32 s17, 0
	s_waitcnt vmcnt(0)
	v_cmp_gt_i16_sdwa s74, v8, v97 src0_sel:BYTE_0 src1_sel:DWORD
	s_and_saveexec_b32 s75, s74
	s_xor_b32 s74, exec_lo, s75
	s_cbranch_execz .LBB2_1846
; %bb.1305:                             ;   in Loop: Header=BB2_1296 Depth=4
	v_cmp_eq_u16_sdwa s76, v8, v98 src0_sel:BYTE_0 src1_sel:DWORD
	s_mov_b32 s17, -1
	s_and_saveexec_b32 s75, s76
; %bb.1306:                             ;   in Loop: Header=BB2_1296 Depth=4
	s_xor_b32 s17, exec_lo, -1
; %bb.1307:                             ;   in Loop: Header=BB2_1296 Depth=4
	s_or_b32 exec_lo, exec_lo, s75
	s_and_b32 s17, s17, exec_lo
	s_or_saveexec_b32 s74, s74
	v_mov_b32_e32 v59, 0x7f800001
	s_xor_b32 exec_lo, exec_lo, s74
	s_cbranch_execnz .LBB2_1847
.LBB2_1308:                             ;   in Loop: Header=BB2_1296 Depth=4
	s_or_b32 exec_lo, exec_lo, s74
	s_and_saveexec_b32 s74, s17
	s_cbranch_execz .LBB2_1310
.LBB2_1309:                             ;   in Loop: Header=BB2_1296 Depth=4
	v_and_b32_e32 v59, 3, v8
	v_bfe_u32 v62, v8, 2, 5
	v_lshlrev_b32_e32 v63, 24, v8
	v_ffbh_u32_e32 v60, v59
	v_cmp_eq_u32_e32 vcc_lo, 0, v62
	v_min_u32_e32 v60, 32, v60
	v_subrev_nc_u32_e32 v61, 29, v60
	v_sub_nc_u32_e32 v60, 30, v60
	v_lshlrev_b32_e32 v61, v61, v8
	v_cndmask_b32_e32 v60, v62, v60, vcc_lo
	v_and_b32_e32 v61, 3, v61
	v_lshl_add_u32 v60, v60, 23, 0x37800000
	v_cndmask_b32_e32 v59, v59, v61, vcc_lo
	v_and_b32_e32 v61, 0x80000000, v63
	v_lshlrev_b32_e32 v59, 21, v59
	v_or3_b32 v59, v61, v60, v59
.LBB2_1310:                             ;   in Loop: Header=BB2_1296 Depth=4
	s_or_b32 exec_lo, exec_lo, s74
	v_mul_f32_e32 v60, s73, v59
	v_and_b32_e32 v59, 0x7f800000, v60
	v_cmp_ne_u32_e32 vcc_lo, 0x7f800000, v59
	v_mov_b32_e32 v59, 0x80
	s_and_saveexec_b32 s74, vcc_lo
	s_cbranch_execz .LBB2_1318
; %bb.1311:                             ;   in Loop: Header=BB2_1296 Depth=4
	v_mov_b32_e32 v59, 0
	s_mov_b32 s75, exec_lo
	v_cmpx_ne_u32_e32 0, v60
	s_cbranch_execz .LBB2_1317
; %bb.1312:                             ;   in Loop: Header=BB2_1296 Depth=4
	v_bfe_u32 v59, v60, 23, 8
	v_and_b32_e32 v61, 0x7fffff, v60
	v_sub_nc_u32_e32 v62, 0x70, v59
	v_cmp_gt_u32_e32 vcc_lo, 0x71, v59
	v_or_b32_e32 v63, 0x800000, v61
	v_cndmask_b32_e32 v62, 0, v62, vcc_lo
	v_cmp_eq_u32_e32 vcc_lo, 0, v59
	v_add_nc_u32_e32 v59, 0xffffff91, v59
	v_cndmask_b32_e64 v62, v62, 0x6f, vcc_lo
	v_cndmask_b32_e32 v61, v63, v61, vcc_lo
	v_cndmask_b32_e64 v59, v59, 0xffffff92, vcc_lo
	v_lshl_add_u32 v63, 0x200000, v62, -1
	v_lshrrev_b32_e32 v72, v62, v61
	v_lshlrev_b32_e64 v74, v62, 0x100000
	v_add_nc_u32_e32 v62, v62, v59
	v_and_b32_e32 v61, v63, v61
	v_bfe_u32 v73, v72, 21, 1
	v_cmp_eq_u32_e64 s17, v61, v74
	v_add_nc_u32_e32 v63, -1, v73
	v_cndmask_b32_e64 v61, 0, v63, s17
	v_lshrrev_b32_e32 v63, 23, v72
	s_mov_b32 s17, exec_lo
	v_add_nc_u32_e32 v61, v61, v72
	v_xor_b32_e32 v63, 1, v63
	v_and_b32_e32 v59, 0x1fffff, v61
	v_add_nc_u32_e32 v61, v59, v72
                                        ; implicit-def: $vgpr59
	v_cmpx_ne_u32_e64 v62, v63
	s_xor_b32 s17, exec_lo, s17
; %bb.1313:                             ;   in Loop: Header=BB2_1296 Depth=4
	v_cmp_lt_u32_e32 vcc_lo, 0xffffff, v61
	v_sub_nc_u32_e32 v59, v62, v63
	v_cndmask_b32_e64 v62, 0, 1, vcc_lo
	v_add_co_ci_u32_e64 v59, null, 0, v59, vcc_lo
	v_lshrrev_b32_e32 v61, v62, v61
; %bb.1314:                             ;   in Loop: Header=BB2_1296 Depth=4
	s_andn2_saveexec_b32 s17, s17
; %bb.1315:                             ;   in Loop: Header=BB2_1296 Depth=4
	v_bfe_u32 v59, v61, 23, 1
; %bb.1316:                             ;   in Loop: Header=BB2_1296 Depth=4
	s_or_b32 exec_lo, exec_lo, s17
	v_lshrrev_b32_e32 v61, 21, v61
	v_min_i32_e32 v62, 31, v59
	v_cmp_gt_i32_e32 vcc_lo, 32, v59
	v_and_b32_sdwa v60, v60, v98 dst_sel:DWORD dst_unused:UNUSED_PAD src0_sel:BYTE_3 src1_sel:DWORD
	v_lshlrev_b32_e32 v62, 2, v62
	v_cndmask_b32_e32 v61, 3, v61, vcc_lo
	v_and_b32_e32 v62, 0xfc, v62
	v_and_b32_e32 v63, 3, v61
	v_or_b32_e32 v59, v59, v61
	v_or3_b32 v60, v62, v60, v63
	v_cmp_ne_u32_e32 vcc_lo, 0, v59
	v_cndmask_b32_e32 v59, 0, v60, vcc_lo
.LBB2_1317:                             ;   in Loop: Header=BB2_1296 Depth=4
	s_or_b32 exec_lo, exec_lo, s75
.LBB2_1318:                             ;   in Loop: Header=BB2_1296 Depth=4
	s_or_b32 exec_lo, exec_lo, s74
	v_cmp_gt_i16_sdwa s74, v8, v97 src0_sel:BYTE_1 src1_sel:DWORD
	s_mov_b32 s17, 0
	s_and_saveexec_b32 s75, s74
	s_xor_b32 s74, exec_lo, s75
	s_cbranch_execz .LBB2_1848
; %bb.1319:                             ;   in Loop: Header=BB2_1296 Depth=4
	v_cmp_eq_u16_sdwa s76, v8, v98 src0_sel:BYTE_1 src1_sel:DWORD
	s_mov_b32 s17, -1
	s_and_saveexec_b32 s75, s76
; %bb.1320:                             ;   in Loop: Header=BB2_1296 Depth=4
	s_xor_b32 s17, exec_lo, -1
; %bb.1321:                             ;   in Loop: Header=BB2_1296 Depth=4
	s_or_b32 exec_lo, exec_lo, s75
	s_and_b32 s17, s17, exec_lo
	s_or_saveexec_b32 s74, s74
	v_mov_b32_e32 v60, 0x7f800001
	s_xor_b32 exec_lo, exec_lo, s74
	s_cbranch_execnz .LBB2_1849
.LBB2_1322:                             ;   in Loop: Header=BB2_1296 Depth=4
	s_or_b32 exec_lo, exec_lo, s74
	s_and_saveexec_b32 s74, s17
	s_cbranch_execz .LBB2_1324
.LBB2_1323:                             ;   in Loop: Header=BB2_1296 Depth=4
	v_and_b32_sdwa v60, v99, v8 dst_sel:DWORD dst_unused:UNUSED_PAD src0_sel:DWORD src1_sel:BYTE_1
	v_and_b32_e32 v61, 3, v60
	v_bfe_u32 v72, v60, 2, 5
	v_ffbh_u32_e32 v62, v61
	v_cmp_eq_u32_e32 vcc_lo, 0, v72
	v_min_u32_e32 v62, 32, v62
	v_subrev_nc_u32_e32 v63, 29, v62
	v_sub_nc_u32_e32 v62, 30, v62
	v_lshlrev_b32_e32 v60, v63, v60
	v_lshlrev_b32_sdwa v63, v100, v8 dst_sel:DWORD dst_unused:UNUSED_PAD src0_sel:DWORD src1_sel:BYTE_1
	v_cndmask_b32_e32 v62, v72, v62, vcc_lo
	v_and_b32_e32 v60, 3, v60
	v_lshl_add_u32 v62, v62, 23, 0x37800000
	v_cndmask_b32_e32 v60, v61, v60, vcc_lo
	v_and_b32_e32 v61, 0x80000000, v63
	v_lshlrev_b32_e32 v60, 21, v60
	v_or3_b32 v60, v61, v62, v60
.LBB2_1324:                             ;   in Loop: Header=BB2_1296 Depth=4
	s_or_b32 exec_lo, exec_lo, s74
	v_mul_f32_e32 v60, s73, v60
	v_mov_b32_e32 v62, 0x8000
	s_mov_b32 s74, exec_lo
	v_and_b32_e32 v61, 0x7f800000, v60
	v_cmpx_ne_u32_e32 0x7f800000, v61
	s_cbranch_execz .LBB2_1332
; %bb.1325:                             ;   in Loop: Header=BB2_1296 Depth=4
	v_mov_b32_e32 v62, 0
	s_mov_b32 s75, exec_lo
	v_cmpx_ne_u32_e32 0, v60
	s_cbranch_execz .LBB2_1331
; %bb.1326:                             ;   in Loop: Header=BB2_1296 Depth=4
	v_bfe_u32 v61, v60, 23, 8
	v_and_b32_e32 v62, 0x7fffff, v60
	v_sub_nc_u32_e32 v63, 0x70, v61
	v_cmp_gt_u32_e32 vcc_lo, 0x71, v61
	v_or_b32_e32 v72, 0x800000, v62
	v_cndmask_b32_e32 v63, 0, v63, vcc_lo
	v_cmp_eq_u32_e32 vcc_lo, 0, v61
	v_add_nc_u32_e32 v61, 0xffffff91, v61
	v_cndmask_b32_e64 v63, v63, 0x6f, vcc_lo
	v_cndmask_b32_e32 v62, v72, v62, vcc_lo
	v_cndmask_b32_e64 v61, v61, 0xffffff92, vcc_lo
	v_lshl_add_u32 v72, 0x200000, v63, -1
	v_lshrrev_b32_e32 v73, v63, v62
	v_lshlrev_b32_e64 v75, v63, 0x100000
	v_add_nc_u32_e32 v63, v63, v61
	v_and_b32_e32 v62, v72, v62
	v_bfe_u32 v74, v73, 21, 1
	v_cmp_eq_u32_e64 s17, v62, v75
	v_add_nc_u32_e32 v72, -1, v74
	v_cndmask_b32_e64 v62, 0, v72, s17
	v_lshrrev_b32_e32 v72, 23, v73
	s_mov_b32 s17, exec_lo
	v_add_nc_u32_e32 v62, v62, v73
	v_xor_b32_e32 v72, 1, v72
	v_and_b32_e32 v61, 0x1fffff, v62
	v_add_nc_u32_e32 v62, v61, v73
                                        ; implicit-def: $vgpr61
	v_cmpx_ne_u32_e64 v63, v72
	s_xor_b32 s17, exec_lo, s17
; %bb.1327:                             ;   in Loop: Header=BB2_1296 Depth=4
	v_cmp_lt_u32_e32 vcc_lo, 0xffffff, v62
	v_sub_nc_u32_e32 v61, v63, v72
	v_cndmask_b32_e64 v63, 0, 1, vcc_lo
	v_add_co_ci_u32_e64 v61, null, 0, v61, vcc_lo
	v_lshrrev_b32_e32 v62, v63, v62
; %bb.1328:                             ;   in Loop: Header=BB2_1296 Depth=4
	s_andn2_saveexec_b32 s17, s17
; %bb.1329:                             ;   in Loop: Header=BB2_1296 Depth=4
	v_bfe_u32 v61, v62, 23, 1
; %bb.1330:                             ;   in Loop: Header=BB2_1296 Depth=4
	s_or_b32 exec_lo, exec_lo, s17
	v_lshrrev_b32_e32 v62, 21, v62
	v_min_i32_e32 v63, 31, v61
	v_cmp_gt_i32_e32 vcc_lo, 32, v61
	v_and_b32_sdwa v60, v60, v98 dst_sel:DWORD dst_unused:UNUSED_PAD src0_sel:BYTE_3 src1_sel:DWORD
	v_lshlrev_b32_e32 v63, 2, v63
	v_cndmask_b32_e32 v62, 3, v62, vcc_lo
	v_and_b32_e32 v63, 0xfc, v63
	v_and_b32_e32 v72, 3, v62
	v_or_b32_e32 v61, v61, v62
	v_or3_b32 v60, v60, v63, v72
	v_cmp_ne_u32_e32 vcc_lo, 0, v61
	v_lshlrev_b32_e32 v60, 8, v60
	v_cndmask_b32_e32 v62, 0, v60, vcc_lo
.LBB2_1331:                             ;   in Loop: Header=BB2_1296 Depth=4
	s_or_b32 exec_lo, exec_lo, s75
.LBB2_1332:                             ;   in Loop: Header=BB2_1296 Depth=4
	s_or_b32 exec_lo, exec_lo, s74
	v_and_b32_sdwa v61, v8, v101 dst_sel:DWORD dst_unused:UNUSED_PAD src0_sel:WORD_1 src1_sel:DWORD
	s_mov_b32 s17, 0
	s_mov_b32 s74, exec_lo
	v_cmpx_lt_i16_e32 0x7f, v61
	s_xor_b32 s74, exec_lo, s74
	s_cbranch_execz .LBB2_1850
; %bb.1333:                             ;   in Loop: Header=BB2_1296 Depth=4
	s_mov_b32 s17, -1
	s_mov_b32 s75, exec_lo
	v_cmpx_eq_u16_e32 0x80, v61
; %bb.1334:                             ;   in Loop: Header=BB2_1296 Depth=4
	s_xor_b32 s17, exec_lo, -1
; %bb.1335:                             ;   in Loop: Header=BB2_1296 Depth=4
	s_or_b32 exec_lo, exec_lo, s75
	s_and_b32 s17, s17, exec_lo
                                        ; implicit-def: $vgpr61
	s_or_saveexec_b32 s74, s74
	v_mov_b32_e32 v60, 0x7f800001
	s_xor_b32 exec_lo, exec_lo, s74
	s_cbranch_execnz .LBB2_1851
.LBB2_1336:                             ;   in Loop: Header=BB2_1296 Depth=4
	s_or_b32 exec_lo, exec_lo, s74
	s_and_saveexec_b32 s74, s17
	s_cbranch_execz .LBB2_1338
.LBB2_1337:                             ;   in Loop: Header=BB2_1296 Depth=4
	v_bfe_u32 v60, v8, 16, 2
	v_bfe_u32 v72, v8, 18, 5
	v_lshlrev_b32_e32 v73, 8, v8
	v_ffbh_u32_e32 v61, v60
	v_cmp_eq_u32_e32 vcc_lo, 0, v72
	v_min_u32_e32 v61, 32, v61
	v_subrev_nc_u32_e32 v63, 29, v61
	v_sub_nc_u32_e32 v61, 30, v61
	v_lshlrev_b32_sdwa v63, v63, v8 dst_sel:DWORD dst_unused:UNUSED_PAD src0_sel:DWORD src1_sel:WORD_1
	v_cndmask_b32_e32 v61, v72, v61, vcc_lo
	v_and_b32_e32 v63, 3, v63
	v_lshl_add_u32 v61, v61, 23, 0x37800000
	v_cndmask_b32_e32 v60, v60, v63, vcc_lo
	v_and_b32_e32 v63, 0x80000000, v73
	v_lshlrev_b32_e32 v60, 21, v60
	v_or3_b32 v60, v63, v61, v60
.LBB2_1338:                             ;   in Loop: Header=BB2_1296 Depth=4
	s_or_b32 exec_lo, exec_lo, s74
	v_mul_f32_e32 v60, s73, v60
	v_mov_b32_e32 v75, 0x80
	s_mov_b32 s74, exec_lo
	v_and_b32_e32 v61, 0x7f800000, v60
	v_cmpx_ne_u32_e32 0x7f800000, v61
	s_cbranch_execz .LBB2_1346
; %bb.1339:                             ;   in Loop: Header=BB2_1296 Depth=4
	v_mov_b32_e32 v75, 0
	s_mov_b32 s75, exec_lo
	v_cmpx_ne_u32_e32 0, v60
	s_cbranch_execz .LBB2_1345
; %bb.1340:                             ;   in Loop: Header=BB2_1296 Depth=4
	v_bfe_u32 v61, v60, 23, 8
	v_and_b32_e32 v63, 0x7fffff, v60
	v_sub_nc_u32_e32 v72, 0x70, v61
	v_cmp_gt_u32_e32 vcc_lo, 0x71, v61
	v_or_b32_e32 v73, 0x800000, v63
	v_cndmask_b32_e32 v72, 0, v72, vcc_lo
	v_cmp_eq_u32_e32 vcc_lo, 0, v61
	v_add_nc_u32_e32 v61, 0xffffff91, v61
	v_cndmask_b32_e64 v72, v72, 0x6f, vcc_lo
	v_cndmask_b32_e32 v63, v73, v63, vcc_lo
	v_cndmask_b32_e64 v61, v61, 0xffffff92, vcc_lo
	v_lshl_add_u32 v73, 0x200000, v72, -1
	v_lshrrev_b32_e32 v74, v72, v63
	v_lshlrev_b32_e64 v76, v72, 0x100000
	v_add_nc_u32_e32 v72, v72, v61
	v_and_b32_e32 v63, v73, v63
	v_bfe_u32 v75, v74, 21, 1
	v_cmp_eq_u32_e64 s17, v63, v76
	v_add_nc_u32_e32 v73, -1, v75
	v_cndmask_b32_e64 v63, 0, v73, s17
	v_lshrrev_b32_e32 v73, 23, v74
	s_mov_b32 s17, exec_lo
	v_add_nc_u32_e32 v63, v63, v74
	v_xor_b32_e32 v73, 1, v73
	v_and_b32_e32 v61, 0x1fffff, v63
	v_add_nc_u32_e32 v63, v61, v74
                                        ; implicit-def: $vgpr61
	v_cmpx_ne_u32_e64 v72, v73
	s_xor_b32 s17, exec_lo, s17
; %bb.1341:                             ;   in Loop: Header=BB2_1296 Depth=4
	v_cmp_lt_u32_e32 vcc_lo, 0xffffff, v63
	v_sub_nc_u32_e32 v61, v72, v73
	v_cndmask_b32_e64 v72, 0, 1, vcc_lo
	v_add_co_ci_u32_e64 v61, null, 0, v61, vcc_lo
	v_lshrrev_b32_e32 v63, v72, v63
; %bb.1342:                             ;   in Loop: Header=BB2_1296 Depth=4
	s_andn2_saveexec_b32 s17, s17
; %bb.1343:                             ;   in Loop: Header=BB2_1296 Depth=4
	v_bfe_u32 v61, v63, 23, 1
; %bb.1344:                             ;   in Loop: Header=BB2_1296 Depth=4
	s_or_b32 exec_lo, exec_lo, s17
	v_lshrrev_b32_e32 v63, 21, v63
	v_min_i32_e32 v72, 31, v61
	v_cmp_gt_i32_e32 vcc_lo, 32, v61
	v_and_b32_sdwa v60, v60, v98 dst_sel:DWORD dst_unused:UNUSED_PAD src0_sel:BYTE_3 src1_sel:DWORD
	v_lshlrev_b32_e32 v72, 2, v72
	v_cndmask_b32_e32 v63, 3, v63, vcc_lo
	v_and_b32_e32 v72, 0xfc, v72
	v_and_b32_e32 v73, 3, v63
	v_or_b32_e32 v61, v61, v63
	v_or3_b32 v60, v72, v60, v73
	v_cmp_ne_u32_e32 vcc_lo, 0, v61
	v_cndmask_b32_e32 v75, 0, v60, vcc_lo
.LBB2_1345:                             ;   in Loop: Header=BB2_1296 Depth=4
	s_or_b32 exec_lo, exec_lo, s75
.LBB2_1346:                             ;   in Loop: Header=BB2_1296 Depth=4
	s_or_b32 exec_lo, exec_lo, s74
	v_cmp_gt_i16_sdwa s74, v8, v97 src0_sel:BYTE_3 src1_sel:DWORD
	s_mov_b32 s17, 0
	s_and_saveexec_b32 s75, s74
	s_xor_b32 s74, exec_lo, s75
	s_cbranch_execz .LBB2_1852
; %bb.1347:                             ;   in Loop: Header=BB2_1296 Depth=4
	v_cmp_eq_u16_sdwa s76, v8, v98 src0_sel:BYTE_3 src1_sel:DWORD
	s_mov_b32 s17, -1
	s_and_saveexec_b32 s75, s76
; %bb.1348:                             ;   in Loop: Header=BB2_1296 Depth=4
	s_xor_b32 s17, exec_lo, -1
; %bb.1349:                             ;   in Loop: Header=BB2_1296 Depth=4
	s_or_b32 exec_lo, exec_lo, s75
	s_and_b32 s17, s17, exec_lo
	s_or_saveexec_b32 s74, s74
	v_mov_b32_e32 v60, 0x7f800001
	s_xor_b32 exec_lo, exec_lo, s74
	s_cbranch_execnz .LBB2_1853
.LBB2_1350:                             ;   in Loop: Header=BB2_1296 Depth=4
	s_or_b32 exec_lo, exec_lo, s74
	s_and_saveexec_b32 s74, s17
	s_cbranch_execz .LBB2_1352
.LBB2_1351:                             ;   in Loop: Header=BB2_1296 Depth=4
	v_bfe_u32 v60, v8, 24, 2
	v_bfe_u32 v72, v8, 26, 5
	v_ffbh_u32_e32 v61, v60
	v_cmp_eq_u32_e32 vcc_lo, 0, v72
	v_min_u32_e32 v61, 32, v61
	v_subrev_nc_u32_e32 v63, 29, v61
	v_sub_nc_u32_e32 v61, 30, v61
	v_lshlrev_b32_sdwa v63, v63, v8 dst_sel:DWORD dst_unused:UNUSED_PAD src0_sel:DWORD src1_sel:BYTE_3
	v_cndmask_b32_e32 v61, v72, v61, vcc_lo
	v_and_b32_e32 v8, 0x80000000, v8
	v_and_b32_e32 v63, 3, v63
	v_lshl_add_u32 v61, v61, 23, 0x37800000
	v_cndmask_b32_e32 v60, v60, v63, vcc_lo
	v_lshlrev_b32_e32 v60, 21, v60
	v_or3_b32 v60, v8, v61, v60
.LBB2_1352:                             ;   in Loop: Header=BB2_1296 Depth=4
	s_or_b32 exec_lo, exec_lo, s74
	v_mul_f32_e32 v8, s73, v60
	v_mov_b32_e32 v90, 0x8000
	s_mov_b32 s74, exec_lo
	v_and_b32_e32 v60, 0x7f800000, v8
	v_cmpx_ne_u32_e32 0x7f800000, v60
	s_cbranch_execz .LBB2_1360
; %bb.1353:                             ;   in Loop: Header=BB2_1296 Depth=4
	v_mov_b32_e32 v90, 0
	s_mov_b32 s75, exec_lo
	v_cmpx_ne_u32_e32 0, v8
	s_cbranch_execz .LBB2_1359
; %bb.1354:                             ;   in Loop: Header=BB2_1296 Depth=4
	v_bfe_u32 v60, v8, 23, 8
	v_and_b32_e32 v61, 0x7fffff, v8
	v_sub_nc_u32_e32 v63, 0x70, v60
	v_cmp_gt_u32_e32 vcc_lo, 0x71, v60
	v_or_b32_e32 v72, 0x800000, v61
	v_cndmask_b32_e32 v63, 0, v63, vcc_lo
	v_cmp_eq_u32_e32 vcc_lo, 0, v60
	v_add_nc_u32_e32 v60, 0xffffff91, v60
	v_cndmask_b32_e64 v63, v63, 0x6f, vcc_lo
	v_cndmask_b32_e32 v61, v72, v61, vcc_lo
	v_cndmask_b32_e64 v60, v60, 0xffffff92, vcc_lo
	v_lshl_add_u32 v72, 0x200000, v63, -1
	v_lshrrev_b32_e32 v73, v63, v61
	v_lshlrev_b32_e64 v76, v63, 0x100000
	v_add_nc_u32_e32 v63, v63, v60
	v_and_b32_e32 v61, v72, v61
	v_bfe_u32 v74, v73, 21, 1
	v_cmp_eq_u32_e64 s17, v61, v76
	v_add_nc_u32_e32 v72, -1, v74
	v_cndmask_b32_e64 v61, 0, v72, s17
	v_lshrrev_b32_e32 v72, 23, v73
	s_mov_b32 s17, exec_lo
	v_add_nc_u32_e32 v61, v61, v73
	v_xor_b32_e32 v72, 1, v72
	v_and_b32_e32 v60, 0x1fffff, v61
	v_add_nc_u32_e32 v61, v60, v73
                                        ; implicit-def: $vgpr60
	v_cmpx_ne_u32_e64 v63, v72
	s_xor_b32 s17, exec_lo, s17
; %bb.1355:                             ;   in Loop: Header=BB2_1296 Depth=4
	v_cmp_lt_u32_e32 vcc_lo, 0xffffff, v61
	v_sub_nc_u32_e32 v60, v63, v72
	v_cndmask_b32_e64 v63, 0, 1, vcc_lo
	v_add_co_ci_u32_e64 v60, null, 0, v60, vcc_lo
	v_lshrrev_b32_e32 v61, v63, v61
; %bb.1356:                             ;   in Loop: Header=BB2_1296 Depth=4
	s_andn2_saveexec_b32 s17, s17
; %bb.1357:                             ;   in Loop: Header=BB2_1296 Depth=4
	v_bfe_u32 v60, v61, 23, 1
; %bb.1358:                             ;   in Loop: Header=BB2_1296 Depth=4
	s_or_b32 exec_lo, exec_lo, s17
	v_lshrrev_b32_e32 v61, 21, v61
	v_min_i32_e32 v63, 31, v60
	v_cmp_gt_i32_e32 vcc_lo, 32, v60
	v_and_b32_sdwa v8, v8, v98 dst_sel:DWORD dst_unused:UNUSED_PAD src0_sel:BYTE_3 src1_sel:DWORD
	v_lshlrev_b32_e32 v63, 2, v63
	v_cndmask_b32_e32 v61, 3, v61, vcc_lo
	v_and_b32_e32 v63, 0xfc, v63
	v_and_b32_e32 v72, 3, v61
	v_or_b32_e32 v60, v60, v61
	v_or3_b32 v8, v8, v63, v72
	v_cmp_ne_u32_e32 vcc_lo, 0, v60
	v_lshlrev_b32_e32 v8, 8, v8
	v_cndmask_b32_e32 v90, 0, v8, vcc_lo
.LBB2_1359:                             ;   in Loop: Header=BB2_1296 Depth=4
	s_or_b32 exec_lo, exec_lo, s75
.LBB2_1360:                             ;   in Loop: Header=BB2_1296 Depth=4
	s_or_b32 exec_lo, exec_lo, s74
	v_cmp_gt_i16_sdwa s74, v9, v97 src0_sel:BYTE_0 src1_sel:DWORD
	s_mov_b32 s17, 0
	s_and_saveexec_b32 s75, s74
	s_xor_b32 s74, exec_lo, s75
	s_cbranch_execz .LBB2_1854
; %bb.1361:                             ;   in Loop: Header=BB2_1296 Depth=4
	v_cmp_eq_u16_sdwa s76, v9, v98 src0_sel:BYTE_0 src1_sel:DWORD
	s_mov_b32 s17, -1
	s_and_saveexec_b32 s75, s76
; %bb.1362:                             ;   in Loop: Header=BB2_1296 Depth=4
	s_xor_b32 s17, exec_lo, -1
; %bb.1363:                             ;   in Loop: Header=BB2_1296 Depth=4
	s_or_b32 exec_lo, exec_lo, s75
	s_and_b32 s17, s17, exec_lo
	s_or_saveexec_b32 s74, s74
	v_mov_b32_e32 v8, 0x7f800001
	s_xor_b32 exec_lo, exec_lo, s74
	s_cbranch_execnz .LBB2_1855
.LBB2_1364:                             ;   in Loop: Header=BB2_1296 Depth=4
	s_or_b32 exec_lo, exec_lo, s74
	s_and_saveexec_b32 s74, s17
	s_cbranch_execz .LBB2_1366
.LBB2_1365:                             ;   in Loop: Header=BB2_1296 Depth=4
	v_and_b32_e32 v8, 3, v9
	v_bfe_u32 v63, v9, 2, 5
	v_lshlrev_b32_e32 v72, 24, v9
	v_ffbh_u32_e32 v60, v8
	v_cmp_eq_u32_e32 vcc_lo, 0, v63
	v_min_u32_e32 v60, 32, v60
	v_subrev_nc_u32_e32 v61, 29, v60
	v_sub_nc_u32_e32 v60, 30, v60
	v_lshlrev_b32_e32 v61, v61, v9
	v_cndmask_b32_e32 v60, v63, v60, vcc_lo
	v_and_b32_e32 v61, 3, v61
	v_lshl_add_u32 v60, v60, 23, 0x37800000
	v_cndmask_b32_e32 v8, v8, v61, vcc_lo
	v_and_b32_e32 v61, 0x80000000, v72
	v_lshlrev_b32_e32 v8, 21, v8
	v_or3_b32 v8, v61, v60, v8
.LBB2_1366:                             ;   in Loop: Header=BB2_1296 Depth=4
	s_or_b32 exec_lo, exec_lo, s74
	v_mul_f32_e32 v8, s73, v8
	v_mov_b32_e32 v79, 0x80
	s_mov_b32 s74, exec_lo
	v_and_b32_e32 v60, 0x7f800000, v8
	v_cmpx_ne_u32_e32 0x7f800000, v60
	s_cbranch_execz .LBB2_1374
; %bb.1367:                             ;   in Loop: Header=BB2_1296 Depth=4
	v_mov_b32_e32 v79, 0
	s_mov_b32 s75, exec_lo
	v_cmpx_ne_u32_e32 0, v8
	s_cbranch_execz .LBB2_1373
; %bb.1368:                             ;   in Loop: Header=BB2_1296 Depth=4
	v_bfe_u32 v60, v8, 23, 8
	v_and_b32_e32 v61, 0x7fffff, v8
	v_sub_nc_u32_e32 v63, 0x70, v60
	v_cmp_gt_u32_e32 vcc_lo, 0x71, v60
	v_or_b32_e32 v72, 0x800000, v61
	v_cndmask_b32_e32 v63, 0, v63, vcc_lo
	v_cmp_eq_u32_e32 vcc_lo, 0, v60
	v_add_nc_u32_e32 v60, 0xffffff91, v60
	v_cndmask_b32_e64 v63, v63, 0x6f, vcc_lo
	v_cndmask_b32_e32 v61, v72, v61, vcc_lo
	v_cndmask_b32_e64 v60, v60, 0xffffff92, vcc_lo
	v_lshl_add_u32 v72, 0x200000, v63, -1
	v_lshrrev_b32_e32 v73, v63, v61
	v_lshlrev_b32_e64 v76, v63, 0x100000
	v_add_nc_u32_e32 v63, v63, v60
	v_and_b32_e32 v61, v72, v61
	v_bfe_u32 v74, v73, 21, 1
	v_cmp_eq_u32_e64 s17, v61, v76
	v_add_nc_u32_e32 v72, -1, v74
	v_cndmask_b32_e64 v61, 0, v72, s17
	v_lshrrev_b32_e32 v72, 23, v73
	s_mov_b32 s17, exec_lo
	v_add_nc_u32_e32 v61, v61, v73
	v_xor_b32_e32 v72, 1, v72
	v_and_b32_e32 v60, 0x1fffff, v61
	v_add_nc_u32_e32 v61, v60, v73
                                        ; implicit-def: $vgpr60
	v_cmpx_ne_u32_e64 v63, v72
	s_xor_b32 s17, exec_lo, s17
; %bb.1369:                             ;   in Loop: Header=BB2_1296 Depth=4
	v_cmp_lt_u32_e32 vcc_lo, 0xffffff, v61
	v_sub_nc_u32_e32 v60, v63, v72
	v_cndmask_b32_e64 v63, 0, 1, vcc_lo
	v_add_co_ci_u32_e64 v60, null, 0, v60, vcc_lo
	v_lshrrev_b32_e32 v61, v63, v61
; %bb.1370:                             ;   in Loop: Header=BB2_1296 Depth=4
	s_andn2_saveexec_b32 s17, s17
; %bb.1371:                             ;   in Loop: Header=BB2_1296 Depth=4
	v_bfe_u32 v60, v61, 23, 1
; %bb.1372:                             ;   in Loop: Header=BB2_1296 Depth=4
	s_or_b32 exec_lo, exec_lo, s17
	v_lshrrev_b32_e32 v61, 21, v61
	v_min_i32_e32 v63, 31, v60
	v_cmp_gt_i32_e32 vcc_lo, 32, v60
	v_and_b32_sdwa v8, v8, v98 dst_sel:DWORD dst_unused:UNUSED_PAD src0_sel:BYTE_3 src1_sel:DWORD
	v_lshlrev_b32_e32 v63, 2, v63
	v_cndmask_b32_e32 v61, 3, v61, vcc_lo
	v_and_b32_e32 v63, 0xfc, v63
	v_and_b32_e32 v72, 3, v61
	v_or_b32_e32 v60, v60, v61
	v_or3_b32 v8, v63, v8, v72
	v_cmp_ne_u32_e32 vcc_lo, 0, v60
	v_cndmask_b32_e32 v79, 0, v8, vcc_lo
.LBB2_1373:                             ;   in Loop: Header=BB2_1296 Depth=4
	s_or_b32 exec_lo, exec_lo, s75
.LBB2_1374:                             ;   in Loop: Header=BB2_1296 Depth=4
	s_or_b32 exec_lo, exec_lo, s74
	v_cmp_gt_i16_sdwa s74, v9, v97 src0_sel:BYTE_1 src1_sel:DWORD
	s_mov_b32 s17, 0
	s_and_saveexec_b32 s75, s74
	s_xor_b32 s74, exec_lo, s75
	s_cbranch_execz .LBB2_1856
; %bb.1375:                             ;   in Loop: Header=BB2_1296 Depth=4
	v_cmp_eq_u16_sdwa s76, v9, v98 src0_sel:BYTE_1 src1_sel:DWORD
	s_mov_b32 s17, -1
	s_and_saveexec_b32 s75, s76
; %bb.1376:                             ;   in Loop: Header=BB2_1296 Depth=4
	s_xor_b32 s17, exec_lo, -1
; %bb.1377:                             ;   in Loop: Header=BB2_1296 Depth=4
	s_or_b32 exec_lo, exec_lo, s75
	s_and_b32 s17, s17, exec_lo
	s_or_saveexec_b32 s74, s74
	v_mov_b32_e32 v8, 0x7f800001
	s_xor_b32 exec_lo, exec_lo, s74
	s_cbranch_execnz .LBB2_1857
.LBB2_1378:                             ;   in Loop: Header=BB2_1296 Depth=4
	s_or_b32 exec_lo, exec_lo, s74
	s_and_saveexec_b32 s74, s17
	s_cbranch_execz .LBB2_1380
.LBB2_1379:                             ;   in Loop: Header=BB2_1296 Depth=4
	v_and_b32_sdwa v8, v99, v9 dst_sel:DWORD dst_unused:UNUSED_PAD src0_sel:DWORD src1_sel:BYTE_1
	v_and_b32_e32 v60, 3, v8
	v_bfe_u32 v72, v8, 2, 5
	v_ffbh_u32_e32 v61, v60
	v_cmp_eq_u32_e32 vcc_lo, 0, v72
	v_min_u32_e32 v61, 32, v61
	v_subrev_nc_u32_e32 v63, 29, v61
	v_sub_nc_u32_e32 v61, 30, v61
	v_lshlrev_b32_e32 v8, v63, v8
	v_lshlrev_b32_sdwa v63, v100, v9 dst_sel:DWORD dst_unused:UNUSED_PAD src0_sel:DWORD src1_sel:BYTE_1
	v_cndmask_b32_e32 v61, v72, v61, vcc_lo
	v_and_b32_e32 v8, 3, v8
	v_lshl_add_u32 v61, v61, 23, 0x37800000
	v_cndmask_b32_e32 v8, v60, v8, vcc_lo
	v_and_b32_e32 v60, 0x80000000, v63
	v_lshlrev_b32_e32 v8, 21, v8
	v_or3_b32 v8, v60, v61, v8
.LBB2_1380:                             ;   in Loop: Header=BB2_1296 Depth=4
	s_or_b32 exec_lo, exec_lo, s74
	v_mul_f32_e32 v8, s73, v8
	v_mov_b32_e32 v89, 0x8000
	s_mov_b32 s74, exec_lo
	v_and_b32_e32 v60, 0x7f800000, v8
	v_cmpx_ne_u32_e32 0x7f800000, v60
	s_cbranch_execz .LBB2_1388
; %bb.1381:                             ;   in Loop: Header=BB2_1296 Depth=4
	v_mov_b32_e32 v89, 0
	s_mov_b32 s75, exec_lo
	v_cmpx_ne_u32_e32 0, v8
	s_cbranch_execz .LBB2_1387
; %bb.1382:                             ;   in Loop: Header=BB2_1296 Depth=4
	v_bfe_u32 v60, v8, 23, 8
	v_and_b32_e32 v61, 0x7fffff, v8
	v_sub_nc_u32_e32 v63, 0x70, v60
	v_cmp_gt_u32_e32 vcc_lo, 0x71, v60
	v_or_b32_e32 v72, 0x800000, v61
	v_cndmask_b32_e32 v63, 0, v63, vcc_lo
	v_cmp_eq_u32_e32 vcc_lo, 0, v60
	v_add_nc_u32_e32 v60, 0xffffff91, v60
	v_cndmask_b32_e64 v63, v63, 0x6f, vcc_lo
	v_cndmask_b32_e32 v61, v72, v61, vcc_lo
	v_cndmask_b32_e64 v60, v60, 0xffffff92, vcc_lo
	v_lshl_add_u32 v72, 0x200000, v63, -1
	v_lshrrev_b32_e32 v73, v63, v61
	v_lshlrev_b32_e64 v76, v63, 0x100000
	v_add_nc_u32_e32 v63, v63, v60
	v_and_b32_e32 v61, v72, v61
	v_bfe_u32 v74, v73, 21, 1
	v_cmp_eq_u32_e64 s17, v61, v76
	v_add_nc_u32_e32 v72, -1, v74
	v_cndmask_b32_e64 v61, 0, v72, s17
	v_lshrrev_b32_e32 v72, 23, v73
	s_mov_b32 s17, exec_lo
	v_add_nc_u32_e32 v61, v61, v73
	v_xor_b32_e32 v72, 1, v72
	v_and_b32_e32 v60, 0x1fffff, v61
	v_add_nc_u32_e32 v61, v60, v73
                                        ; implicit-def: $vgpr60
	v_cmpx_ne_u32_e64 v63, v72
	s_xor_b32 s17, exec_lo, s17
; %bb.1383:                             ;   in Loop: Header=BB2_1296 Depth=4
	v_cmp_lt_u32_e32 vcc_lo, 0xffffff, v61
	v_sub_nc_u32_e32 v60, v63, v72
	v_cndmask_b32_e64 v63, 0, 1, vcc_lo
	v_add_co_ci_u32_e64 v60, null, 0, v60, vcc_lo
	v_lshrrev_b32_e32 v61, v63, v61
; %bb.1384:                             ;   in Loop: Header=BB2_1296 Depth=4
	s_andn2_saveexec_b32 s17, s17
; %bb.1385:                             ;   in Loop: Header=BB2_1296 Depth=4
	v_bfe_u32 v60, v61, 23, 1
; %bb.1386:                             ;   in Loop: Header=BB2_1296 Depth=4
	s_or_b32 exec_lo, exec_lo, s17
	v_lshrrev_b32_e32 v61, 21, v61
	v_min_i32_e32 v63, 31, v60
	v_cmp_gt_i32_e32 vcc_lo, 32, v60
	v_and_b32_sdwa v8, v8, v98 dst_sel:DWORD dst_unused:UNUSED_PAD src0_sel:BYTE_3 src1_sel:DWORD
	v_lshlrev_b32_e32 v63, 2, v63
	v_cndmask_b32_e32 v61, 3, v61, vcc_lo
	v_and_b32_e32 v63, 0xfc, v63
	v_and_b32_e32 v72, 3, v61
	v_or_b32_e32 v60, v60, v61
	v_or3_b32 v8, v8, v63, v72
	v_cmp_ne_u32_e32 vcc_lo, 0, v60
	v_lshlrev_b32_e32 v8, 8, v8
	v_cndmask_b32_e32 v89, 0, v8, vcc_lo
.LBB2_1387:                             ;   in Loop: Header=BB2_1296 Depth=4
	s_or_b32 exec_lo, exec_lo, s75
.LBB2_1388:                             ;   in Loop: Header=BB2_1296 Depth=4
	s_or_b32 exec_lo, exec_lo, s74
	v_and_b32_sdwa v60, v9, v101 dst_sel:DWORD dst_unused:UNUSED_PAD src0_sel:WORD_1 src1_sel:DWORD
	s_mov_b32 s17, 0
	s_mov_b32 s74, exec_lo
	v_cmpx_lt_i16_e32 0x7f, v60
	s_xor_b32 s74, exec_lo, s74
	s_cbranch_execz .LBB2_1858
; %bb.1389:                             ;   in Loop: Header=BB2_1296 Depth=4
	s_mov_b32 s17, -1
	s_mov_b32 s75, exec_lo
	v_cmpx_eq_u16_e32 0x80, v60
; %bb.1390:                             ;   in Loop: Header=BB2_1296 Depth=4
	s_xor_b32 s17, exec_lo, -1
; %bb.1391:                             ;   in Loop: Header=BB2_1296 Depth=4
	s_or_b32 exec_lo, exec_lo, s75
	s_and_b32 s17, s17, exec_lo
                                        ; implicit-def: $vgpr60
	s_or_saveexec_b32 s74, s74
	v_mov_b32_e32 v8, 0x7f800001
	s_xor_b32 exec_lo, exec_lo, s74
	s_cbranch_execnz .LBB2_1859
.LBB2_1392:                             ;   in Loop: Header=BB2_1296 Depth=4
	s_or_b32 exec_lo, exec_lo, s74
	s_and_saveexec_b32 s74, s17
	s_cbranch_execz .LBB2_1394
.LBB2_1393:                             ;   in Loop: Header=BB2_1296 Depth=4
	v_bfe_u32 v8, v9, 16, 2
	v_bfe_u32 v63, v9, 18, 5
	v_lshlrev_b32_e32 v72, 8, v9
	v_ffbh_u32_e32 v60, v8
	v_cmp_eq_u32_e32 vcc_lo, 0, v63
	v_min_u32_e32 v60, 32, v60
	v_subrev_nc_u32_e32 v61, 29, v60
	v_sub_nc_u32_e32 v60, 30, v60
	v_lshlrev_b32_sdwa v61, v61, v9 dst_sel:DWORD dst_unused:UNUSED_PAD src0_sel:DWORD src1_sel:WORD_1
	v_cndmask_b32_e32 v60, v63, v60, vcc_lo
	v_and_b32_e32 v61, 3, v61
	v_lshl_add_u32 v60, v60, 23, 0x37800000
	v_cndmask_b32_e32 v8, v8, v61, vcc_lo
	v_and_b32_e32 v61, 0x80000000, v72
	v_lshlrev_b32_e32 v8, 21, v8
	v_or3_b32 v8, v61, v60, v8
.LBB2_1394:                             ;   in Loop: Header=BB2_1296 Depth=4
	s_or_b32 exec_lo, exec_lo, s74
	v_mul_f32_e32 v8, s73, v8
	v_mov_b32_e32 v77, 0x80
	s_mov_b32 s74, exec_lo
	v_and_b32_e32 v60, 0x7f800000, v8
	v_cmpx_ne_u32_e32 0x7f800000, v60
	s_cbranch_execz .LBB2_1402
; %bb.1395:                             ;   in Loop: Header=BB2_1296 Depth=4
	v_mov_b32_e32 v77, 0
	s_mov_b32 s75, exec_lo
	v_cmpx_ne_u32_e32 0, v8
	s_cbranch_execz .LBB2_1401
; %bb.1396:                             ;   in Loop: Header=BB2_1296 Depth=4
	v_bfe_u32 v60, v8, 23, 8
	v_and_b32_e32 v61, 0x7fffff, v8
	v_sub_nc_u32_e32 v63, 0x70, v60
	v_cmp_gt_u32_e32 vcc_lo, 0x71, v60
	v_or_b32_e32 v72, 0x800000, v61
	v_cndmask_b32_e32 v63, 0, v63, vcc_lo
	v_cmp_eq_u32_e32 vcc_lo, 0, v60
	v_add_nc_u32_e32 v60, 0xffffff91, v60
	v_cndmask_b32_e64 v63, v63, 0x6f, vcc_lo
	v_cndmask_b32_e32 v61, v72, v61, vcc_lo
	v_cndmask_b32_e64 v60, v60, 0xffffff92, vcc_lo
	v_lshl_add_u32 v72, 0x200000, v63, -1
	v_lshrrev_b32_e32 v73, v63, v61
	v_lshlrev_b32_e64 v76, v63, 0x100000
	v_add_nc_u32_e32 v63, v63, v60
	v_and_b32_e32 v61, v72, v61
	v_bfe_u32 v74, v73, 21, 1
	v_cmp_eq_u32_e64 s17, v61, v76
	v_add_nc_u32_e32 v72, -1, v74
	v_cndmask_b32_e64 v61, 0, v72, s17
	v_lshrrev_b32_e32 v72, 23, v73
	s_mov_b32 s17, exec_lo
	v_add_nc_u32_e32 v61, v61, v73
	v_xor_b32_e32 v72, 1, v72
	v_and_b32_e32 v60, 0x1fffff, v61
	v_add_nc_u32_e32 v61, v60, v73
                                        ; implicit-def: $vgpr60
	v_cmpx_ne_u32_e64 v63, v72
	s_xor_b32 s17, exec_lo, s17
; %bb.1397:                             ;   in Loop: Header=BB2_1296 Depth=4
	v_cmp_lt_u32_e32 vcc_lo, 0xffffff, v61
	v_sub_nc_u32_e32 v60, v63, v72
	v_cndmask_b32_e64 v63, 0, 1, vcc_lo
	v_add_co_ci_u32_e64 v60, null, 0, v60, vcc_lo
	v_lshrrev_b32_e32 v61, v63, v61
; %bb.1398:                             ;   in Loop: Header=BB2_1296 Depth=4
	s_andn2_saveexec_b32 s17, s17
; %bb.1399:                             ;   in Loop: Header=BB2_1296 Depth=4
	v_bfe_u32 v60, v61, 23, 1
; %bb.1400:                             ;   in Loop: Header=BB2_1296 Depth=4
	s_or_b32 exec_lo, exec_lo, s17
	v_lshrrev_b32_e32 v61, 21, v61
	v_min_i32_e32 v63, 31, v60
	v_cmp_gt_i32_e32 vcc_lo, 32, v60
	v_and_b32_sdwa v8, v8, v98 dst_sel:DWORD dst_unused:UNUSED_PAD src0_sel:BYTE_3 src1_sel:DWORD
	v_lshlrev_b32_e32 v63, 2, v63
	v_cndmask_b32_e32 v61, 3, v61, vcc_lo
	v_and_b32_e32 v63, 0xfc, v63
	v_and_b32_e32 v72, 3, v61
	v_or_b32_e32 v60, v60, v61
	v_or3_b32 v8, v63, v8, v72
	v_cmp_ne_u32_e32 vcc_lo, 0, v60
	v_cndmask_b32_e32 v77, 0, v8, vcc_lo
.LBB2_1401:                             ;   in Loop: Header=BB2_1296 Depth=4
	s_or_b32 exec_lo, exec_lo, s75
.LBB2_1402:                             ;   in Loop: Header=BB2_1296 Depth=4
	s_or_b32 exec_lo, exec_lo, s74
	v_cmp_gt_i16_sdwa s74, v9, v97 src0_sel:BYTE_3 src1_sel:DWORD
	s_mov_b32 s17, 0
	s_and_saveexec_b32 s75, s74
	s_xor_b32 s74, exec_lo, s75
	s_cbranch_execz .LBB2_1860
; %bb.1403:                             ;   in Loop: Header=BB2_1296 Depth=4
	v_cmp_eq_u16_sdwa s76, v9, v98 src0_sel:BYTE_3 src1_sel:DWORD
	s_mov_b32 s17, -1
	s_and_saveexec_b32 s75, s76
; %bb.1404:                             ;   in Loop: Header=BB2_1296 Depth=4
	s_xor_b32 s17, exec_lo, -1
; %bb.1405:                             ;   in Loop: Header=BB2_1296 Depth=4
	s_or_b32 exec_lo, exec_lo, s75
	s_and_b32 s17, s17, exec_lo
	s_or_saveexec_b32 s74, s74
	v_mov_b32_e32 v8, 0x7f800001
	s_xor_b32 exec_lo, exec_lo, s74
	s_cbranch_execnz .LBB2_1861
.LBB2_1406:                             ;   in Loop: Header=BB2_1296 Depth=4
	s_or_b32 exec_lo, exec_lo, s74
	s_and_saveexec_b32 s74, s17
	s_cbranch_execz .LBB2_1408
.LBB2_1407:                             ;   in Loop: Header=BB2_1296 Depth=4
	v_bfe_u32 v8, v9, 24, 2
	v_bfe_u32 v63, v9, 26, 5
	v_ffbh_u32_e32 v60, v8
	v_cmp_eq_u32_e32 vcc_lo, 0, v63
	v_min_u32_e32 v60, 32, v60
	v_subrev_nc_u32_e32 v61, 29, v60
	v_sub_nc_u32_e32 v60, 30, v60
	v_lshlrev_b32_sdwa v61, v61, v9 dst_sel:DWORD dst_unused:UNUSED_PAD src0_sel:DWORD src1_sel:BYTE_3
	v_cndmask_b32_e32 v60, v63, v60, vcc_lo
	v_and_b32_e32 v9, 0x80000000, v9
	v_and_b32_e32 v61, 3, v61
	v_lshl_add_u32 v60, v60, 23, 0x37800000
	v_cndmask_b32_e32 v8, v8, v61, vcc_lo
	v_lshlrev_b32_e32 v8, 21, v8
	v_or3_b32 v8, v9, v60, v8
.LBB2_1408:                             ;   in Loop: Header=BB2_1296 Depth=4
	s_or_b32 exec_lo, exec_lo, s74
	v_mul_f32_e32 v8, s73, v8
	v_mov_b32_e32 v88, 0x8000
	s_mov_b32 s74, exec_lo
	v_and_b32_e32 v9, 0x7f800000, v8
	v_cmpx_ne_u32_e32 0x7f800000, v9
	s_cbranch_execz .LBB2_1416
; %bb.1409:                             ;   in Loop: Header=BB2_1296 Depth=4
	v_mov_b32_e32 v88, 0
	s_mov_b32 s75, exec_lo
	v_cmpx_ne_u32_e32 0, v8
	s_cbranch_execz .LBB2_1415
; %bb.1410:                             ;   in Loop: Header=BB2_1296 Depth=4
	v_bfe_u32 v9, v8, 23, 8
	v_and_b32_e32 v60, 0x7fffff, v8
	v_sub_nc_u32_e32 v61, 0x70, v9
	v_cmp_gt_u32_e32 vcc_lo, 0x71, v9
	v_or_b32_e32 v63, 0x800000, v60
	v_cndmask_b32_e32 v61, 0, v61, vcc_lo
	v_cmp_eq_u32_e32 vcc_lo, 0, v9
	v_add_nc_u32_e32 v9, 0xffffff91, v9
	v_cndmask_b32_e64 v61, v61, 0x6f, vcc_lo
	v_cndmask_b32_e32 v60, v63, v60, vcc_lo
	v_cndmask_b32_e64 v9, v9, 0xffffff92, vcc_lo
	v_lshl_add_u32 v63, 0x200000, v61, -1
	v_lshrrev_b32_e32 v72, v61, v60
	v_lshlrev_b32_e64 v74, v61, 0x100000
	v_add_nc_u32_e32 v61, v61, v9
	v_and_b32_e32 v60, v63, v60
	v_bfe_u32 v73, v72, 21, 1
	v_cmp_eq_u32_e64 s17, v60, v74
	v_add_nc_u32_e32 v63, -1, v73
	v_cndmask_b32_e64 v60, 0, v63, s17
	v_lshrrev_b32_e32 v63, 23, v72
	s_mov_b32 s17, exec_lo
	v_add_nc_u32_e32 v60, v60, v72
	v_xor_b32_e32 v63, 1, v63
	v_and_b32_e32 v9, 0x1fffff, v60
	v_add_nc_u32_e32 v60, v9, v72
                                        ; implicit-def: $vgpr9
	v_cmpx_ne_u32_e64 v61, v63
	s_xor_b32 s17, exec_lo, s17
; %bb.1411:                             ;   in Loop: Header=BB2_1296 Depth=4
	v_cmp_lt_u32_e32 vcc_lo, 0xffffff, v60
	v_sub_nc_u32_e32 v9, v61, v63
	v_cndmask_b32_e64 v61, 0, 1, vcc_lo
	v_add_co_ci_u32_e64 v9, null, 0, v9, vcc_lo
	v_lshrrev_b32_e32 v60, v61, v60
; %bb.1412:                             ;   in Loop: Header=BB2_1296 Depth=4
	s_andn2_saveexec_b32 s17, s17
; %bb.1413:                             ;   in Loop: Header=BB2_1296 Depth=4
	v_bfe_u32 v9, v60, 23, 1
; %bb.1414:                             ;   in Loop: Header=BB2_1296 Depth=4
	s_or_b32 exec_lo, exec_lo, s17
	v_lshrrev_b32_e32 v60, 21, v60
	v_min_i32_e32 v61, 31, v9
	v_cmp_gt_i32_e32 vcc_lo, 32, v9
	v_and_b32_sdwa v8, v8, v98 dst_sel:DWORD dst_unused:UNUSED_PAD src0_sel:BYTE_3 src1_sel:DWORD
	v_lshlrev_b32_e32 v61, 2, v61
	v_cndmask_b32_e32 v60, 3, v60, vcc_lo
	v_and_b32_e32 v61, 0xfc, v61
	v_and_b32_e32 v63, 3, v60
	v_or_b32_e32 v9, v9, v60
	v_or3_b32 v8, v8, v61, v63
	v_cmp_ne_u32_e32 vcc_lo, 0, v9
	v_lshlrev_b32_e32 v8, 8, v8
	v_cndmask_b32_e32 v88, 0, v8, vcc_lo
.LBB2_1415:                             ;   in Loop: Header=BB2_1296 Depth=4
	s_or_b32 exec_lo, exec_lo, s75
.LBB2_1416:                             ;   in Loop: Header=BB2_1296 Depth=4
	s_or_b32 exec_lo, exec_lo, s74
	v_cmp_gt_i16_sdwa s74, v10, v97 src0_sel:BYTE_0 src1_sel:DWORD
	s_mov_b32 s17, 0
	s_and_saveexec_b32 s75, s74
	s_xor_b32 s74, exec_lo, s75
	s_cbranch_execz .LBB2_1862
; %bb.1417:                             ;   in Loop: Header=BB2_1296 Depth=4
	v_cmp_eq_u16_sdwa s76, v10, v98 src0_sel:BYTE_0 src1_sel:DWORD
	s_mov_b32 s17, -1
	s_and_saveexec_b32 s75, s76
; %bb.1418:                             ;   in Loop: Header=BB2_1296 Depth=4
	s_xor_b32 s17, exec_lo, -1
; %bb.1419:                             ;   in Loop: Header=BB2_1296 Depth=4
	s_or_b32 exec_lo, exec_lo, s75
	s_and_b32 s17, s17, exec_lo
	s_or_saveexec_b32 s74, s74
	v_mov_b32_e32 v8, 0x7f800001
	s_xor_b32 exec_lo, exec_lo, s74
	s_cbranch_execnz .LBB2_1863
.LBB2_1420:                             ;   in Loop: Header=BB2_1296 Depth=4
	s_or_b32 exec_lo, exec_lo, s74
	s_and_saveexec_b32 s74, s17
	s_cbranch_execz .LBB2_1422
.LBB2_1421:                             ;   in Loop: Header=BB2_1296 Depth=4
	v_and_b32_e32 v8, 3, v10
	v_bfe_u32 v61, v10, 2, 5
	v_lshlrev_b32_e32 v63, 24, v10
	v_ffbh_u32_e32 v9, v8
	v_cmp_eq_u32_e32 vcc_lo, 0, v61
	v_min_u32_e32 v9, 32, v9
	v_subrev_nc_u32_e32 v60, 29, v9
	v_sub_nc_u32_e32 v9, 30, v9
	v_lshlrev_b32_e32 v60, v60, v10
	v_cndmask_b32_e32 v9, v61, v9, vcc_lo
	v_and_b32_e32 v60, 3, v60
	v_lshl_add_u32 v9, v9, 23, 0x37800000
	v_cndmask_b32_e32 v8, v8, v60, vcc_lo
	v_and_b32_e32 v60, 0x80000000, v63
	v_lshlrev_b32_e32 v8, 21, v8
	v_or3_b32 v8, v60, v9, v8
.LBB2_1422:                             ;   in Loop: Header=BB2_1296 Depth=4
	s_or_b32 exec_lo, exec_lo, s74
	v_mul_f32_e32 v8, s73, v8
	v_mov_b32_e32 v74, 0x80
	s_mov_b32 s74, exec_lo
	v_and_b32_e32 v9, 0x7f800000, v8
	v_cmpx_ne_u32_e32 0x7f800000, v9
	s_cbranch_execz .LBB2_1430
; %bb.1423:                             ;   in Loop: Header=BB2_1296 Depth=4
	v_mov_b32_e32 v74, 0
	s_mov_b32 s75, exec_lo
	v_cmpx_ne_u32_e32 0, v8
	s_cbranch_execz .LBB2_1429
; %bb.1424:                             ;   in Loop: Header=BB2_1296 Depth=4
	v_bfe_u32 v9, v8, 23, 8
	v_and_b32_e32 v60, 0x7fffff, v8
	v_sub_nc_u32_e32 v61, 0x70, v9
	v_cmp_gt_u32_e32 vcc_lo, 0x71, v9
	v_or_b32_e32 v63, 0x800000, v60
	v_cndmask_b32_e32 v61, 0, v61, vcc_lo
	v_cmp_eq_u32_e32 vcc_lo, 0, v9
	v_add_nc_u32_e32 v9, 0xffffff91, v9
	v_cndmask_b32_e64 v61, v61, 0x6f, vcc_lo
	v_cndmask_b32_e32 v60, v63, v60, vcc_lo
	v_cndmask_b32_e64 v9, v9, 0xffffff92, vcc_lo
	v_lshl_add_u32 v63, 0x200000, v61, -1
	v_lshrrev_b32_e32 v72, v61, v60
	v_lshlrev_b32_e64 v74, v61, 0x100000
	v_add_nc_u32_e32 v61, v61, v9
	v_and_b32_e32 v60, v63, v60
	v_bfe_u32 v73, v72, 21, 1
	v_cmp_eq_u32_e64 s17, v60, v74
	v_add_nc_u32_e32 v63, -1, v73
	v_cndmask_b32_e64 v60, 0, v63, s17
	v_lshrrev_b32_e32 v63, 23, v72
	s_mov_b32 s17, exec_lo
	v_add_nc_u32_e32 v60, v60, v72
	v_xor_b32_e32 v63, 1, v63
	v_and_b32_e32 v9, 0x1fffff, v60
	v_add_nc_u32_e32 v60, v9, v72
                                        ; implicit-def: $vgpr9
	v_cmpx_ne_u32_e64 v61, v63
	s_xor_b32 s17, exec_lo, s17
; %bb.1425:                             ;   in Loop: Header=BB2_1296 Depth=4
	v_cmp_lt_u32_e32 vcc_lo, 0xffffff, v60
	v_sub_nc_u32_e32 v9, v61, v63
	v_cndmask_b32_e64 v61, 0, 1, vcc_lo
	v_add_co_ci_u32_e64 v9, null, 0, v9, vcc_lo
	v_lshrrev_b32_e32 v60, v61, v60
; %bb.1426:                             ;   in Loop: Header=BB2_1296 Depth=4
	s_andn2_saveexec_b32 s17, s17
; %bb.1427:                             ;   in Loop: Header=BB2_1296 Depth=4
	v_bfe_u32 v9, v60, 23, 1
; %bb.1428:                             ;   in Loop: Header=BB2_1296 Depth=4
	s_or_b32 exec_lo, exec_lo, s17
	v_lshrrev_b32_e32 v60, 21, v60
	v_min_i32_e32 v61, 31, v9
	v_cmp_gt_i32_e32 vcc_lo, 32, v9
	v_and_b32_sdwa v8, v8, v98 dst_sel:DWORD dst_unused:UNUSED_PAD src0_sel:BYTE_3 src1_sel:DWORD
	v_lshlrev_b32_e32 v61, 2, v61
	v_cndmask_b32_e32 v60, 3, v60, vcc_lo
	v_and_b32_e32 v61, 0xfc, v61
	v_and_b32_e32 v63, 3, v60
	v_or_b32_e32 v9, v9, v60
	v_or3_b32 v8, v61, v8, v63
	v_cmp_ne_u32_e32 vcc_lo, 0, v9
	v_cndmask_b32_e32 v74, 0, v8, vcc_lo
.LBB2_1429:                             ;   in Loop: Header=BB2_1296 Depth=4
	s_or_b32 exec_lo, exec_lo, s75
.LBB2_1430:                             ;   in Loop: Header=BB2_1296 Depth=4
	s_or_b32 exec_lo, exec_lo, s74
	v_cmp_gt_i16_sdwa s74, v10, v97 src0_sel:BYTE_1 src1_sel:DWORD
	s_mov_b32 s17, 0
	s_and_saveexec_b32 s75, s74
	s_xor_b32 s74, exec_lo, s75
	s_cbranch_execz .LBB2_1864
; %bb.1431:                             ;   in Loop: Header=BB2_1296 Depth=4
	v_cmp_eq_u16_sdwa s76, v10, v98 src0_sel:BYTE_1 src1_sel:DWORD
	s_mov_b32 s17, -1
	s_and_saveexec_b32 s75, s76
; %bb.1432:                             ;   in Loop: Header=BB2_1296 Depth=4
	s_xor_b32 s17, exec_lo, -1
; %bb.1433:                             ;   in Loop: Header=BB2_1296 Depth=4
	s_or_b32 exec_lo, exec_lo, s75
	s_and_b32 s17, s17, exec_lo
	s_or_saveexec_b32 s74, s74
	v_mov_b32_e32 v8, 0x7f800001
	s_xor_b32 exec_lo, exec_lo, s74
	s_cbranch_execnz .LBB2_1865
.LBB2_1434:                             ;   in Loop: Header=BB2_1296 Depth=4
	s_or_b32 exec_lo, exec_lo, s74
	s_and_saveexec_b32 s74, s17
	s_cbranch_execz .LBB2_1436
.LBB2_1435:                             ;   in Loop: Header=BB2_1296 Depth=4
	v_and_b32_sdwa v8, v99, v10 dst_sel:DWORD dst_unused:UNUSED_PAD src0_sel:DWORD src1_sel:BYTE_1
	v_and_b32_e32 v9, 3, v8
	v_bfe_u32 v63, v8, 2, 5
	v_ffbh_u32_e32 v60, v9
	v_cmp_eq_u32_e32 vcc_lo, 0, v63
	v_min_u32_e32 v60, 32, v60
	v_subrev_nc_u32_e32 v61, 29, v60
	v_sub_nc_u32_e32 v60, 30, v60
	v_lshlrev_b32_e32 v8, v61, v8
	v_lshlrev_b32_sdwa v61, v100, v10 dst_sel:DWORD dst_unused:UNUSED_PAD src0_sel:DWORD src1_sel:BYTE_1
	v_cndmask_b32_e32 v60, v63, v60, vcc_lo
	v_and_b32_e32 v8, 3, v8
	v_lshl_add_u32 v60, v60, 23, 0x37800000
	v_cndmask_b32_e32 v8, v9, v8, vcc_lo
	v_and_b32_e32 v9, 0x80000000, v61
	v_lshlrev_b32_e32 v8, 21, v8
	v_or3_b32 v8, v9, v60, v8
.LBB2_1436:                             ;   in Loop: Header=BB2_1296 Depth=4
	s_or_b32 exec_lo, exec_lo, s74
	v_mul_f32_e32 v8, s73, v8
	v_mov_b32_e32 v78, 0x8000
	s_mov_b32 s74, exec_lo
	v_and_b32_e32 v9, 0x7f800000, v8
	v_cmpx_ne_u32_e32 0x7f800000, v9
	s_cbranch_execz .LBB2_1444
; %bb.1437:                             ;   in Loop: Header=BB2_1296 Depth=4
	v_mov_b32_e32 v78, 0
	s_mov_b32 s75, exec_lo
	v_cmpx_ne_u32_e32 0, v8
	s_cbranch_execz .LBB2_1443
; %bb.1438:                             ;   in Loop: Header=BB2_1296 Depth=4
	v_bfe_u32 v9, v8, 23, 8
	v_and_b32_e32 v60, 0x7fffff, v8
	v_sub_nc_u32_e32 v61, 0x70, v9
	v_cmp_gt_u32_e32 vcc_lo, 0x71, v9
	v_or_b32_e32 v63, 0x800000, v60
	v_cndmask_b32_e32 v61, 0, v61, vcc_lo
	v_cmp_eq_u32_e32 vcc_lo, 0, v9
	v_add_nc_u32_e32 v9, 0xffffff91, v9
	v_cndmask_b32_e64 v61, v61, 0x6f, vcc_lo
	v_cndmask_b32_e32 v60, v63, v60, vcc_lo
	v_cndmask_b32_e64 v9, v9, 0xffffff92, vcc_lo
	v_lshl_add_u32 v63, 0x200000, v61, -1
	v_lshrrev_b32_e32 v72, v61, v60
	v_lshlrev_b32_e64 v76, v61, 0x100000
	v_add_nc_u32_e32 v61, v61, v9
	v_and_b32_e32 v60, v63, v60
	v_bfe_u32 v73, v72, 21, 1
	v_cmp_eq_u32_e64 s17, v60, v76
	v_add_nc_u32_e32 v63, -1, v73
	v_cndmask_b32_e64 v60, 0, v63, s17
	v_lshrrev_b32_e32 v63, 23, v72
	s_mov_b32 s17, exec_lo
	v_add_nc_u32_e32 v60, v60, v72
	v_xor_b32_e32 v63, 1, v63
	v_and_b32_e32 v9, 0x1fffff, v60
	v_add_nc_u32_e32 v60, v9, v72
                                        ; implicit-def: $vgpr9
	v_cmpx_ne_u32_e64 v61, v63
	s_xor_b32 s17, exec_lo, s17
; %bb.1439:                             ;   in Loop: Header=BB2_1296 Depth=4
	v_cmp_lt_u32_e32 vcc_lo, 0xffffff, v60
	v_sub_nc_u32_e32 v9, v61, v63
	v_cndmask_b32_e64 v61, 0, 1, vcc_lo
	v_add_co_ci_u32_e64 v9, null, 0, v9, vcc_lo
	v_lshrrev_b32_e32 v60, v61, v60
; %bb.1440:                             ;   in Loop: Header=BB2_1296 Depth=4
	s_andn2_saveexec_b32 s17, s17
; %bb.1441:                             ;   in Loop: Header=BB2_1296 Depth=4
	v_bfe_u32 v9, v60, 23, 1
; %bb.1442:                             ;   in Loop: Header=BB2_1296 Depth=4
	s_or_b32 exec_lo, exec_lo, s17
	v_lshrrev_b32_e32 v60, 21, v60
	v_min_i32_e32 v61, 31, v9
	v_cmp_gt_i32_e32 vcc_lo, 32, v9
	v_and_b32_sdwa v8, v8, v98 dst_sel:DWORD dst_unused:UNUSED_PAD src0_sel:BYTE_3 src1_sel:DWORD
	v_lshlrev_b32_e32 v61, 2, v61
	v_cndmask_b32_e32 v60, 3, v60, vcc_lo
	v_and_b32_e32 v61, 0xfc, v61
	v_and_b32_e32 v63, 3, v60
	v_or_b32_e32 v9, v9, v60
	v_or3_b32 v8, v8, v61, v63
	v_cmp_ne_u32_e32 vcc_lo, 0, v9
	v_lshlrev_b32_e32 v8, 8, v8
	v_cndmask_b32_e32 v78, 0, v8, vcc_lo
.LBB2_1443:                             ;   in Loop: Header=BB2_1296 Depth=4
	s_or_b32 exec_lo, exec_lo, s75
.LBB2_1444:                             ;   in Loop: Header=BB2_1296 Depth=4
	s_or_b32 exec_lo, exec_lo, s74
	v_and_b32_sdwa v9, v10, v101 dst_sel:DWORD dst_unused:UNUSED_PAD src0_sel:WORD_1 src1_sel:DWORD
	s_mov_b32 s17, 0
	s_mov_b32 s74, exec_lo
	v_cmpx_lt_i16_e32 0x7f, v9
	s_xor_b32 s74, exec_lo, s74
	s_cbranch_execz .LBB2_1866
; %bb.1445:                             ;   in Loop: Header=BB2_1296 Depth=4
	s_mov_b32 s17, -1
	s_mov_b32 s75, exec_lo
	v_cmpx_eq_u16_e32 0x80, v9
; %bb.1446:                             ;   in Loop: Header=BB2_1296 Depth=4
	s_xor_b32 s17, exec_lo, -1
; %bb.1447:                             ;   in Loop: Header=BB2_1296 Depth=4
	s_or_b32 exec_lo, exec_lo, s75
	s_and_b32 s17, s17, exec_lo
                                        ; implicit-def: $vgpr9
	s_or_saveexec_b32 s74, s74
	v_mov_b32_e32 v8, 0x7f800001
	s_xor_b32 exec_lo, exec_lo, s74
	s_cbranch_execnz .LBB2_1867
.LBB2_1448:                             ;   in Loop: Header=BB2_1296 Depth=4
	s_or_b32 exec_lo, exec_lo, s74
	s_and_saveexec_b32 s74, s17
	s_cbranch_execz .LBB2_1450
.LBB2_1449:                             ;   in Loop: Header=BB2_1296 Depth=4
	v_bfe_u32 v8, v10, 16, 2
	v_bfe_u32 v61, v10, 18, 5
	v_lshlrev_b32_e32 v63, 8, v10
	v_ffbh_u32_e32 v9, v8
	v_cmp_eq_u32_e32 vcc_lo, 0, v61
	v_min_u32_e32 v9, 32, v9
	v_subrev_nc_u32_e32 v60, 29, v9
	v_sub_nc_u32_e32 v9, 30, v9
	v_lshlrev_b32_sdwa v60, v60, v10 dst_sel:DWORD dst_unused:UNUSED_PAD src0_sel:DWORD src1_sel:WORD_1
	v_cndmask_b32_e32 v9, v61, v9, vcc_lo
	v_and_b32_e32 v60, 3, v60
	v_lshl_add_u32 v9, v9, 23, 0x37800000
	v_cndmask_b32_e32 v8, v8, v60, vcc_lo
	v_and_b32_e32 v60, 0x80000000, v63
	v_lshlrev_b32_e32 v8, 21, v8
	v_or3_b32 v8, v60, v9, v8
.LBB2_1450:                             ;   in Loop: Header=BB2_1296 Depth=4
	s_or_b32 exec_lo, exec_lo, s74
	v_mul_f32_e32 v8, s73, v8
	v_mov_b32_e32 v72, 0x80
	s_mov_b32 s74, exec_lo
	v_and_b32_e32 v9, 0x7f800000, v8
	v_cmpx_ne_u32_e32 0x7f800000, v9
	s_cbranch_execz .LBB2_1458
; %bb.1451:                             ;   in Loop: Header=BB2_1296 Depth=4
	v_mov_b32_e32 v72, 0
	s_mov_b32 s75, exec_lo
	v_cmpx_ne_u32_e32 0, v8
	s_cbranch_execz .LBB2_1457
; %bb.1452:                             ;   in Loop: Header=BB2_1296 Depth=4
	v_bfe_u32 v9, v8, 23, 8
	v_and_b32_e32 v60, 0x7fffff, v8
	v_sub_nc_u32_e32 v61, 0x70, v9
	v_cmp_gt_u32_e32 vcc_lo, 0x71, v9
	v_or_b32_e32 v63, 0x800000, v60
	v_cndmask_b32_e32 v61, 0, v61, vcc_lo
	v_cmp_eq_u32_e32 vcc_lo, 0, v9
	v_add_nc_u32_e32 v9, 0xffffff91, v9
	v_cndmask_b32_e64 v61, v61, 0x6f, vcc_lo
	v_cndmask_b32_e32 v60, v63, v60, vcc_lo
	v_cndmask_b32_e64 v9, v9, 0xffffff92, vcc_lo
	v_lshl_add_u32 v63, 0x200000, v61, -1
	v_lshrrev_b32_e32 v72, v61, v60
	v_lshlrev_b32_e64 v76, v61, 0x100000
	v_add_nc_u32_e32 v61, v61, v9
	v_and_b32_e32 v60, v63, v60
	v_bfe_u32 v73, v72, 21, 1
	v_cmp_eq_u32_e64 s17, v60, v76
	v_add_nc_u32_e32 v63, -1, v73
	v_cndmask_b32_e64 v60, 0, v63, s17
	v_lshrrev_b32_e32 v63, 23, v72
	s_mov_b32 s17, exec_lo
	v_add_nc_u32_e32 v60, v60, v72
	v_xor_b32_e32 v63, 1, v63
	v_and_b32_e32 v9, 0x1fffff, v60
	v_add_nc_u32_e32 v60, v9, v72
                                        ; implicit-def: $vgpr9
	v_cmpx_ne_u32_e64 v61, v63
	s_xor_b32 s17, exec_lo, s17
; %bb.1453:                             ;   in Loop: Header=BB2_1296 Depth=4
	v_cmp_lt_u32_e32 vcc_lo, 0xffffff, v60
	v_sub_nc_u32_e32 v9, v61, v63
	v_cndmask_b32_e64 v61, 0, 1, vcc_lo
	v_add_co_ci_u32_e64 v9, null, 0, v9, vcc_lo
	v_lshrrev_b32_e32 v60, v61, v60
; %bb.1454:                             ;   in Loop: Header=BB2_1296 Depth=4
	s_andn2_saveexec_b32 s17, s17
; %bb.1455:                             ;   in Loop: Header=BB2_1296 Depth=4
	v_bfe_u32 v9, v60, 23, 1
; %bb.1456:                             ;   in Loop: Header=BB2_1296 Depth=4
	s_or_b32 exec_lo, exec_lo, s17
	v_lshrrev_b32_e32 v60, 21, v60
	v_min_i32_e32 v61, 31, v9
	v_cmp_gt_i32_e32 vcc_lo, 32, v9
	v_and_b32_sdwa v8, v8, v98 dst_sel:DWORD dst_unused:UNUSED_PAD src0_sel:BYTE_3 src1_sel:DWORD
	v_lshlrev_b32_e32 v61, 2, v61
	v_cndmask_b32_e32 v60, 3, v60, vcc_lo
	v_and_b32_e32 v61, 0xfc, v61
	v_and_b32_e32 v63, 3, v60
	v_or_b32_e32 v9, v9, v60
	v_or3_b32 v8, v61, v8, v63
	v_cmp_ne_u32_e32 vcc_lo, 0, v9
	v_cndmask_b32_e32 v72, 0, v8, vcc_lo
.LBB2_1457:                             ;   in Loop: Header=BB2_1296 Depth=4
	s_or_b32 exec_lo, exec_lo, s75
.LBB2_1458:                             ;   in Loop: Header=BB2_1296 Depth=4
	s_or_b32 exec_lo, exec_lo, s74
	v_cmp_gt_i16_sdwa s74, v10, v97 src0_sel:BYTE_3 src1_sel:DWORD
	s_mov_b32 s17, 0
	s_and_saveexec_b32 s75, s74
	s_xor_b32 s74, exec_lo, s75
	s_cbranch_execz .LBB2_1868
; %bb.1459:                             ;   in Loop: Header=BB2_1296 Depth=4
	v_cmp_eq_u16_sdwa s76, v10, v98 src0_sel:BYTE_3 src1_sel:DWORD
	s_mov_b32 s17, -1
	s_and_saveexec_b32 s75, s76
; %bb.1460:                             ;   in Loop: Header=BB2_1296 Depth=4
	s_xor_b32 s17, exec_lo, -1
; %bb.1461:                             ;   in Loop: Header=BB2_1296 Depth=4
	s_or_b32 exec_lo, exec_lo, s75
	s_and_b32 s17, s17, exec_lo
	s_or_saveexec_b32 s74, s74
	v_mov_b32_e32 v8, 0x7f800001
	s_xor_b32 exec_lo, exec_lo, s74
	s_cbranch_execnz .LBB2_1869
.LBB2_1462:                             ;   in Loop: Header=BB2_1296 Depth=4
	s_or_b32 exec_lo, exec_lo, s74
	s_and_saveexec_b32 s74, s17
	s_cbranch_execz .LBB2_1464
.LBB2_1463:                             ;   in Loop: Header=BB2_1296 Depth=4
	v_bfe_u32 v8, v10, 24, 2
	v_bfe_u32 v61, v10, 26, 5
	v_ffbh_u32_e32 v9, v8
	v_cmp_eq_u32_e32 vcc_lo, 0, v61
	v_min_u32_e32 v9, 32, v9
	v_subrev_nc_u32_e32 v60, 29, v9
	v_sub_nc_u32_e32 v9, 30, v9
	v_lshlrev_b32_sdwa v60, v60, v10 dst_sel:DWORD dst_unused:UNUSED_PAD src0_sel:DWORD src1_sel:BYTE_3
	v_cndmask_b32_e32 v9, v61, v9, vcc_lo
	v_and_b32_e32 v10, 0x80000000, v10
	v_and_b32_e32 v60, 3, v60
	v_lshl_add_u32 v9, v9, 23, 0x37800000
	v_cndmask_b32_e32 v8, v8, v60, vcc_lo
	v_lshlrev_b32_e32 v8, 21, v8
	v_or3_b32 v8, v10, v9, v8
.LBB2_1464:                             ;   in Loop: Header=BB2_1296 Depth=4
	s_or_b32 exec_lo, exec_lo, s74
	v_mul_f32_e32 v8, s73, v8
	v_mov_b32_e32 v76, 0x8000
	s_mov_b32 s74, exec_lo
	v_and_b32_e32 v9, 0x7f800000, v8
	v_cmpx_ne_u32_e32 0x7f800000, v9
	s_cbranch_execz .LBB2_1472
; %bb.1465:                             ;   in Loop: Header=BB2_1296 Depth=4
	v_mov_b32_e32 v76, 0
	s_mov_b32 s75, exec_lo
	v_cmpx_ne_u32_e32 0, v8
	s_cbranch_execz .LBB2_1471
; %bb.1466:                             ;   in Loop: Header=BB2_1296 Depth=4
	v_bfe_u32 v9, v8, 23, 8
	v_and_b32_e32 v10, 0x7fffff, v8
	v_sub_nc_u32_e32 v60, 0x70, v9
	v_cmp_gt_u32_e32 vcc_lo, 0x71, v9
	v_or_b32_e32 v61, 0x800000, v10
	v_cndmask_b32_e32 v60, 0, v60, vcc_lo
	v_cmp_eq_u32_e32 vcc_lo, 0, v9
	v_add_nc_u32_e32 v9, 0xffffff91, v9
	v_cndmask_b32_e64 v60, v60, 0x6f, vcc_lo
	v_cndmask_b32_e32 v10, v61, v10, vcc_lo
	v_cndmask_b32_e64 v9, v9, 0xffffff92, vcc_lo
	v_lshl_add_u32 v61, 0x200000, v60, -1
	v_lshrrev_b32_e32 v63, v60, v10
	v_lshlrev_b32_e64 v76, v60, 0x100000
	v_add_nc_u32_e32 v60, v60, v9
	v_and_b32_e32 v10, v61, v10
	v_bfe_u32 v73, v63, 21, 1
	v_cmp_eq_u32_e64 s17, v10, v76
	v_add_nc_u32_e32 v61, -1, v73
	v_cndmask_b32_e64 v10, 0, v61, s17
	v_lshrrev_b32_e32 v61, 23, v63
	s_mov_b32 s17, exec_lo
	v_add_nc_u32_e32 v10, v10, v63
	v_xor_b32_e32 v61, 1, v61
	v_and_b32_e32 v9, 0x1fffff, v10
	v_add_nc_u32_e32 v10, v9, v63
                                        ; implicit-def: $vgpr9
	v_cmpx_ne_u32_e64 v60, v61
	s_xor_b32 s17, exec_lo, s17
; %bb.1467:                             ;   in Loop: Header=BB2_1296 Depth=4
	v_cmp_lt_u32_e32 vcc_lo, 0xffffff, v10
	v_sub_nc_u32_e32 v9, v60, v61
	v_cndmask_b32_e64 v60, 0, 1, vcc_lo
	v_add_co_ci_u32_e64 v9, null, 0, v9, vcc_lo
	v_lshrrev_b32_e32 v10, v60, v10
; %bb.1468:                             ;   in Loop: Header=BB2_1296 Depth=4
	s_andn2_saveexec_b32 s17, s17
; %bb.1469:                             ;   in Loop: Header=BB2_1296 Depth=4
	v_bfe_u32 v9, v10, 23, 1
; %bb.1470:                             ;   in Loop: Header=BB2_1296 Depth=4
	s_or_b32 exec_lo, exec_lo, s17
	v_lshrrev_b32_e32 v10, 21, v10
	v_min_i32_e32 v60, 31, v9
	v_cmp_gt_i32_e32 vcc_lo, 32, v9
	v_and_b32_sdwa v8, v8, v98 dst_sel:DWORD dst_unused:UNUSED_PAD src0_sel:BYTE_3 src1_sel:DWORD
	v_lshlrev_b32_e32 v60, 2, v60
	v_cndmask_b32_e32 v10, 3, v10, vcc_lo
	v_and_b32_e32 v60, 0xfc, v60
	v_and_b32_e32 v61, 3, v10
	v_or_b32_e32 v9, v9, v10
	v_or3_b32 v8, v8, v60, v61
	v_cmp_ne_u32_e32 vcc_lo, 0, v9
	v_lshlrev_b32_e32 v8, 8, v8
	v_cndmask_b32_e32 v76, 0, v8, vcc_lo
.LBB2_1471:                             ;   in Loop: Header=BB2_1296 Depth=4
	s_or_b32 exec_lo, exec_lo, s75
.LBB2_1472:                             ;   in Loop: Header=BB2_1296 Depth=4
	s_or_b32 exec_lo, exec_lo, s74
	v_cmp_gt_i16_sdwa s74, v11, v97 src0_sel:BYTE_0 src1_sel:DWORD
	s_mov_b32 s17, 0
	s_and_saveexec_b32 s75, s74
	s_xor_b32 s74, exec_lo, s75
	s_cbranch_execz .LBB2_1870
; %bb.1473:                             ;   in Loop: Header=BB2_1296 Depth=4
	v_cmp_eq_u16_sdwa s76, v11, v98 src0_sel:BYTE_0 src1_sel:DWORD
	s_mov_b32 s17, -1
	s_and_saveexec_b32 s75, s76
; %bb.1474:                             ;   in Loop: Header=BB2_1296 Depth=4
	s_xor_b32 s17, exec_lo, -1
; %bb.1475:                             ;   in Loop: Header=BB2_1296 Depth=4
	s_or_b32 exec_lo, exec_lo, s75
	s_and_b32 s17, s17, exec_lo
	s_or_saveexec_b32 s74, s74
	v_mov_b32_e32 v8, 0x7f800001
	s_xor_b32 exec_lo, exec_lo, s74
	s_cbranch_execnz .LBB2_1871
.LBB2_1476:                             ;   in Loop: Header=BB2_1296 Depth=4
	s_or_b32 exec_lo, exec_lo, s74
	s_and_saveexec_b32 s74, s17
	s_cbranch_execz .LBB2_1478
.LBB2_1477:                             ;   in Loop: Header=BB2_1296 Depth=4
	v_and_b32_e32 v8, 3, v11
	v_bfe_u32 v60, v11, 2, 5
	v_lshlrev_b32_e32 v61, 24, v11
	v_ffbh_u32_e32 v9, v8
	v_cmp_eq_u32_e32 vcc_lo, 0, v60
	v_min_u32_e32 v9, 32, v9
	v_subrev_nc_u32_e32 v10, 29, v9
	v_sub_nc_u32_e32 v9, 30, v9
	v_lshlrev_b32_e32 v10, v10, v11
	v_cndmask_b32_e32 v9, v60, v9, vcc_lo
	v_and_b32_e32 v10, 3, v10
	v_lshl_add_u32 v9, v9, 23, 0x37800000
	v_cndmask_b32_e32 v8, v8, v10, vcc_lo
	v_and_b32_e32 v10, 0x80000000, v61
	v_lshlrev_b32_e32 v8, 21, v8
	v_or3_b32 v8, v10, v9, v8
.LBB2_1478:                             ;   in Loop: Header=BB2_1296 Depth=4
	s_or_b32 exec_lo, exec_lo, s74
	v_mul_f32_e32 v8, s73, v8
	v_mov_b32_e32 v61, 0x80
	s_mov_b32 s74, exec_lo
	v_and_b32_e32 v9, 0x7f800000, v8
	v_cmpx_ne_u32_e32 0x7f800000, v9
	s_cbranch_execz .LBB2_1486
; %bb.1479:                             ;   in Loop: Header=BB2_1296 Depth=4
	v_mov_b32_e32 v61, 0
	s_mov_b32 s75, exec_lo
	v_cmpx_ne_u32_e32 0, v8
	s_cbranch_execz .LBB2_1485
; %bb.1480:                             ;   in Loop: Header=BB2_1296 Depth=4
	v_bfe_u32 v9, v8, 23, 8
	v_and_b32_e32 v10, 0x7fffff, v8
	v_sub_nc_u32_e32 v60, 0x70, v9
	v_cmp_gt_u32_e32 vcc_lo, 0x71, v9
	v_or_b32_e32 v61, 0x800000, v10
	v_cndmask_b32_e32 v60, 0, v60, vcc_lo
	v_cmp_eq_u32_e32 vcc_lo, 0, v9
	v_add_nc_u32_e32 v9, 0xffffff91, v9
	v_cndmask_b32_e64 v60, v60, 0x6f, vcc_lo
	v_cndmask_b32_e32 v10, v61, v10, vcc_lo
	v_cndmask_b32_e64 v9, v9, 0xffffff92, vcc_lo
	v_lshl_add_u32 v61, 0x200000, v60, -1
	v_lshrrev_b32_e32 v63, v60, v10
	v_lshlrev_b32_e64 v91, v60, 0x100000
	v_add_nc_u32_e32 v60, v60, v9
	v_and_b32_e32 v10, v61, v10
	v_bfe_u32 v73, v63, 21, 1
	v_cmp_eq_u32_e64 s17, v10, v91
	v_add_nc_u32_e32 v61, -1, v73
	v_cndmask_b32_e64 v10, 0, v61, s17
	v_lshrrev_b32_e32 v61, 23, v63
	s_mov_b32 s17, exec_lo
	v_add_nc_u32_e32 v10, v10, v63
	v_xor_b32_e32 v61, 1, v61
	v_and_b32_e32 v9, 0x1fffff, v10
	v_add_nc_u32_e32 v10, v9, v63
                                        ; implicit-def: $vgpr9
	v_cmpx_ne_u32_e64 v60, v61
	s_xor_b32 s17, exec_lo, s17
; %bb.1481:                             ;   in Loop: Header=BB2_1296 Depth=4
	v_cmp_lt_u32_e32 vcc_lo, 0xffffff, v10
	v_sub_nc_u32_e32 v9, v60, v61
	v_cndmask_b32_e64 v60, 0, 1, vcc_lo
	v_add_co_ci_u32_e64 v9, null, 0, v9, vcc_lo
	v_lshrrev_b32_e32 v10, v60, v10
; %bb.1482:                             ;   in Loop: Header=BB2_1296 Depth=4
	s_andn2_saveexec_b32 s17, s17
; %bb.1483:                             ;   in Loop: Header=BB2_1296 Depth=4
	v_bfe_u32 v9, v10, 23, 1
; %bb.1484:                             ;   in Loop: Header=BB2_1296 Depth=4
	s_or_b32 exec_lo, exec_lo, s17
	v_lshrrev_b32_e32 v10, 21, v10
	v_min_i32_e32 v60, 31, v9
	v_cmp_gt_i32_e32 vcc_lo, 32, v9
	v_and_b32_sdwa v8, v8, v98 dst_sel:DWORD dst_unused:UNUSED_PAD src0_sel:BYTE_3 src1_sel:DWORD
	v_lshlrev_b32_e32 v60, 2, v60
	v_cndmask_b32_e32 v10, 3, v10, vcc_lo
	v_and_b32_e32 v60, 0xfc, v60
	v_and_b32_e32 v61, 3, v10
	v_or_b32_e32 v9, v9, v10
	v_or3_b32 v8, v60, v8, v61
	v_cmp_ne_u32_e32 vcc_lo, 0, v9
	v_cndmask_b32_e32 v61, 0, v8, vcc_lo
.LBB2_1485:                             ;   in Loop: Header=BB2_1296 Depth=4
	s_or_b32 exec_lo, exec_lo, s75
.LBB2_1486:                             ;   in Loop: Header=BB2_1296 Depth=4
	s_or_b32 exec_lo, exec_lo, s74
	v_cmp_gt_i16_sdwa s74, v11, v97 src0_sel:BYTE_1 src1_sel:DWORD
	s_mov_b32 s17, 0
	s_and_saveexec_b32 s75, s74
	s_xor_b32 s74, exec_lo, s75
	s_cbranch_execz .LBB2_1872
; %bb.1487:                             ;   in Loop: Header=BB2_1296 Depth=4
	v_cmp_eq_u16_sdwa s76, v11, v98 src0_sel:BYTE_1 src1_sel:DWORD
	s_mov_b32 s17, -1
	s_and_saveexec_b32 s75, s76
; %bb.1488:                             ;   in Loop: Header=BB2_1296 Depth=4
	s_xor_b32 s17, exec_lo, -1
; %bb.1489:                             ;   in Loop: Header=BB2_1296 Depth=4
	s_or_b32 exec_lo, exec_lo, s75
	s_and_b32 s17, s17, exec_lo
	s_or_saveexec_b32 s74, s74
	v_mov_b32_e32 v8, 0x7f800001
	s_xor_b32 exec_lo, exec_lo, s74
	s_cbranch_execnz .LBB2_1873
.LBB2_1490:                             ;   in Loop: Header=BB2_1296 Depth=4
	s_or_b32 exec_lo, exec_lo, s74
	s_and_saveexec_b32 s74, s17
	s_cbranch_execz .LBB2_1492
.LBB2_1491:                             ;   in Loop: Header=BB2_1296 Depth=4
	v_and_b32_sdwa v8, v99, v11 dst_sel:DWORD dst_unused:UNUSED_PAD src0_sel:DWORD src1_sel:BYTE_1
	v_and_b32_e32 v9, 3, v8
	v_bfe_u32 v63, v8, 2, 5
	v_ffbh_u32_e32 v10, v9
	v_cmp_eq_u32_e32 vcc_lo, 0, v63
	v_min_u32_e32 v10, 32, v10
	v_subrev_nc_u32_e32 v60, 29, v10
	v_sub_nc_u32_e32 v10, 30, v10
	v_lshlrev_b32_e32 v8, v60, v8
	v_lshlrev_b32_sdwa v60, v100, v11 dst_sel:DWORD dst_unused:UNUSED_PAD src0_sel:DWORD src1_sel:BYTE_1
	v_cndmask_b32_e32 v10, v63, v10, vcc_lo
	v_and_b32_e32 v8, 3, v8
	v_lshl_add_u32 v10, v10, 23, 0x37800000
	v_cndmask_b32_e32 v8, v9, v8, vcc_lo
	v_and_b32_e32 v9, 0x80000000, v60
	v_lshlrev_b32_e32 v8, 21, v8
	v_or3_b32 v8, v9, v10, v8
.LBB2_1492:                             ;   in Loop: Header=BB2_1296 Depth=4
	s_or_b32 exec_lo, exec_lo, s74
	v_mul_f32_e32 v8, s73, v8
	v_mov_b32_e32 v73, 0x8000
	s_mov_b32 s74, exec_lo
	v_and_b32_e32 v9, 0x7f800000, v8
	v_cmpx_ne_u32_e32 0x7f800000, v9
	s_cbranch_execz .LBB2_1500
; %bb.1493:                             ;   in Loop: Header=BB2_1296 Depth=4
	v_mov_b32_e32 v73, 0
	s_mov_b32 s75, exec_lo
	v_cmpx_ne_u32_e32 0, v8
	s_cbranch_execz .LBB2_1499
; %bb.1494:                             ;   in Loop: Header=BB2_1296 Depth=4
	v_bfe_u32 v9, v8, 23, 8
	v_and_b32_e32 v10, 0x7fffff, v8
	v_sub_nc_u32_e32 v60, 0x70, v9
	v_cmp_gt_u32_e32 vcc_lo, 0x71, v9
	v_or_b32_e32 v63, 0x800000, v10
	v_cndmask_b32_e32 v60, 0, v60, vcc_lo
	v_cmp_eq_u32_e32 vcc_lo, 0, v9
	v_add_nc_u32_e32 v9, 0xffffff91, v9
	v_cndmask_b32_e64 v60, v60, 0x6f, vcc_lo
	v_cndmask_b32_e32 v10, v63, v10, vcc_lo
	v_cndmask_b32_e64 v9, v9, 0xffffff92, vcc_lo
	v_lshl_add_u32 v63, 0x200000, v60, -1
	v_lshrrev_b32_e32 v73, v60, v10
	v_lshlrev_b32_e64 v92, v60, 0x100000
	v_add_nc_u32_e32 v60, v60, v9
	v_and_b32_e32 v10, v63, v10
	v_bfe_u32 v91, v73, 21, 1
	v_cmp_eq_u32_e64 s17, v10, v92
	v_add_nc_u32_e32 v63, -1, v91
	v_cndmask_b32_e64 v10, 0, v63, s17
	v_lshrrev_b32_e32 v63, 23, v73
	s_mov_b32 s17, exec_lo
	v_add_nc_u32_e32 v10, v10, v73
	v_xor_b32_e32 v63, 1, v63
	v_and_b32_e32 v9, 0x1fffff, v10
	v_add_nc_u32_e32 v10, v9, v73
                                        ; implicit-def: $vgpr9
	v_cmpx_ne_u32_e64 v60, v63
	s_xor_b32 s17, exec_lo, s17
; %bb.1495:                             ;   in Loop: Header=BB2_1296 Depth=4
	v_cmp_lt_u32_e32 vcc_lo, 0xffffff, v10
	v_sub_nc_u32_e32 v9, v60, v63
	v_cndmask_b32_e64 v60, 0, 1, vcc_lo
	v_add_co_ci_u32_e64 v9, null, 0, v9, vcc_lo
	v_lshrrev_b32_e32 v10, v60, v10
; %bb.1496:                             ;   in Loop: Header=BB2_1296 Depth=4
	s_andn2_saveexec_b32 s17, s17
; %bb.1497:                             ;   in Loop: Header=BB2_1296 Depth=4
	v_bfe_u32 v9, v10, 23, 1
; %bb.1498:                             ;   in Loop: Header=BB2_1296 Depth=4
	s_or_b32 exec_lo, exec_lo, s17
	v_lshrrev_b32_e32 v10, 21, v10
	v_min_i32_e32 v60, 31, v9
	v_cmp_gt_i32_e32 vcc_lo, 32, v9
	v_and_b32_sdwa v8, v8, v98 dst_sel:DWORD dst_unused:UNUSED_PAD src0_sel:BYTE_3 src1_sel:DWORD
	v_lshlrev_b32_e32 v60, 2, v60
	v_cndmask_b32_e32 v10, 3, v10, vcc_lo
	v_and_b32_e32 v60, 0xfc, v60
	v_and_b32_e32 v63, 3, v10
	v_or_b32_e32 v9, v9, v10
	v_or3_b32 v8, v8, v60, v63
	v_cmp_ne_u32_e32 vcc_lo, 0, v9
	v_lshlrev_b32_e32 v8, 8, v8
	v_cndmask_b32_e32 v73, 0, v8, vcc_lo
.LBB2_1499:                             ;   in Loop: Header=BB2_1296 Depth=4
	s_or_b32 exec_lo, exec_lo, s75
.LBB2_1500:                             ;   in Loop: Header=BB2_1296 Depth=4
	s_or_b32 exec_lo, exec_lo, s74
	v_and_b32_sdwa v9, v11, v101 dst_sel:DWORD dst_unused:UNUSED_PAD src0_sel:WORD_1 src1_sel:DWORD
	s_mov_b32 s17, 0
	s_mov_b32 s74, exec_lo
	v_cmpx_lt_i16_e32 0x7f, v9
	s_xor_b32 s74, exec_lo, s74
	s_cbranch_execz .LBB2_1874
; %bb.1501:                             ;   in Loop: Header=BB2_1296 Depth=4
	s_mov_b32 s17, -1
	s_mov_b32 s75, exec_lo
	v_cmpx_eq_u16_e32 0x80, v9
; %bb.1502:                             ;   in Loop: Header=BB2_1296 Depth=4
	s_xor_b32 s17, exec_lo, -1
; %bb.1503:                             ;   in Loop: Header=BB2_1296 Depth=4
	s_or_b32 exec_lo, exec_lo, s75
	s_and_b32 s17, s17, exec_lo
                                        ; implicit-def: $vgpr9
	s_or_saveexec_b32 s74, s74
	v_mov_b32_e32 v8, 0x7f800001
	s_xor_b32 exec_lo, exec_lo, s74
	s_cbranch_execnz .LBB2_1875
.LBB2_1504:                             ;   in Loop: Header=BB2_1296 Depth=4
	s_or_b32 exec_lo, exec_lo, s74
	s_and_saveexec_b32 s74, s17
	s_cbranch_execz .LBB2_1506
.LBB2_1505:                             ;   in Loop: Header=BB2_1296 Depth=4
	v_bfe_u32 v8, v11, 16, 2
	v_bfe_u32 v60, v11, 18, 5
	v_lshlrev_b32_e32 v63, 8, v11
	v_ffbh_u32_e32 v9, v8
	v_cmp_eq_u32_e32 vcc_lo, 0, v60
	v_min_u32_e32 v9, 32, v9
	v_subrev_nc_u32_e32 v10, 29, v9
	v_sub_nc_u32_e32 v9, 30, v9
	v_lshlrev_b32_sdwa v10, v10, v11 dst_sel:DWORD dst_unused:UNUSED_PAD src0_sel:DWORD src1_sel:WORD_1
	v_cndmask_b32_e32 v9, v60, v9, vcc_lo
	v_and_b32_e32 v10, 3, v10
	v_lshl_add_u32 v9, v9, 23, 0x37800000
	v_cndmask_b32_e32 v8, v8, v10, vcc_lo
	v_and_b32_e32 v10, 0x80000000, v63
	v_lshlrev_b32_e32 v8, 21, v8
	v_or3_b32 v8, v10, v9, v8
.LBB2_1506:                             ;   in Loop: Header=BB2_1296 Depth=4
	s_or_b32 exec_lo, exec_lo, s74
	v_mul_f32_e32 v8, s73, v8
	v_mov_b32_e32 v60, 0x80
	s_mov_b32 s74, exec_lo
	v_and_b32_e32 v9, 0x7f800000, v8
	v_cmpx_ne_u32_e32 0x7f800000, v9
	s_cbranch_execz .LBB2_1514
; %bb.1507:                             ;   in Loop: Header=BB2_1296 Depth=4
	v_mov_b32_e32 v60, 0
	s_mov_b32 s75, exec_lo
	v_cmpx_ne_u32_e32 0, v8
	s_cbranch_execz .LBB2_1513
; %bb.1508:                             ;   in Loop: Header=BB2_1296 Depth=4
	v_bfe_u32 v9, v8, 23, 8
	v_and_b32_e32 v10, 0x7fffff, v8
	v_sub_nc_u32_e32 v60, 0x70, v9
	v_cmp_gt_u32_e32 vcc_lo, 0x71, v9
	v_or_b32_e32 v63, 0x800000, v10
	v_cndmask_b32_e32 v60, 0, v60, vcc_lo
	v_cmp_eq_u32_e32 vcc_lo, 0, v9
	v_add_nc_u32_e32 v9, 0xffffff91, v9
	v_cndmask_b32_e64 v60, v60, 0x6f, vcc_lo
	v_cndmask_b32_e32 v10, v63, v10, vcc_lo
	v_cndmask_b32_e64 v9, v9, 0xffffff92, vcc_lo
	v_lshl_add_u32 v63, 0x200000, v60, -1
	v_lshrrev_b32_e32 v91, v60, v10
	v_lshlrev_b32_e64 v93, v60, 0x100000
	v_add_nc_u32_e32 v60, v60, v9
	v_and_b32_e32 v10, v63, v10
	v_bfe_u32 v92, v91, 21, 1
	v_cmp_eq_u32_e64 s17, v10, v93
	v_add_nc_u32_e32 v63, -1, v92
	v_cndmask_b32_e64 v10, 0, v63, s17
	v_lshrrev_b32_e32 v63, 23, v91
	s_mov_b32 s17, exec_lo
	v_add_nc_u32_e32 v10, v10, v91
	v_xor_b32_e32 v63, 1, v63
	v_and_b32_e32 v9, 0x1fffff, v10
	v_add_nc_u32_e32 v10, v9, v91
                                        ; implicit-def: $vgpr9
	v_cmpx_ne_u32_e64 v60, v63
	s_xor_b32 s17, exec_lo, s17
; %bb.1509:                             ;   in Loop: Header=BB2_1296 Depth=4
	v_cmp_lt_u32_e32 vcc_lo, 0xffffff, v10
	v_sub_nc_u32_e32 v9, v60, v63
	v_cndmask_b32_e64 v60, 0, 1, vcc_lo
	v_add_co_ci_u32_e64 v9, null, 0, v9, vcc_lo
	v_lshrrev_b32_e32 v10, v60, v10
; %bb.1510:                             ;   in Loop: Header=BB2_1296 Depth=4
	s_andn2_saveexec_b32 s17, s17
; %bb.1511:                             ;   in Loop: Header=BB2_1296 Depth=4
	v_bfe_u32 v9, v10, 23, 1
; %bb.1512:                             ;   in Loop: Header=BB2_1296 Depth=4
	s_or_b32 exec_lo, exec_lo, s17
	v_lshrrev_b32_e32 v10, 21, v10
	v_min_i32_e32 v60, 31, v9
	v_cmp_gt_i32_e32 vcc_lo, 32, v9
	v_and_b32_sdwa v8, v8, v98 dst_sel:DWORD dst_unused:UNUSED_PAD src0_sel:BYTE_3 src1_sel:DWORD
	v_lshlrev_b32_e32 v60, 2, v60
	v_cndmask_b32_e32 v10, 3, v10, vcc_lo
	v_and_b32_e32 v60, 0xfc, v60
	v_and_b32_e32 v63, 3, v10
	v_or_b32_e32 v9, v9, v10
	v_or3_b32 v8, v60, v8, v63
	v_cmp_ne_u32_e32 vcc_lo, 0, v9
	v_cndmask_b32_e32 v60, 0, v8, vcc_lo
.LBB2_1513:                             ;   in Loop: Header=BB2_1296 Depth=4
	s_or_b32 exec_lo, exec_lo, s75
.LBB2_1514:                             ;   in Loop: Header=BB2_1296 Depth=4
	s_or_b32 exec_lo, exec_lo, s74
	v_cmp_gt_i16_sdwa s74, v11, v97 src0_sel:BYTE_3 src1_sel:DWORD
	s_mov_b32 s17, 0
	s_and_saveexec_b32 s75, s74
	s_xor_b32 s74, exec_lo, s75
	s_cbranch_execz .LBB2_1876
; %bb.1515:                             ;   in Loop: Header=BB2_1296 Depth=4
	v_cmp_eq_u16_sdwa s76, v11, v98 src0_sel:BYTE_3 src1_sel:DWORD
	s_mov_b32 s17, -1
	s_and_saveexec_b32 s75, s76
; %bb.1516:                             ;   in Loop: Header=BB2_1296 Depth=4
	s_xor_b32 s17, exec_lo, -1
; %bb.1517:                             ;   in Loop: Header=BB2_1296 Depth=4
	s_or_b32 exec_lo, exec_lo, s75
	s_and_b32 s17, s17, exec_lo
	s_or_saveexec_b32 s74, s74
	v_mov_b32_e32 v8, 0x7f800001
	s_xor_b32 exec_lo, exec_lo, s74
	s_cbranch_execnz .LBB2_1877
.LBB2_1518:                             ;   in Loop: Header=BB2_1296 Depth=4
	s_or_b32 exec_lo, exec_lo, s74
	s_and_saveexec_b32 s74, s17
	s_cbranch_execz .LBB2_1520
.LBB2_1519:                             ;   in Loop: Header=BB2_1296 Depth=4
	v_bfe_u32 v8, v11, 24, 2
	v_bfe_u32 v63, v11, 26, 5
	v_ffbh_u32_e32 v9, v8
	v_cmp_eq_u32_e32 vcc_lo, 0, v63
	v_min_u32_e32 v9, 32, v9
	v_subrev_nc_u32_e32 v10, 29, v9
	v_sub_nc_u32_e32 v9, 30, v9
	v_lshlrev_b32_sdwa v10, v10, v11 dst_sel:DWORD dst_unused:UNUSED_PAD src0_sel:DWORD src1_sel:BYTE_3
	v_cndmask_b32_e32 v9, v63, v9, vcc_lo
	v_and_b32_e32 v10, 3, v10
	v_lshl_add_u32 v9, v9, 23, 0x37800000
	v_cndmask_b32_e32 v8, v8, v10, vcc_lo
	v_and_b32_e32 v10, 0x80000000, v11
	v_lshlrev_b32_e32 v8, 21, v8
	v_or3_b32 v8, v10, v9, v8
.LBB2_1520:                             ;   in Loop: Header=BB2_1296 Depth=4
	s_or_b32 exec_lo, exec_lo, s74
	v_mul_f32_e32 v8, s73, v8
	v_mov_b32_e32 v63, 0x8000
	s_mov_b32 s73, exec_lo
	v_and_b32_e32 v9, 0x7f800000, v8
	v_cmpx_ne_u32_e32 0x7f800000, v9
	s_cbranch_execz .LBB2_1528
; %bb.1521:                             ;   in Loop: Header=BB2_1296 Depth=4
	v_mov_b32_e32 v63, 0
	s_mov_b32 s74, exec_lo
	v_cmpx_ne_u32_e32 0, v8
	s_cbranch_execz .LBB2_1527
; %bb.1522:                             ;   in Loop: Header=BB2_1296 Depth=4
	v_bfe_u32 v9, v8, 23, 8
	v_and_b32_e32 v10, 0x7fffff, v8
	v_sub_nc_u32_e32 v11, 0x70, v9
	v_cmp_gt_u32_e32 vcc_lo, 0x71, v9
	v_or_b32_e32 v63, 0x800000, v10
	v_cndmask_b32_e32 v11, 0, v11, vcc_lo
	v_cmp_eq_u32_e32 vcc_lo, 0, v9
	v_add_nc_u32_e32 v9, 0xffffff91, v9
	v_cndmask_b32_e64 v11, v11, 0x6f, vcc_lo
	v_cndmask_b32_e32 v10, v63, v10, vcc_lo
	v_cndmask_b32_e64 v9, v9, 0xffffff92, vcc_lo
	v_lshl_add_u32 v63, 0x200000, v11, -1
	v_lshrrev_b32_e32 v91, v11, v10
	v_lshlrev_b32_e64 v93, v11, 0x100000
	v_add_nc_u32_e32 v11, v11, v9
	v_and_b32_e32 v10, v63, v10
	v_bfe_u32 v92, v91, 21, 1
	v_cmp_eq_u32_e64 s17, v10, v93
	v_add_nc_u32_e32 v63, -1, v92
	v_cndmask_b32_e64 v10, 0, v63, s17
	v_lshrrev_b32_e32 v63, 23, v91
	s_mov_b32 s17, exec_lo
	v_add_nc_u32_e32 v10, v10, v91
	v_xor_b32_e32 v63, 1, v63
	v_and_b32_e32 v9, 0x1fffff, v10
	v_add_nc_u32_e32 v10, v9, v91
                                        ; implicit-def: $vgpr9
	v_cmpx_ne_u32_e64 v11, v63
	s_xor_b32 s17, exec_lo, s17
; %bb.1523:                             ;   in Loop: Header=BB2_1296 Depth=4
	v_cmp_lt_u32_e32 vcc_lo, 0xffffff, v10
	v_sub_nc_u32_e32 v9, v11, v63
	v_cndmask_b32_e64 v11, 0, 1, vcc_lo
	v_add_co_ci_u32_e64 v9, null, 0, v9, vcc_lo
	v_lshrrev_b32_e32 v10, v11, v10
; %bb.1524:                             ;   in Loop: Header=BB2_1296 Depth=4
	s_andn2_saveexec_b32 s17, s17
; %bb.1525:                             ;   in Loop: Header=BB2_1296 Depth=4
	v_bfe_u32 v9, v10, 23, 1
; %bb.1526:                             ;   in Loop: Header=BB2_1296 Depth=4
	s_or_b32 exec_lo, exec_lo, s17
	v_lshrrev_b32_e32 v10, 21, v10
	v_min_i32_e32 v11, 31, v9
	v_cmp_gt_i32_e32 vcc_lo, 32, v9
	v_and_b32_sdwa v8, v8, v98 dst_sel:DWORD dst_unused:UNUSED_PAD src0_sel:BYTE_3 src1_sel:DWORD
	v_lshlrev_b32_e32 v11, 2, v11
	v_cndmask_b32_e32 v10, 3, v10, vcc_lo
	v_and_b32_e32 v11, 0xfc, v11
	v_and_b32_e32 v63, 3, v10
	v_or_b32_e32 v9, v9, v10
	v_or3_b32 v8, v8, v11, v63
	v_cmp_ne_u32_e32 vcc_lo, 0, v9
	v_lshlrev_b32_e32 v8, 8, v8
	v_cndmask_b32_e32 v63, 0, v8, vcc_lo
.LBB2_1527:                             ;   in Loop: Header=BB2_1296 Depth=4
	s_or_b32 exec_lo, exec_lo, s74
.LBB2_1528:                             ;   in Loop: Header=BB2_1296 Depth=4
	s_or_b32 exec_lo, exec_lo, s73
	global_load_dwordx4 v[8:11], v[70:71], off slc
	v_or_b32_e32 v91, v62, v59
	s_mov_b32 s17, 0
	v_cmp_gt_i16_sdwa s73, v91, v97 src0_sel:BYTE_0 src1_sel:DWORD
	s_and_saveexec_b32 s74, s73
	s_xor_b32 s73, exec_lo, s74
	s_cbranch_execz .LBB2_1878
; %bb.1529:                             ;   in Loop: Header=BB2_1296 Depth=4
	v_cmp_eq_u16_sdwa s75, v91, v98 src0_sel:BYTE_0 src1_sel:DWORD
	s_mov_b32 s17, -1
	s_and_saveexec_b32 s74, s75
; %bb.1530:                             ;   in Loop: Header=BB2_1296 Depth=4
	s_xor_b32 s17, exec_lo, -1
; %bb.1531:                             ;   in Loop: Header=BB2_1296 Depth=4
	s_or_b32 exec_lo, exec_lo, s74
	s_and_b32 s17, s17, exec_lo
	s_or_saveexec_b32 s73, s73
	v_mov_b32_e32 v59, 0x7f800001
	s_xor_b32 exec_lo, exec_lo, s73
	s_cbranch_execnz .LBB2_1879
.LBB2_1532:                             ;   in Loop: Header=BB2_1296 Depth=4
	s_or_b32 exec_lo, exec_lo, s73
	s_and_saveexec_b32 s73, s17
	s_cbranch_execz .LBB2_1534
.LBB2_1533:                             ;   in Loop: Header=BB2_1296 Depth=4
	v_and_b32_e32 v59, 3, v91
	v_bfe_u32 v93, v91, 2, 5
	v_lshlrev_b32_e32 v94, 24, v91
	v_ffbh_u32_e32 v62, v59
	v_cmp_eq_u32_e32 vcc_lo, 0, v93
	v_min_u32_e32 v62, 32, v62
	v_subrev_nc_u32_e32 v92, 29, v62
	v_sub_nc_u32_e32 v62, 30, v62
	v_lshlrev_b32_e32 v92, v92, v91
	v_cndmask_b32_e32 v62, v93, v62, vcc_lo
	v_and_b32_e32 v92, 3, v92
	v_lshl_add_u32 v62, v62, 23, 0x37800000
	v_cndmask_b32_e32 v59, v59, v92, vcc_lo
	v_and_b32_e32 v92, 0x80000000, v94
	v_lshlrev_b32_e32 v59, 21, v59
	v_or3_b32 v59, v92, v62, v59
.LBB2_1534:                             ;   in Loop: Header=BB2_1296 Depth=4
	s_or_b32 exec_lo, exec_lo, s73
	s_waitcnt vmcnt(0)
	v_cmp_gt_i16_sdwa s73, v8, v97 src0_sel:BYTE_0 src1_sel:DWORD
	s_mov_b32 s17, 0
	s_and_saveexec_b32 s74, s73
	s_xor_b32 s73, exec_lo, s74
	s_cbranch_execz .LBB2_1880
; %bb.1535:                             ;   in Loop: Header=BB2_1296 Depth=4
	v_cmp_eq_u16_sdwa s75, v8, v98 src0_sel:BYTE_0 src1_sel:DWORD
	s_mov_b32 s17, -1
	s_and_saveexec_b32 s74, s75
; %bb.1536:                             ;   in Loop: Header=BB2_1296 Depth=4
	s_xor_b32 s17, exec_lo, -1
; %bb.1537:                             ;   in Loop: Header=BB2_1296 Depth=4
	s_or_b32 exec_lo, exec_lo, s74
	s_and_b32 s17, s17, exec_lo
	s_or_saveexec_b32 s73, s73
	v_mov_b32_e32 v62, 0x7f800001
	s_xor_b32 exec_lo, exec_lo, s73
	s_cbranch_execnz .LBB2_1881
.LBB2_1538:                             ;   in Loop: Header=BB2_1296 Depth=4
	s_or_b32 exec_lo, exec_lo, s73
	s_and_saveexec_b32 s73, s17
	s_cbranch_execz .LBB2_1540
.LBB2_1539:                             ;   in Loop: Header=BB2_1296 Depth=4
	v_and_b32_e32 v62, 3, v8
	v_bfe_u32 v94, v8, 2, 5
	v_lshlrev_b32_e32 v95, 24, v8
	v_ffbh_u32_e32 v92, v62
	v_cmp_eq_u32_e32 vcc_lo, 0, v94
	v_min_u32_e32 v92, 32, v92
	v_subrev_nc_u32_e32 v93, 29, v92
	v_sub_nc_u32_e32 v92, 30, v92
	v_lshlrev_b32_e32 v93, v93, v8
	v_cndmask_b32_e32 v92, v94, v92, vcc_lo
	v_and_b32_e32 v93, 3, v93
	v_lshl_add_u32 v92, v92, 23, 0x37800000
	v_cndmask_b32_e32 v62, v62, v93, vcc_lo
	v_and_b32_e32 v93, 0x80000000, v95
	v_lshlrev_b32_e32 v62, 21, v62
	v_or3_b32 v62, v93, v92, v62
.LBB2_1540:                             ;   in Loop: Header=BB2_1296 Depth=4
	s_or_b32 exec_lo, exec_lo, s73
	v_add_f32_e32 v62, v59, v62
	v_and_b32_e32 v59, 0x7f800000, v62
	v_cmp_ne_u32_e32 vcc_lo, 0x7f800000, v59
	v_mov_b32_e32 v59, 0x80
	s_and_saveexec_b32 s73, vcc_lo
	s_cbranch_execz .LBB2_1548
; %bb.1541:                             ;   in Loop: Header=BB2_1296 Depth=4
	v_mov_b32_e32 v59, 0
	s_mov_b32 s74, exec_lo
	v_cmpx_ne_u32_e32 0, v62
	s_cbranch_execz .LBB2_1547
; %bb.1542:                             ;   in Loop: Header=BB2_1296 Depth=4
	v_bfe_u32 v59, v62, 23, 8
	v_and_b32_e32 v92, 0x7fffff, v62
	v_sub_nc_u32_e32 v93, 0x70, v59
	v_cmp_gt_u32_e32 vcc_lo, 0x71, v59
	v_or_b32_e32 v94, 0x800000, v92
	v_cndmask_b32_e32 v93, 0, v93, vcc_lo
	v_cmp_eq_u32_e32 vcc_lo, 0, v59
	v_add_nc_u32_e32 v59, 0xffffff91, v59
	v_cndmask_b32_e64 v93, v93, 0x6f, vcc_lo
	v_cndmask_b32_e32 v92, v94, v92, vcc_lo
	v_cndmask_b32_e64 v59, v59, 0xffffff92, vcc_lo
	v_lshl_add_u32 v94, 0x200000, v93, -1
	v_lshrrev_b32_e32 v95, v93, v92
	v_lshlrev_b32_e64 v105, v93, 0x100000
	v_add_nc_u32_e32 v93, v93, v59
	v_and_b32_e32 v92, v94, v92
	v_bfe_u32 v104, v95, 21, 1
	v_cmp_eq_u32_e64 s17, v92, v105
	v_add_nc_u32_e32 v94, -1, v104
	v_cndmask_b32_e64 v92, 0, v94, s17
	v_lshrrev_b32_e32 v94, 23, v95
	s_mov_b32 s17, exec_lo
	v_add_nc_u32_e32 v92, v92, v95
	v_xor_b32_e32 v94, 1, v94
	v_and_b32_e32 v59, 0x1fffff, v92
	v_add_nc_u32_e32 v92, v59, v95
                                        ; implicit-def: $vgpr59
	v_cmpx_ne_u32_e64 v93, v94
	s_xor_b32 s17, exec_lo, s17
; %bb.1543:                             ;   in Loop: Header=BB2_1296 Depth=4
	v_cmp_lt_u32_e32 vcc_lo, 0xffffff, v92
	v_sub_nc_u32_e32 v59, v93, v94
	v_cndmask_b32_e64 v93, 0, 1, vcc_lo
	v_add_co_ci_u32_e64 v59, null, 0, v59, vcc_lo
	v_lshrrev_b32_e32 v92, v93, v92
; %bb.1544:                             ;   in Loop: Header=BB2_1296 Depth=4
	s_andn2_saveexec_b32 s17, s17
; %bb.1545:                             ;   in Loop: Header=BB2_1296 Depth=4
	v_bfe_u32 v59, v92, 23, 1
; %bb.1546:                             ;   in Loop: Header=BB2_1296 Depth=4
	s_or_b32 exec_lo, exec_lo, s17
	v_lshrrev_b32_e32 v92, 21, v92
	v_min_i32_e32 v93, 31, v59
	v_cmp_gt_i32_e32 vcc_lo, 32, v59
	v_and_b32_sdwa v62, v62, v98 dst_sel:DWORD dst_unused:UNUSED_PAD src0_sel:BYTE_3 src1_sel:DWORD
	v_lshlrev_b32_e32 v93, 2, v93
	v_cndmask_b32_e32 v92, 3, v92, vcc_lo
	v_and_b32_e32 v93, 0xfc, v93
	v_and_b32_e32 v94, 3, v92
	v_or_b32_e32 v59, v59, v92
	v_or3_b32 v62, v93, v62, v94
	v_cmp_ne_u32_e32 vcc_lo, 0, v59
	v_cndmask_b32_e32 v59, 0, v62, vcc_lo
.LBB2_1547:                             ;   in Loop: Header=BB2_1296 Depth=4
	s_or_b32 exec_lo, exec_lo, s74
.LBB2_1548:                             ;   in Loop: Header=BB2_1296 Depth=4
	s_or_b32 exec_lo, exec_lo, s73
	v_cmp_gt_i16_sdwa s73, v91, v97 src0_sel:BYTE_1 src1_sel:DWORD
	s_mov_b32 s17, 0
	s_and_saveexec_b32 s74, s73
	s_xor_b32 s73, exec_lo, s74
	s_cbranch_execz .LBB2_1882
; %bb.1549:                             ;   in Loop: Header=BB2_1296 Depth=4
	v_cmp_eq_u16_sdwa s75, v91, v98 src0_sel:BYTE_1 src1_sel:DWORD
	s_mov_b32 s17, -1
	s_and_saveexec_b32 s74, s75
; %bb.1550:                             ;   in Loop: Header=BB2_1296 Depth=4
	s_xor_b32 s17, exec_lo, -1
; %bb.1551:                             ;   in Loop: Header=BB2_1296 Depth=4
	s_or_b32 exec_lo, exec_lo, s74
	s_and_b32 s17, s17, exec_lo
	s_or_saveexec_b32 s73, s73
	v_mov_b32_e32 v62, 0x7f800001
	s_xor_b32 exec_lo, exec_lo, s73
	s_cbranch_execnz .LBB2_1883
.LBB2_1552:                             ;   in Loop: Header=BB2_1296 Depth=4
	s_or_b32 exec_lo, exec_lo, s73
	s_and_saveexec_b32 s73, s17
	s_cbranch_execz .LBB2_1554
.LBB2_1553:                             ;   in Loop: Header=BB2_1296 Depth=4
	v_and_b32_sdwa v62, v99, v91 dst_sel:DWORD dst_unused:UNUSED_PAD src0_sel:DWORD src1_sel:BYTE_1
	v_and_b32_e32 v92, 3, v62
	v_bfe_u32 v95, v62, 2, 5
	v_ffbh_u32_e32 v93, v92
	v_cmp_eq_u32_e32 vcc_lo, 0, v95
	v_min_u32_e32 v93, 32, v93
	v_subrev_nc_u32_e32 v94, 29, v93
	v_sub_nc_u32_e32 v93, 30, v93
	v_lshlrev_b32_e32 v62, v94, v62
	v_lshlrev_b32_sdwa v94, v100, v91 dst_sel:DWORD dst_unused:UNUSED_PAD src0_sel:DWORD src1_sel:BYTE_1
	v_cndmask_b32_e32 v93, v95, v93, vcc_lo
	v_and_b32_e32 v62, 3, v62
	v_lshl_add_u32 v93, v93, 23, 0x37800000
	v_cndmask_b32_e32 v62, v92, v62, vcc_lo
	v_and_b32_e32 v92, 0x80000000, v94
	v_lshlrev_b32_e32 v62, 21, v62
	v_or3_b32 v62, v92, v93, v62
.LBB2_1554:                             ;   in Loop: Header=BB2_1296 Depth=4
	s_or_b32 exec_lo, exec_lo, s73
	v_cmp_gt_i16_sdwa s73, v8, v97 src0_sel:BYTE_1 src1_sel:DWORD
	s_mov_b32 s17, 0
	s_and_saveexec_b32 s74, s73
	s_xor_b32 s73, exec_lo, s74
	s_cbranch_execz .LBB2_1884
; %bb.1555:                             ;   in Loop: Header=BB2_1296 Depth=4
	v_cmp_eq_u16_sdwa s75, v8, v98 src0_sel:BYTE_1 src1_sel:DWORD
	s_mov_b32 s17, -1
	s_and_saveexec_b32 s74, s75
; %bb.1556:                             ;   in Loop: Header=BB2_1296 Depth=4
	s_xor_b32 s17, exec_lo, -1
; %bb.1557:                             ;   in Loop: Header=BB2_1296 Depth=4
	s_or_b32 exec_lo, exec_lo, s74
	s_and_b32 s17, s17, exec_lo
	s_or_saveexec_b32 s73, s73
	v_mov_b32_e32 v92, 0x7f800001
	s_xor_b32 exec_lo, exec_lo, s73
	s_cbranch_execnz .LBB2_1885
.LBB2_1558:                             ;   in Loop: Header=BB2_1296 Depth=4
	s_or_b32 exec_lo, exec_lo, s73
	s_and_saveexec_b32 s73, s17
	s_cbranch_execz .LBB2_1560
.LBB2_1559:                             ;   in Loop: Header=BB2_1296 Depth=4
	v_and_b32_sdwa v92, v99, v8 dst_sel:DWORD dst_unused:UNUSED_PAD src0_sel:DWORD src1_sel:BYTE_1
	v_and_b32_e32 v93, 3, v92
	v_bfe_u32 v104, v92, 2, 5
	v_ffbh_u32_e32 v94, v93
	v_cmp_eq_u32_e32 vcc_lo, 0, v104
	v_min_u32_e32 v94, 32, v94
	v_subrev_nc_u32_e32 v95, 29, v94
	v_sub_nc_u32_e32 v94, 30, v94
	v_lshlrev_b32_e32 v92, v95, v92
	v_lshlrev_b32_sdwa v95, v100, v8 dst_sel:DWORD dst_unused:UNUSED_PAD src0_sel:DWORD src1_sel:BYTE_1
	v_cndmask_b32_e32 v94, v104, v94, vcc_lo
	v_and_b32_e32 v92, 3, v92
	v_lshl_add_u32 v94, v94, 23, 0x37800000
	v_cndmask_b32_e32 v92, v93, v92, vcc_lo
	v_and_b32_e32 v93, 0x80000000, v95
	v_lshlrev_b32_e32 v92, 21, v92
	v_or3_b32 v92, v93, v94, v92
.LBB2_1560:                             ;   in Loop: Header=BB2_1296 Depth=4
	s_or_b32 exec_lo, exec_lo, s73
	v_add_f32_e32 v92, v62, v92
	v_and_b32_e32 v62, 0x7f800000, v92
	v_cmp_ne_u32_e32 vcc_lo, 0x7f800000, v62
	v_mov_b32_e32 v62, 0x8000
	s_and_saveexec_b32 s73, vcc_lo
	s_cbranch_execz .LBB2_1568
; %bb.1561:                             ;   in Loop: Header=BB2_1296 Depth=4
	v_mov_b32_e32 v62, 0
	s_mov_b32 s74, exec_lo
	v_cmpx_ne_u32_e32 0, v92
	s_cbranch_execz .LBB2_1567
; %bb.1562:                             ;   in Loop: Header=BB2_1296 Depth=4
	v_bfe_u32 v62, v92, 23, 8
	v_and_b32_e32 v93, 0x7fffff, v92
	v_sub_nc_u32_e32 v94, 0x70, v62
	v_cmp_gt_u32_e32 vcc_lo, 0x71, v62
	v_or_b32_e32 v95, 0x800000, v93
	v_cndmask_b32_e32 v94, 0, v94, vcc_lo
	v_cmp_eq_u32_e32 vcc_lo, 0, v62
	v_add_nc_u32_e32 v62, 0xffffff91, v62
	v_cndmask_b32_e64 v94, v94, 0x6f, vcc_lo
	v_cndmask_b32_e32 v93, v95, v93, vcc_lo
	v_cndmask_b32_e64 v62, v62, 0xffffff92, vcc_lo
	v_lshl_add_u32 v95, 0x200000, v94, -1
	v_lshrrev_b32_e32 v104, v94, v93
	v_lshlrev_b32_e64 v106, v94, 0x100000
	v_add_nc_u32_e32 v94, v94, v62
	v_and_b32_e32 v93, v95, v93
	v_bfe_u32 v105, v104, 21, 1
	v_cmp_eq_u32_e64 s17, v93, v106
	v_add_nc_u32_e32 v95, -1, v105
	v_cndmask_b32_e64 v93, 0, v95, s17
	v_lshrrev_b32_e32 v95, 23, v104
	s_mov_b32 s17, exec_lo
	v_add_nc_u32_e32 v93, v93, v104
	v_xor_b32_e32 v95, 1, v95
	v_and_b32_e32 v62, 0x1fffff, v93
	v_add_nc_u32_e32 v93, v62, v104
                                        ; implicit-def: $vgpr62
	v_cmpx_ne_u32_e64 v94, v95
	s_xor_b32 s17, exec_lo, s17
; %bb.1563:                             ;   in Loop: Header=BB2_1296 Depth=4
	v_cmp_lt_u32_e32 vcc_lo, 0xffffff, v93
	v_sub_nc_u32_e32 v62, v94, v95
	v_cndmask_b32_e64 v94, 0, 1, vcc_lo
	v_add_co_ci_u32_e64 v62, null, 0, v62, vcc_lo
	v_lshrrev_b32_e32 v93, v94, v93
; %bb.1564:                             ;   in Loop: Header=BB2_1296 Depth=4
	s_andn2_saveexec_b32 s17, s17
; %bb.1565:                             ;   in Loop: Header=BB2_1296 Depth=4
	v_bfe_u32 v62, v93, 23, 1
; %bb.1566:                             ;   in Loop: Header=BB2_1296 Depth=4
	s_or_b32 exec_lo, exec_lo, s17
	v_lshrrev_b32_e32 v93, 21, v93
	v_min_i32_e32 v94, 31, v62
	v_cmp_gt_i32_e32 vcc_lo, 32, v62
	v_and_b32_sdwa v92, v92, v98 dst_sel:DWORD dst_unused:UNUSED_PAD src0_sel:BYTE_3 src1_sel:DWORD
	v_lshlrev_b32_e32 v94, 2, v94
	v_cndmask_b32_e32 v93, 3, v93, vcc_lo
	v_and_b32_e32 v94, 0xfc, v94
	v_and_b32_e32 v95, 3, v93
	v_or_b32_e32 v62, v62, v93
	v_or3_b32 v92, v92, v94, v95
	v_cmp_ne_u32_e32 vcc_lo, 0, v62
	v_lshlrev_b32_e32 v92, 8, v92
	v_cndmask_b32_e32 v62, 0, v92, vcc_lo
.LBB2_1567:                             ;   in Loop: Header=BB2_1296 Depth=4
	s_or_b32 exec_lo, exec_lo, s74
.LBB2_1568:                             ;   in Loop: Header=BB2_1296 Depth=4
	s_or_b32 exec_lo, exec_lo, s73
	v_or_b32_e32 v90, v90, v75
	s_mov_b32 s17, 0
	v_cmp_gt_i16_sdwa s73, v90, v97 src0_sel:BYTE_0 src1_sel:DWORD
	s_and_saveexec_b32 s74, s73
	s_xor_b32 s73, exec_lo, s74
	s_cbranch_execz .LBB2_1886
; %bb.1569:                             ;   in Loop: Header=BB2_1296 Depth=4
	v_cmp_eq_u16_sdwa s75, v90, v98 src0_sel:BYTE_0 src1_sel:DWORD
	s_mov_b32 s17, -1
	s_and_saveexec_b32 s74, s75
; %bb.1570:                             ;   in Loop: Header=BB2_1296 Depth=4
	s_xor_b32 s17, exec_lo, -1
; %bb.1571:                             ;   in Loop: Header=BB2_1296 Depth=4
	s_or_b32 exec_lo, exec_lo, s74
	s_and_b32 s17, s17, exec_lo
	s_or_saveexec_b32 s73, s73
	v_mov_b32_e32 v75, 0x7f800001
	s_xor_b32 exec_lo, exec_lo, s73
	s_cbranch_execnz .LBB2_1887
.LBB2_1572:                             ;   in Loop: Header=BB2_1296 Depth=4
	s_or_b32 exec_lo, exec_lo, s73
	v_lshl_or_b32 v90, v90, 16, v91
	s_and_saveexec_b32 s73, s17
	s_cbranch_execz .LBB2_1574
.LBB2_1573:                             ;   in Loop: Header=BB2_1296 Depth=4
	v_bfe_u32 v75, v90, 16, 2
	v_bfe_u32 v93, v90, 18, 5
	v_lshlrev_b32_e32 v94, 8, v90
	v_ffbh_u32_e32 v91, v75
	v_cmp_eq_u32_e32 vcc_lo, 0, v93
	v_min_u32_e32 v91, 32, v91
	v_subrev_nc_u32_e32 v92, 29, v91
	v_sub_nc_u32_e32 v91, 30, v91
	v_lshlrev_b32_sdwa v92, v92, v90 dst_sel:DWORD dst_unused:UNUSED_PAD src0_sel:DWORD src1_sel:WORD_1
	v_cndmask_b32_e32 v91, v93, v91, vcc_lo
	v_and_b32_e32 v92, 3, v92
	v_lshl_add_u32 v91, v91, 23, 0x37800000
	v_cndmask_b32_e32 v75, v75, v92, vcc_lo
	v_and_b32_e32 v92, 0x80000000, v94
	v_lshlrev_b32_e32 v75, 21, v75
	v_or3_b32 v75, v92, v91, v75
.LBB2_1574:                             ;   in Loop: Header=BB2_1296 Depth=4
	s_or_b32 exec_lo, exec_lo, s73
	v_and_b32_sdwa v92, v8, v101 dst_sel:DWORD dst_unused:UNUSED_PAD src0_sel:WORD_1 src1_sel:DWORD
	s_mov_b32 s17, 0
	s_mov_b32 s73, exec_lo
	v_cmpx_lt_i16_e32 0x7f, v92
	s_xor_b32 s73, exec_lo, s73
	s_cbranch_execz .LBB2_1888
; %bb.1575:                             ;   in Loop: Header=BB2_1296 Depth=4
	s_mov_b32 s17, -1
	s_mov_b32 s74, exec_lo
	v_cmpx_eq_u16_e32 0x80, v92
; %bb.1576:                             ;   in Loop: Header=BB2_1296 Depth=4
	s_xor_b32 s17, exec_lo, -1
; %bb.1577:                             ;   in Loop: Header=BB2_1296 Depth=4
	s_or_b32 exec_lo, exec_lo, s74
	s_and_b32 s17, s17, exec_lo
                                        ; implicit-def: $vgpr92
	s_or_saveexec_b32 s73, s73
	v_mov_b32_e32 v91, 0x7f800001
	s_xor_b32 exec_lo, exec_lo, s73
	s_cbranch_execnz .LBB2_1889
.LBB2_1578:                             ;   in Loop: Header=BB2_1296 Depth=4
	s_or_b32 exec_lo, exec_lo, s73
	s_and_saveexec_b32 s73, s17
	s_cbranch_execz .LBB2_1580
.LBB2_1579:                             ;   in Loop: Header=BB2_1296 Depth=4
	v_and_b32_sdwa v91, v8, v103 dst_sel:DWORD dst_unused:UNUSED_PAD src0_sel:WORD_1 src1_sel:DWORD
	v_bfe_u32 v94, v8, 18, 5
	v_lshlrev_b32_sdwa v95, v100, v8 dst_sel:DWORD dst_unused:UNUSED_PAD src0_sel:DWORD src1_sel:WORD_1
	v_ffbh_u32_e32 v92, v91
	v_cmp_eq_u32_e32 vcc_lo, 0, v94
	v_min_u32_e32 v92, 32, v92
	v_subrev_nc_u32_e32 v93, 29, v92
	v_sub_nc_u32_e32 v92, 30, v92
	v_lshlrev_b32_sdwa v93, v93, v8 dst_sel:DWORD dst_unused:UNUSED_PAD src0_sel:DWORD src1_sel:WORD_1
	v_cndmask_b32_e32 v92, v94, v92, vcc_lo
	v_and_b32_e32 v93, 3, v93
	v_lshl_add_u32 v92, v92, 23, 0x37800000
	v_cndmask_b32_e32 v91, v91, v93, vcc_lo
	v_and_b32_e32 v93, 0x80000000, v95
	v_lshlrev_b32_e32 v91, 21, v91
	v_or3_b32 v91, v93, v92, v91
.LBB2_1580:                             ;   in Loop: Header=BB2_1296 Depth=4
	s_or_b32 exec_lo, exec_lo, s73
	v_add_f32_e32 v91, v75, v91
	v_and_b32_e32 v75, 0x7f800000, v91
	v_cmp_ne_u32_e32 vcc_lo, 0x7f800000, v75
	v_mov_b32_e32 v75, 0x80
	s_and_saveexec_b32 s73, vcc_lo
	s_cbranch_execz .LBB2_1588
; %bb.1581:                             ;   in Loop: Header=BB2_1296 Depth=4
	v_mov_b32_e32 v75, 0
	s_mov_b32 s74, exec_lo
	v_cmpx_ne_u32_e32 0, v91
	s_cbranch_execz .LBB2_1587
; %bb.1582:                             ;   in Loop: Header=BB2_1296 Depth=4
	v_bfe_u32 v75, v91, 23, 8
	v_and_b32_e32 v92, 0x7fffff, v91
	v_sub_nc_u32_e32 v93, 0x70, v75
	v_cmp_gt_u32_e32 vcc_lo, 0x71, v75
	v_or_b32_e32 v94, 0x800000, v92
	v_cndmask_b32_e32 v93, 0, v93, vcc_lo
	v_cmp_eq_u32_e32 vcc_lo, 0, v75
	v_add_nc_u32_e32 v75, 0xffffff91, v75
	v_cndmask_b32_e64 v93, v93, 0x6f, vcc_lo
	v_cndmask_b32_e32 v92, v94, v92, vcc_lo
	v_cndmask_b32_e64 v75, v75, 0xffffff92, vcc_lo
	v_lshl_add_u32 v94, 0x200000, v93, -1
	v_lshrrev_b32_e32 v95, v93, v92
	v_lshlrev_b32_e64 v105, v93, 0x100000
	v_add_nc_u32_e32 v93, v93, v75
	v_and_b32_e32 v92, v94, v92
	v_bfe_u32 v104, v95, 21, 1
	v_cmp_eq_u32_e64 s17, v92, v105
	v_add_nc_u32_e32 v94, -1, v104
	v_cndmask_b32_e64 v92, 0, v94, s17
	v_lshrrev_b32_e32 v94, 23, v95
	s_mov_b32 s17, exec_lo
	v_add_nc_u32_e32 v92, v92, v95
	v_xor_b32_e32 v94, 1, v94
	v_and_b32_e32 v75, 0x1fffff, v92
	v_add_nc_u32_e32 v92, v75, v95
                                        ; implicit-def: $vgpr75
	v_cmpx_ne_u32_e64 v93, v94
	s_xor_b32 s17, exec_lo, s17
; %bb.1583:                             ;   in Loop: Header=BB2_1296 Depth=4
	v_cmp_lt_u32_e32 vcc_lo, 0xffffff, v92
	v_sub_nc_u32_e32 v75, v93, v94
	v_cndmask_b32_e64 v93, 0, 1, vcc_lo
	v_add_co_ci_u32_e64 v75, null, 0, v75, vcc_lo
	v_lshrrev_b32_e32 v92, v93, v92
; %bb.1584:                             ;   in Loop: Header=BB2_1296 Depth=4
	s_andn2_saveexec_b32 s17, s17
; %bb.1585:                             ;   in Loop: Header=BB2_1296 Depth=4
	v_bfe_u32 v75, v92, 23, 1
; %bb.1586:                             ;   in Loop: Header=BB2_1296 Depth=4
	s_or_b32 exec_lo, exec_lo, s17
	v_lshrrev_b32_e32 v92, 21, v92
	v_min_i32_e32 v93, 31, v75
	v_cmp_gt_i32_e32 vcc_lo, 32, v75
	v_and_b32_sdwa v91, v91, v98 dst_sel:DWORD dst_unused:UNUSED_PAD src0_sel:BYTE_3 src1_sel:DWORD
	v_lshlrev_b32_e32 v93, 2, v93
	v_cndmask_b32_e32 v92, 3, v92, vcc_lo
	v_and_b32_e32 v93, 0xfc, v93
	v_and_b32_e32 v94, 3, v92
	v_or_b32_e32 v75, v75, v92
	v_or3_b32 v91, v93, v91, v94
	v_cmp_ne_u32_e32 vcc_lo, 0, v75
	v_cndmask_b32_e32 v75, 0, v91, vcc_lo
.LBB2_1587:                             ;   in Loop: Header=BB2_1296 Depth=4
	s_or_b32 exec_lo, exec_lo, s74
.LBB2_1588:                             ;   in Loop: Header=BB2_1296 Depth=4
	s_or_b32 exec_lo, exec_lo, s73
	v_cmp_gt_i16_sdwa s73, v90, v97 src0_sel:BYTE_3 src1_sel:DWORD
	s_mov_b32 s17, 0
	s_and_saveexec_b32 s74, s73
	s_xor_b32 s73, exec_lo, s74
	s_cbranch_execz .LBB2_1890
; %bb.1589:                             ;   in Loop: Header=BB2_1296 Depth=4
	v_cmp_eq_u16_sdwa s75, v90, v98 src0_sel:BYTE_3 src1_sel:DWORD
	s_mov_b32 s17, -1
	s_and_saveexec_b32 s74, s75
; %bb.1590:                             ;   in Loop: Header=BB2_1296 Depth=4
	s_xor_b32 s17, exec_lo, -1
; %bb.1591:                             ;   in Loop: Header=BB2_1296 Depth=4
	s_or_b32 exec_lo, exec_lo, s74
	s_and_b32 s17, s17, exec_lo
	s_or_saveexec_b32 s73, s73
	v_mov_b32_e32 v91, 0x7f800001
	s_xor_b32 exec_lo, exec_lo, s73
	s_cbranch_execnz .LBB2_1891
.LBB2_1592:                             ;   in Loop: Header=BB2_1296 Depth=4
	s_or_b32 exec_lo, exec_lo, s73
	s_and_saveexec_b32 s73, s17
	s_cbranch_execz .LBB2_1594
.LBB2_1593:                             ;   in Loop: Header=BB2_1296 Depth=4
	v_bfe_u32 v91, v90, 24, 2
	v_bfe_u32 v94, v90, 26, 5
	v_ffbh_u32_e32 v92, v91
	v_cmp_eq_u32_e32 vcc_lo, 0, v94
	v_min_u32_e32 v92, 32, v92
	v_subrev_nc_u32_e32 v93, 29, v92
	v_sub_nc_u32_e32 v92, 30, v92
	v_lshlrev_b32_sdwa v93, v93, v90 dst_sel:DWORD dst_unused:UNUSED_PAD src0_sel:DWORD src1_sel:BYTE_3
	v_cndmask_b32_e32 v92, v94, v92, vcc_lo
	v_and_b32_e32 v90, 0x80000000, v90
	v_and_b32_e32 v93, 3, v93
	v_lshl_add_u32 v92, v92, 23, 0x37800000
	v_cndmask_b32_e32 v91, v91, v93, vcc_lo
	v_lshlrev_b32_e32 v91, 21, v91
	v_or3_b32 v91, v90, v92, v91
.LBB2_1594:                             ;   in Loop: Header=BB2_1296 Depth=4
	s_or_b32 exec_lo, exec_lo, s73
	v_cmp_gt_i16_sdwa s73, v8, v97 src0_sel:BYTE_3 src1_sel:DWORD
	s_mov_b32 s17, 0
	s_and_saveexec_b32 s74, s73
	s_xor_b32 s73, exec_lo, s74
	s_cbranch_execz .LBB2_1892
; %bb.1595:                             ;   in Loop: Header=BB2_1296 Depth=4
	v_cmp_eq_u16_sdwa s75, v8, v98 src0_sel:BYTE_3 src1_sel:DWORD
	s_mov_b32 s17, -1
	s_and_saveexec_b32 s74, s75
; %bb.1596:                             ;   in Loop: Header=BB2_1296 Depth=4
	s_xor_b32 s17, exec_lo, -1
; %bb.1597:                             ;   in Loop: Header=BB2_1296 Depth=4
	s_or_b32 exec_lo, exec_lo, s74
	s_and_b32 s17, s17, exec_lo
	s_or_saveexec_b32 s73, s73
	v_mov_b32_e32 v90, 0x7f800001
	s_xor_b32 exec_lo, exec_lo, s73
	s_cbranch_execnz .LBB2_1893
.LBB2_1598:                             ;   in Loop: Header=BB2_1296 Depth=4
	s_or_b32 exec_lo, exec_lo, s73
	s_and_saveexec_b32 s73, s17
	s_cbranch_execz .LBB2_1600
.LBB2_1599:                             ;   in Loop: Header=BB2_1296 Depth=4
	v_and_b32_sdwa v90, v8, v103 dst_sel:DWORD dst_unused:UNUSED_PAD src0_sel:BYTE_3 src1_sel:DWORD
	v_bfe_u32 v94, v8, 26, 5
	v_ffbh_u32_e32 v92, v90
	v_cmp_eq_u32_e32 vcc_lo, 0, v94
	v_min_u32_e32 v92, 32, v92
	v_subrev_nc_u32_e32 v93, 29, v92
	v_sub_nc_u32_e32 v92, 30, v92
	v_lshlrev_b32_sdwa v93, v93, v8 dst_sel:DWORD dst_unused:UNUSED_PAD src0_sel:DWORD src1_sel:BYTE_3
	v_cndmask_b32_e32 v92, v94, v92, vcc_lo
	v_and_b32_e32 v8, 0x80000000, v8
	v_and_b32_e32 v93, 3, v93
	v_lshl_add_u32 v92, v92, 23, 0x37800000
	v_cndmask_b32_e32 v90, v90, v93, vcc_lo
	v_lshlrev_b32_e32 v90, 21, v90
	v_or3_b32 v90, v8, v92, v90
.LBB2_1600:                             ;   in Loop: Header=BB2_1296 Depth=4
	s_or_b32 exec_lo, exec_lo, s73
	v_add_f32_e32 v90, v91, v90
	v_and_b32_e32 v8, 0x7f800000, v90
	v_cmp_ne_u32_e32 vcc_lo, 0x7f800000, v8
	v_mov_b32_e32 v8, 0x8000
	s_and_saveexec_b32 s73, vcc_lo
	s_cbranch_execz .LBB2_1608
; %bb.1601:                             ;   in Loop: Header=BB2_1296 Depth=4
	v_mov_b32_e32 v8, 0
	s_mov_b32 s74, exec_lo
	v_cmpx_ne_u32_e32 0, v90
	s_cbranch_execz .LBB2_1607
; %bb.1602:                             ;   in Loop: Header=BB2_1296 Depth=4
	v_bfe_u32 v8, v90, 23, 8
	v_and_b32_e32 v91, 0x7fffff, v90
	v_sub_nc_u32_e32 v92, 0x70, v8
	v_cmp_gt_u32_e32 vcc_lo, 0x71, v8
	v_or_b32_e32 v93, 0x800000, v91
	v_cndmask_b32_e32 v92, 0, v92, vcc_lo
	v_cmp_eq_u32_e32 vcc_lo, 0, v8
	v_add_nc_u32_e32 v8, 0xffffff91, v8
	v_cndmask_b32_e64 v92, v92, 0x6f, vcc_lo
	v_cndmask_b32_e32 v91, v93, v91, vcc_lo
	v_cndmask_b32_e64 v8, v8, 0xffffff92, vcc_lo
	v_lshl_add_u32 v93, 0x200000, v92, -1
	v_lshrrev_b32_e32 v94, v92, v91
	v_lshlrev_b32_e64 v104, v92, 0x100000
	v_add_nc_u32_e32 v92, v92, v8
	v_and_b32_e32 v91, v93, v91
	v_bfe_u32 v95, v94, 21, 1
	v_cmp_eq_u32_e64 s17, v91, v104
	v_add_nc_u32_e32 v93, -1, v95
	v_cndmask_b32_e64 v91, 0, v93, s17
	v_lshrrev_b32_e32 v93, 23, v94
	s_mov_b32 s17, exec_lo
	v_add_nc_u32_e32 v91, v91, v94
	v_xor_b32_e32 v93, 1, v93
	v_and_b32_e32 v8, 0x1fffff, v91
	v_add_nc_u32_e32 v91, v8, v94
                                        ; implicit-def: $vgpr8
	v_cmpx_ne_u32_e64 v92, v93
	s_xor_b32 s17, exec_lo, s17
; %bb.1603:                             ;   in Loop: Header=BB2_1296 Depth=4
	v_cmp_lt_u32_e32 vcc_lo, 0xffffff, v91
	v_sub_nc_u32_e32 v8, v92, v93
	v_cndmask_b32_e64 v92, 0, 1, vcc_lo
	v_add_co_ci_u32_e64 v8, null, 0, v8, vcc_lo
	v_lshrrev_b32_e32 v91, v92, v91
; %bb.1604:                             ;   in Loop: Header=BB2_1296 Depth=4
	s_andn2_saveexec_b32 s17, s17
; %bb.1605:                             ;   in Loop: Header=BB2_1296 Depth=4
	v_bfe_u32 v8, v91, 23, 1
; %bb.1606:                             ;   in Loop: Header=BB2_1296 Depth=4
	s_or_b32 exec_lo, exec_lo, s17
	v_lshrrev_b32_e32 v91, 21, v91
	v_min_i32_e32 v92, 31, v8
	v_cmp_gt_i32_e32 vcc_lo, 32, v8
	v_and_b32_sdwa v90, v90, v98 dst_sel:DWORD dst_unused:UNUSED_PAD src0_sel:BYTE_3 src1_sel:DWORD
	v_lshlrev_b32_e32 v92, 2, v92
	v_cndmask_b32_e32 v91, 3, v91, vcc_lo
	v_and_b32_e32 v92, 0xfc, v92
	v_and_b32_e32 v93, 3, v91
	v_or_b32_e32 v8, v8, v91
	v_or3_b32 v90, v90, v92, v93
	v_cmp_ne_u32_e32 vcc_lo, 0, v8
	v_lshlrev_b32_e32 v90, 8, v90
	v_cndmask_b32_e32 v8, 0, v90, vcc_lo
.LBB2_1607:                             ;   in Loop: Header=BB2_1296 Depth=4
	s_or_b32 exec_lo, exec_lo, s74
.LBB2_1608:                             ;   in Loop: Header=BB2_1296 Depth=4
	s_or_b32 exec_lo, exec_lo, s73
	v_or_b32_e32 v90, v89, v79
	s_mov_b32 s17, 0
	v_cmp_gt_i16_sdwa s73, v90, v97 src0_sel:BYTE_0 src1_sel:DWORD
	s_and_saveexec_b32 s74, s73
	s_xor_b32 s73, exec_lo, s74
	s_cbranch_execz .LBB2_1894
; %bb.1609:                             ;   in Loop: Header=BB2_1296 Depth=4
	v_cmp_eq_u16_sdwa s75, v90, v98 src0_sel:BYTE_0 src1_sel:DWORD
	s_mov_b32 s17, -1
	s_and_saveexec_b32 s74, s75
; %bb.1610:                             ;   in Loop: Header=BB2_1296 Depth=4
	s_xor_b32 s17, exec_lo, -1
; %bb.1611:                             ;   in Loop: Header=BB2_1296 Depth=4
	s_or_b32 exec_lo, exec_lo, s74
	s_and_b32 s17, s17, exec_lo
	s_or_saveexec_b32 s73, s73
	v_mov_b32_e32 v79, 0x7f800001
	s_xor_b32 exec_lo, exec_lo, s73
	s_cbranch_execnz .LBB2_1895
.LBB2_1612:                             ;   in Loop: Header=BB2_1296 Depth=4
	s_or_b32 exec_lo, exec_lo, s73
	s_and_saveexec_b32 s73, s17
	s_cbranch_execz .LBB2_1614
.LBB2_1613:                             ;   in Loop: Header=BB2_1296 Depth=4
	v_and_b32_e32 v79, 3, v90
	v_bfe_u32 v92, v90, 2, 5
	v_lshlrev_b32_e32 v93, 24, v90
	v_ffbh_u32_e32 v89, v79
	v_cmp_eq_u32_e32 vcc_lo, 0, v92
	v_min_u32_e32 v89, 32, v89
	v_subrev_nc_u32_e32 v91, 29, v89
	v_sub_nc_u32_e32 v89, 30, v89
	v_lshlrev_b32_e32 v91, v91, v90
	v_cndmask_b32_e32 v89, v92, v89, vcc_lo
	v_and_b32_e32 v91, 3, v91
	v_lshl_add_u32 v89, v89, 23, 0x37800000
	v_cndmask_b32_e32 v79, v79, v91, vcc_lo
	v_and_b32_e32 v91, 0x80000000, v93
	v_lshlrev_b32_e32 v79, 21, v79
	v_or3_b32 v79, v91, v89, v79
.LBB2_1614:                             ;   in Loop: Header=BB2_1296 Depth=4
	s_or_b32 exec_lo, exec_lo, s73
	v_cmp_gt_i16_sdwa s73, v9, v97 src0_sel:BYTE_0 src1_sel:DWORD
	s_mov_b32 s17, 0
	s_and_saveexec_b32 s74, s73
	s_xor_b32 s73, exec_lo, s74
	s_cbranch_execz .LBB2_1896
; %bb.1615:                             ;   in Loop: Header=BB2_1296 Depth=4
	v_cmp_eq_u16_sdwa s75, v9, v98 src0_sel:BYTE_0 src1_sel:DWORD
	s_mov_b32 s17, -1
	s_and_saveexec_b32 s74, s75
; %bb.1616:                             ;   in Loop: Header=BB2_1296 Depth=4
	s_xor_b32 s17, exec_lo, -1
; %bb.1617:                             ;   in Loop: Header=BB2_1296 Depth=4
	s_or_b32 exec_lo, exec_lo, s74
	s_and_b32 s17, s17, exec_lo
	s_or_saveexec_b32 s73, s73
	v_mov_b32_e32 v89, 0x7f800001
	s_xor_b32 exec_lo, exec_lo, s73
	s_cbranch_execnz .LBB2_1897
.LBB2_1618:                             ;   in Loop: Header=BB2_1296 Depth=4
	s_or_b32 exec_lo, exec_lo, s73
	s_and_saveexec_b32 s73, s17
	s_cbranch_execz .LBB2_1620
.LBB2_1619:                             ;   in Loop: Header=BB2_1296 Depth=4
	v_and_b32_e32 v89, 3, v9
	v_bfe_u32 v93, v9, 2, 5
	v_lshlrev_b32_e32 v94, 24, v9
	v_ffbh_u32_e32 v91, v89
	v_cmp_eq_u32_e32 vcc_lo, 0, v93
	v_min_u32_e32 v91, 32, v91
	v_subrev_nc_u32_e32 v92, 29, v91
	v_sub_nc_u32_e32 v91, 30, v91
	v_lshlrev_b32_e32 v92, v92, v9
	v_cndmask_b32_e32 v91, v93, v91, vcc_lo
	v_and_b32_e32 v92, 3, v92
	v_lshl_add_u32 v91, v91, 23, 0x37800000
	v_cndmask_b32_e32 v89, v89, v92, vcc_lo
	v_and_b32_e32 v92, 0x80000000, v94
	v_lshlrev_b32_e32 v89, 21, v89
	v_or3_b32 v89, v92, v91, v89
.LBB2_1620:                             ;   in Loop: Header=BB2_1296 Depth=4
	s_or_b32 exec_lo, exec_lo, s73
	v_add_f32_e32 v89, v79, v89
	v_and_b32_e32 v79, 0x7f800000, v89
	v_cmp_ne_u32_e32 vcc_lo, 0x7f800000, v79
	v_mov_b32_e32 v79, 0x80
	s_and_saveexec_b32 s73, vcc_lo
	s_cbranch_execz .LBB2_1628
; %bb.1621:                             ;   in Loop: Header=BB2_1296 Depth=4
	v_mov_b32_e32 v79, 0
	s_mov_b32 s74, exec_lo
	v_cmpx_ne_u32_e32 0, v89
	s_cbranch_execz .LBB2_1627
; %bb.1622:                             ;   in Loop: Header=BB2_1296 Depth=4
	v_bfe_u32 v79, v89, 23, 8
	v_and_b32_e32 v91, 0x7fffff, v89
	v_sub_nc_u32_e32 v92, 0x70, v79
	v_cmp_gt_u32_e32 vcc_lo, 0x71, v79
	v_or_b32_e32 v93, 0x800000, v91
	v_cndmask_b32_e32 v92, 0, v92, vcc_lo
	v_cmp_eq_u32_e32 vcc_lo, 0, v79
	v_add_nc_u32_e32 v79, 0xffffff91, v79
	v_cndmask_b32_e64 v92, v92, 0x6f, vcc_lo
	v_cndmask_b32_e32 v91, v93, v91, vcc_lo
	v_cndmask_b32_e64 v79, v79, 0xffffff92, vcc_lo
	v_lshl_add_u32 v93, 0x200000, v92, -1
	v_lshrrev_b32_e32 v94, v92, v91
	v_lshlrev_b32_e64 v104, v92, 0x100000
	v_add_nc_u32_e32 v92, v92, v79
	v_and_b32_e32 v91, v93, v91
	v_bfe_u32 v95, v94, 21, 1
	v_cmp_eq_u32_e64 s17, v91, v104
	v_add_nc_u32_e32 v93, -1, v95
	v_cndmask_b32_e64 v91, 0, v93, s17
	v_lshrrev_b32_e32 v93, 23, v94
	s_mov_b32 s17, exec_lo
	v_add_nc_u32_e32 v91, v91, v94
	v_xor_b32_e32 v93, 1, v93
	v_and_b32_e32 v79, 0x1fffff, v91
	v_add_nc_u32_e32 v91, v79, v94
                                        ; implicit-def: $vgpr79
	v_cmpx_ne_u32_e64 v92, v93
	s_xor_b32 s17, exec_lo, s17
; %bb.1623:                             ;   in Loop: Header=BB2_1296 Depth=4
	v_cmp_lt_u32_e32 vcc_lo, 0xffffff, v91
	v_sub_nc_u32_e32 v79, v92, v93
	v_cndmask_b32_e64 v92, 0, 1, vcc_lo
	v_add_co_ci_u32_e64 v79, null, 0, v79, vcc_lo
	v_lshrrev_b32_e32 v91, v92, v91
; %bb.1624:                             ;   in Loop: Header=BB2_1296 Depth=4
	s_andn2_saveexec_b32 s17, s17
; %bb.1625:                             ;   in Loop: Header=BB2_1296 Depth=4
	v_bfe_u32 v79, v91, 23, 1
; %bb.1626:                             ;   in Loop: Header=BB2_1296 Depth=4
	s_or_b32 exec_lo, exec_lo, s17
	v_lshrrev_b32_e32 v91, 21, v91
	v_min_i32_e32 v92, 31, v79
	v_cmp_gt_i32_e32 vcc_lo, 32, v79
	v_and_b32_sdwa v89, v89, v98 dst_sel:DWORD dst_unused:UNUSED_PAD src0_sel:BYTE_3 src1_sel:DWORD
	v_lshlrev_b32_e32 v92, 2, v92
	v_cndmask_b32_e32 v91, 3, v91, vcc_lo
	v_and_b32_e32 v92, 0xfc, v92
	v_and_b32_e32 v93, 3, v91
	v_or_b32_e32 v79, v79, v91
	v_or3_b32 v89, v92, v89, v93
	v_cmp_ne_u32_e32 vcc_lo, 0, v79
	v_cndmask_b32_e32 v79, 0, v89, vcc_lo
.LBB2_1627:                             ;   in Loop: Header=BB2_1296 Depth=4
	s_or_b32 exec_lo, exec_lo, s74
.LBB2_1628:                             ;   in Loop: Header=BB2_1296 Depth=4
	s_or_b32 exec_lo, exec_lo, s73
	v_cmp_gt_i16_sdwa s73, v90, v97 src0_sel:BYTE_1 src1_sel:DWORD
	s_mov_b32 s17, 0
	s_and_saveexec_b32 s74, s73
	s_xor_b32 s73, exec_lo, s74
	s_cbranch_execz .LBB2_1898
; %bb.1629:                             ;   in Loop: Header=BB2_1296 Depth=4
	v_cmp_eq_u16_sdwa s75, v90, v98 src0_sel:BYTE_1 src1_sel:DWORD
	s_mov_b32 s17, -1
	s_and_saveexec_b32 s74, s75
; %bb.1630:                             ;   in Loop: Header=BB2_1296 Depth=4
	s_xor_b32 s17, exec_lo, -1
; %bb.1631:                             ;   in Loop: Header=BB2_1296 Depth=4
	s_or_b32 exec_lo, exec_lo, s74
	s_and_b32 s17, s17, exec_lo
	s_or_saveexec_b32 s73, s73
	v_mov_b32_e32 v89, 0x7f800001
	s_xor_b32 exec_lo, exec_lo, s73
	s_cbranch_execnz .LBB2_1899
.LBB2_1632:                             ;   in Loop: Header=BB2_1296 Depth=4
	s_or_b32 exec_lo, exec_lo, s73
	s_and_saveexec_b32 s73, s17
	s_cbranch_execz .LBB2_1634
.LBB2_1633:                             ;   in Loop: Header=BB2_1296 Depth=4
	v_and_b32_sdwa v89, v99, v90 dst_sel:DWORD dst_unused:UNUSED_PAD src0_sel:DWORD src1_sel:BYTE_1
	v_and_b32_e32 v91, 3, v89
	v_bfe_u32 v94, v89, 2, 5
	v_ffbh_u32_e32 v92, v91
	v_cmp_eq_u32_e32 vcc_lo, 0, v94
	v_min_u32_e32 v92, 32, v92
	v_subrev_nc_u32_e32 v93, 29, v92
	v_sub_nc_u32_e32 v92, 30, v92
	v_lshlrev_b32_e32 v89, v93, v89
	v_lshlrev_b32_sdwa v93, v100, v90 dst_sel:DWORD dst_unused:UNUSED_PAD src0_sel:DWORD src1_sel:BYTE_1
	v_cndmask_b32_e32 v92, v94, v92, vcc_lo
	v_and_b32_e32 v89, 3, v89
	v_lshl_add_u32 v92, v92, 23, 0x37800000
	v_cndmask_b32_e32 v89, v91, v89, vcc_lo
	v_and_b32_e32 v91, 0x80000000, v93
	v_lshlrev_b32_e32 v89, 21, v89
	v_or3_b32 v89, v91, v92, v89
.LBB2_1634:                             ;   in Loop: Header=BB2_1296 Depth=4
	s_or_b32 exec_lo, exec_lo, s73
	v_cmp_gt_i16_sdwa s73, v9, v97 src0_sel:BYTE_1 src1_sel:DWORD
	s_mov_b32 s17, 0
	s_and_saveexec_b32 s74, s73
	s_xor_b32 s73, exec_lo, s74
	s_cbranch_execz .LBB2_1900
; %bb.1635:                             ;   in Loop: Header=BB2_1296 Depth=4
	v_cmp_eq_u16_sdwa s75, v9, v98 src0_sel:BYTE_1 src1_sel:DWORD
	s_mov_b32 s17, -1
	s_and_saveexec_b32 s74, s75
; %bb.1636:                             ;   in Loop: Header=BB2_1296 Depth=4
	s_xor_b32 s17, exec_lo, -1
; %bb.1637:                             ;   in Loop: Header=BB2_1296 Depth=4
	s_or_b32 exec_lo, exec_lo, s74
	s_and_b32 s17, s17, exec_lo
	s_or_saveexec_b32 s73, s73
	v_mov_b32_e32 v91, 0x7f800001
	s_xor_b32 exec_lo, exec_lo, s73
	s_cbranch_execnz .LBB2_1901
.LBB2_1638:                             ;   in Loop: Header=BB2_1296 Depth=4
	s_or_b32 exec_lo, exec_lo, s73
	s_and_saveexec_b32 s73, s17
	s_cbranch_execz .LBB2_1640
.LBB2_1639:                             ;   in Loop: Header=BB2_1296 Depth=4
	v_and_b32_sdwa v91, v99, v9 dst_sel:DWORD dst_unused:UNUSED_PAD src0_sel:DWORD src1_sel:BYTE_1
	v_and_b32_e32 v92, 3, v91
	v_bfe_u32 v95, v91, 2, 5
	v_ffbh_u32_e32 v93, v92
	v_cmp_eq_u32_e32 vcc_lo, 0, v95
	v_min_u32_e32 v93, 32, v93
	v_subrev_nc_u32_e32 v94, 29, v93
	v_sub_nc_u32_e32 v93, 30, v93
	v_lshlrev_b32_e32 v91, v94, v91
	v_lshlrev_b32_sdwa v94, v100, v9 dst_sel:DWORD dst_unused:UNUSED_PAD src0_sel:DWORD src1_sel:BYTE_1
	v_cndmask_b32_e32 v93, v95, v93, vcc_lo
	v_and_b32_e32 v91, 3, v91
	v_lshl_add_u32 v93, v93, 23, 0x37800000
	v_cndmask_b32_e32 v91, v92, v91, vcc_lo
	v_and_b32_e32 v92, 0x80000000, v94
	v_lshlrev_b32_e32 v91, 21, v91
	v_or3_b32 v91, v92, v93, v91
.LBB2_1640:                             ;   in Loop: Header=BB2_1296 Depth=4
	s_or_b32 exec_lo, exec_lo, s73
	v_add_f32_e32 v91, v89, v91
	v_and_b32_e32 v89, 0x7f800000, v91
	v_cmp_ne_u32_e32 vcc_lo, 0x7f800000, v89
	v_mov_b32_e32 v89, 0x8000
	s_and_saveexec_b32 s73, vcc_lo
	s_cbranch_execz .LBB2_1648
; %bb.1641:                             ;   in Loop: Header=BB2_1296 Depth=4
	v_mov_b32_e32 v89, 0
	s_mov_b32 s74, exec_lo
	v_cmpx_ne_u32_e32 0, v91
	s_cbranch_execz .LBB2_1647
; %bb.1642:                             ;   in Loop: Header=BB2_1296 Depth=4
	v_bfe_u32 v89, v91, 23, 8
	v_and_b32_e32 v92, 0x7fffff, v91
	v_sub_nc_u32_e32 v93, 0x70, v89
	v_cmp_gt_u32_e32 vcc_lo, 0x71, v89
	v_or_b32_e32 v94, 0x800000, v92
	v_cndmask_b32_e32 v93, 0, v93, vcc_lo
	v_cmp_eq_u32_e32 vcc_lo, 0, v89
	v_add_nc_u32_e32 v89, 0xffffff91, v89
	v_cndmask_b32_e64 v93, v93, 0x6f, vcc_lo
	v_cndmask_b32_e32 v92, v94, v92, vcc_lo
	v_cndmask_b32_e64 v89, v89, 0xffffff92, vcc_lo
	v_lshl_add_u32 v94, 0x200000, v93, -1
	v_lshrrev_b32_e32 v95, v93, v92
	v_lshlrev_b32_e64 v105, v93, 0x100000
	v_add_nc_u32_e32 v93, v93, v89
	v_and_b32_e32 v92, v94, v92
	v_bfe_u32 v104, v95, 21, 1
	v_cmp_eq_u32_e64 s17, v92, v105
	v_add_nc_u32_e32 v94, -1, v104
	v_cndmask_b32_e64 v92, 0, v94, s17
	v_lshrrev_b32_e32 v94, 23, v95
	s_mov_b32 s17, exec_lo
	v_add_nc_u32_e32 v92, v92, v95
	v_xor_b32_e32 v94, 1, v94
	v_and_b32_e32 v89, 0x1fffff, v92
	v_add_nc_u32_e32 v92, v89, v95
                                        ; implicit-def: $vgpr89
	v_cmpx_ne_u32_e64 v93, v94
	s_xor_b32 s17, exec_lo, s17
; %bb.1643:                             ;   in Loop: Header=BB2_1296 Depth=4
	v_cmp_lt_u32_e32 vcc_lo, 0xffffff, v92
	v_sub_nc_u32_e32 v89, v93, v94
	v_cndmask_b32_e64 v93, 0, 1, vcc_lo
	v_add_co_ci_u32_e64 v89, null, 0, v89, vcc_lo
	v_lshrrev_b32_e32 v92, v93, v92
; %bb.1644:                             ;   in Loop: Header=BB2_1296 Depth=4
	s_andn2_saveexec_b32 s17, s17
; %bb.1645:                             ;   in Loop: Header=BB2_1296 Depth=4
	v_bfe_u32 v89, v92, 23, 1
; %bb.1646:                             ;   in Loop: Header=BB2_1296 Depth=4
	s_or_b32 exec_lo, exec_lo, s17
	v_lshrrev_b32_e32 v92, 21, v92
	v_min_i32_e32 v93, 31, v89
	v_cmp_gt_i32_e32 vcc_lo, 32, v89
	v_and_b32_sdwa v91, v91, v98 dst_sel:DWORD dst_unused:UNUSED_PAD src0_sel:BYTE_3 src1_sel:DWORD
	v_lshlrev_b32_e32 v93, 2, v93
	v_cndmask_b32_e32 v92, 3, v92, vcc_lo
	v_and_b32_e32 v93, 0xfc, v93
	v_and_b32_e32 v94, 3, v92
	v_or_b32_e32 v89, v89, v92
	v_or3_b32 v91, v91, v93, v94
	v_cmp_ne_u32_e32 vcc_lo, 0, v89
	v_lshlrev_b32_e32 v91, 8, v91
	v_cndmask_b32_e32 v89, 0, v91, vcc_lo
.LBB2_1647:                             ;   in Loop: Header=BB2_1296 Depth=4
	s_or_b32 exec_lo, exec_lo, s74
.LBB2_1648:                             ;   in Loop: Header=BB2_1296 Depth=4
	s_or_b32 exec_lo, exec_lo, s73
	v_or_b32_e32 v88, v88, v77
	s_mov_b32 s17, 0
	v_cmp_gt_i16_sdwa s73, v88, v97 src0_sel:BYTE_0 src1_sel:DWORD
	s_and_saveexec_b32 s74, s73
	s_xor_b32 s73, exec_lo, s74
	s_cbranch_execz .LBB2_1902
; %bb.1649:                             ;   in Loop: Header=BB2_1296 Depth=4
	v_cmp_eq_u16_sdwa s75, v88, v98 src0_sel:BYTE_0 src1_sel:DWORD
	s_mov_b32 s17, -1
	s_and_saveexec_b32 s74, s75
; %bb.1650:                             ;   in Loop: Header=BB2_1296 Depth=4
	s_xor_b32 s17, exec_lo, -1
; %bb.1651:                             ;   in Loop: Header=BB2_1296 Depth=4
	s_or_b32 exec_lo, exec_lo, s74
	s_and_b32 s17, s17, exec_lo
	s_or_saveexec_b32 s73, s73
	v_mov_b32_e32 v77, 0x7f800001
	s_xor_b32 exec_lo, exec_lo, s73
	s_cbranch_execnz .LBB2_1903
.LBB2_1652:                             ;   in Loop: Header=BB2_1296 Depth=4
	s_or_b32 exec_lo, exec_lo, s73
	v_lshl_or_b32 v88, v88, 16, v90
	s_and_saveexec_b32 s73, s17
	s_cbranch_execz .LBB2_1654
.LBB2_1653:                             ;   in Loop: Header=BB2_1296 Depth=4
	v_bfe_u32 v77, v88, 16, 2
	v_bfe_u32 v92, v88, 18, 5
	v_lshlrev_b32_e32 v93, 8, v88
	v_ffbh_u32_e32 v90, v77
	v_cmp_eq_u32_e32 vcc_lo, 0, v92
	v_min_u32_e32 v90, 32, v90
	v_subrev_nc_u32_e32 v91, 29, v90
	v_sub_nc_u32_e32 v90, 30, v90
	v_lshlrev_b32_sdwa v91, v91, v88 dst_sel:DWORD dst_unused:UNUSED_PAD src0_sel:DWORD src1_sel:WORD_1
	v_cndmask_b32_e32 v90, v92, v90, vcc_lo
	v_and_b32_e32 v91, 3, v91
	v_lshl_add_u32 v90, v90, 23, 0x37800000
	v_cndmask_b32_e32 v77, v77, v91, vcc_lo
	v_and_b32_e32 v91, 0x80000000, v93
	v_lshlrev_b32_e32 v77, 21, v77
	v_or3_b32 v77, v91, v90, v77
.LBB2_1654:                             ;   in Loop: Header=BB2_1296 Depth=4
	s_or_b32 exec_lo, exec_lo, s73
	v_and_b32_sdwa v91, v9, v101 dst_sel:DWORD dst_unused:UNUSED_PAD src0_sel:WORD_1 src1_sel:DWORD
	s_mov_b32 s17, 0
	s_mov_b32 s73, exec_lo
	v_cmpx_lt_i16_e32 0x7f, v91
	s_xor_b32 s73, exec_lo, s73
	s_cbranch_execz .LBB2_1904
; %bb.1655:                             ;   in Loop: Header=BB2_1296 Depth=4
	s_mov_b32 s17, -1
	s_mov_b32 s74, exec_lo
	v_cmpx_eq_u16_e32 0x80, v91
; %bb.1656:                             ;   in Loop: Header=BB2_1296 Depth=4
	s_xor_b32 s17, exec_lo, -1
; %bb.1657:                             ;   in Loop: Header=BB2_1296 Depth=4
	s_or_b32 exec_lo, exec_lo, s74
	s_and_b32 s17, s17, exec_lo
                                        ; implicit-def: $vgpr91
	s_or_saveexec_b32 s73, s73
	v_mov_b32_e32 v90, 0x7f800001
	s_xor_b32 exec_lo, exec_lo, s73
	s_cbranch_execnz .LBB2_1905
.LBB2_1658:                             ;   in Loop: Header=BB2_1296 Depth=4
	s_or_b32 exec_lo, exec_lo, s73
	s_and_saveexec_b32 s73, s17
	s_cbranch_execz .LBB2_1660
.LBB2_1659:                             ;   in Loop: Header=BB2_1296 Depth=4
	v_and_b32_sdwa v90, v9, v103 dst_sel:DWORD dst_unused:UNUSED_PAD src0_sel:WORD_1 src1_sel:DWORD
	v_bfe_u32 v93, v9, 18, 5
	v_lshlrev_b32_sdwa v94, v100, v9 dst_sel:DWORD dst_unused:UNUSED_PAD src0_sel:DWORD src1_sel:WORD_1
	v_ffbh_u32_e32 v91, v90
	v_cmp_eq_u32_e32 vcc_lo, 0, v93
	v_min_u32_e32 v91, 32, v91
	v_subrev_nc_u32_e32 v92, 29, v91
	v_sub_nc_u32_e32 v91, 30, v91
	v_lshlrev_b32_sdwa v92, v92, v9 dst_sel:DWORD dst_unused:UNUSED_PAD src0_sel:DWORD src1_sel:WORD_1
	v_cndmask_b32_e32 v91, v93, v91, vcc_lo
	v_and_b32_e32 v92, 3, v92
	v_lshl_add_u32 v91, v91, 23, 0x37800000
	v_cndmask_b32_e32 v90, v90, v92, vcc_lo
	v_and_b32_e32 v92, 0x80000000, v94
	v_lshlrev_b32_e32 v90, 21, v90
	v_or3_b32 v90, v92, v91, v90
.LBB2_1660:                             ;   in Loop: Header=BB2_1296 Depth=4
	s_or_b32 exec_lo, exec_lo, s73
	v_add_f32_e32 v90, v77, v90
	v_and_b32_e32 v77, 0x7f800000, v90
	v_cmp_ne_u32_e32 vcc_lo, 0x7f800000, v77
	v_mov_b32_e32 v77, 0x80
	s_and_saveexec_b32 s73, vcc_lo
	s_cbranch_execz .LBB2_1668
; %bb.1661:                             ;   in Loop: Header=BB2_1296 Depth=4
	v_mov_b32_e32 v77, 0
	s_mov_b32 s74, exec_lo
	v_cmpx_ne_u32_e32 0, v90
	s_cbranch_execz .LBB2_1667
; %bb.1662:                             ;   in Loop: Header=BB2_1296 Depth=4
	v_bfe_u32 v77, v90, 23, 8
	v_and_b32_e32 v91, 0x7fffff, v90
	v_sub_nc_u32_e32 v92, 0x70, v77
	v_cmp_gt_u32_e32 vcc_lo, 0x71, v77
	v_or_b32_e32 v93, 0x800000, v91
	v_cndmask_b32_e32 v92, 0, v92, vcc_lo
	v_cmp_eq_u32_e32 vcc_lo, 0, v77
	v_add_nc_u32_e32 v77, 0xffffff91, v77
	v_cndmask_b32_e64 v92, v92, 0x6f, vcc_lo
	v_cndmask_b32_e32 v91, v93, v91, vcc_lo
	v_cndmask_b32_e64 v77, v77, 0xffffff92, vcc_lo
	v_lshl_add_u32 v93, 0x200000, v92, -1
	v_lshrrev_b32_e32 v94, v92, v91
	v_lshlrev_b32_e64 v104, v92, 0x100000
	v_add_nc_u32_e32 v92, v92, v77
	v_and_b32_e32 v91, v93, v91
	v_bfe_u32 v95, v94, 21, 1
	v_cmp_eq_u32_e64 s17, v91, v104
	v_add_nc_u32_e32 v93, -1, v95
	v_cndmask_b32_e64 v91, 0, v93, s17
	v_lshrrev_b32_e32 v93, 23, v94
	s_mov_b32 s17, exec_lo
	v_add_nc_u32_e32 v91, v91, v94
	v_xor_b32_e32 v93, 1, v93
	v_and_b32_e32 v77, 0x1fffff, v91
	v_add_nc_u32_e32 v91, v77, v94
                                        ; implicit-def: $vgpr77
	v_cmpx_ne_u32_e64 v92, v93
	s_xor_b32 s17, exec_lo, s17
; %bb.1663:                             ;   in Loop: Header=BB2_1296 Depth=4
	v_cmp_lt_u32_e32 vcc_lo, 0xffffff, v91
	v_sub_nc_u32_e32 v77, v92, v93
	v_cndmask_b32_e64 v92, 0, 1, vcc_lo
	v_add_co_ci_u32_e64 v77, null, 0, v77, vcc_lo
	v_lshrrev_b32_e32 v91, v92, v91
; %bb.1664:                             ;   in Loop: Header=BB2_1296 Depth=4
	s_andn2_saveexec_b32 s17, s17
; %bb.1665:                             ;   in Loop: Header=BB2_1296 Depth=4
	v_bfe_u32 v77, v91, 23, 1
; %bb.1666:                             ;   in Loop: Header=BB2_1296 Depth=4
	s_or_b32 exec_lo, exec_lo, s17
	v_lshrrev_b32_e32 v91, 21, v91
	v_min_i32_e32 v92, 31, v77
	v_cmp_gt_i32_e32 vcc_lo, 32, v77
	v_and_b32_sdwa v90, v90, v98 dst_sel:DWORD dst_unused:UNUSED_PAD src0_sel:BYTE_3 src1_sel:DWORD
	v_lshlrev_b32_e32 v92, 2, v92
	v_cndmask_b32_e32 v91, 3, v91, vcc_lo
	v_and_b32_e32 v92, 0xfc, v92
	v_and_b32_e32 v93, 3, v91
	v_or_b32_e32 v77, v77, v91
	v_or3_b32 v90, v92, v90, v93
	v_cmp_ne_u32_e32 vcc_lo, 0, v77
	v_cndmask_b32_e32 v77, 0, v90, vcc_lo
.LBB2_1667:                             ;   in Loop: Header=BB2_1296 Depth=4
	s_or_b32 exec_lo, exec_lo, s74
.LBB2_1668:                             ;   in Loop: Header=BB2_1296 Depth=4
	s_or_b32 exec_lo, exec_lo, s73
	v_cmp_gt_i16_sdwa s73, v88, v97 src0_sel:BYTE_3 src1_sel:DWORD
	s_mov_b32 s17, 0
	s_and_saveexec_b32 s74, s73
	s_xor_b32 s73, exec_lo, s74
	s_cbranch_execz .LBB2_1906
; %bb.1669:                             ;   in Loop: Header=BB2_1296 Depth=4
	v_cmp_eq_u16_sdwa s75, v88, v98 src0_sel:BYTE_3 src1_sel:DWORD
	s_mov_b32 s17, -1
	s_and_saveexec_b32 s74, s75
; %bb.1670:                             ;   in Loop: Header=BB2_1296 Depth=4
	s_xor_b32 s17, exec_lo, -1
; %bb.1671:                             ;   in Loop: Header=BB2_1296 Depth=4
	s_or_b32 exec_lo, exec_lo, s74
	s_and_b32 s17, s17, exec_lo
	s_or_saveexec_b32 s73, s73
	v_mov_b32_e32 v90, 0x7f800001
	s_xor_b32 exec_lo, exec_lo, s73
	s_cbranch_execnz .LBB2_1907
.LBB2_1672:                             ;   in Loop: Header=BB2_1296 Depth=4
	s_or_b32 exec_lo, exec_lo, s73
	s_and_saveexec_b32 s73, s17
	s_cbranch_execz .LBB2_1674
.LBB2_1673:                             ;   in Loop: Header=BB2_1296 Depth=4
	v_bfe_u32 v90, v88, 24, 2
	v_bfe_u32 v93, v88, 26, 5
	v_ffbh_u32_e32 v91, v90
	v_cmp_eq_u32_e32 vcc_lo, 0, v93
	v_min_u32_e32 v91, 32, v91
	v_subrev_nc_u32_e32 v92, 29, v91
	v_sub_nc_u32_e32 v91, 30, v91
	v_lshlrev_b32_sdwa v92, v92, v88 dst_sel:DWORD dst_unused:UNUSED_PAD src0_sel:DWORD src1_sel:BYTE_3
	v_cndmask_b32_e32 v91, v93, v91, vcc_lo
	v_and_b32_e32 v88, 0x80000000, v88
	v_and_b32_e32 v92, 3, v92
	v_lshl_add_u32 v91, v91, 23, 0x37800000
	v_cndmask_b32_e32 v90, v90, v92, vcc_lo
	v_lshlrev_b32_e32 v90, 21, v90
	v_or3_b32 v90, v88, v91, v90
.LBB2_1674:                             ;   in Loop: Header=BB2_1296 Depth=4
	s_or_b32 exec_lo, exec_lo, s73
	v_cmp_gt_i16_sdwa s73, v9, v97 src0_sel:BYTE_3 src1_sel:DWORD
	s_mov_b32 s17, 0
	s_and_saveexec_b32 s74, s73
	s_xor_b32 s73, exec_lo, s74
	s_cbranch_execz .LBB2_1908
; %bb.1675:                             ;   in Loop: Header=BB2_1296 Depth=4
	v_cmp_eq_u16_sdwa s75, v9, v98 src0_sel:BYTE_3 src1_sel:DWORD
	s_mov_b32 s17, -1
	s_and_saveexec_b32 s74, s75
; %bb.1676:                             ;   in Loop: Header=BB2_1296 Depth=4
	s_xor_b32 s17, exec_lo, -1
; %bb.1677:                             ;   in Loop: Header=BB2_1296 Depth=4
	s_or_b32 exec_lo, exec_lo, s74
	s_and_b32 s17, s17, exec_lo
	s_or_saveexec_b32 s73, s73
	v_mov_b32_e32 v88, 0x7f800001
	s_xor_b32 exec_lo, exec_lo, s73
	s_cbranch_execnz .LBB2_1909
.LBB2_1678:                             ;   in Loop: Header=BB2_1296 Depth=4
	s_or_b32 exec_lo, exec_lo, s73
	s_and_saveexec_b32 s73, s17
	s_cbranch_execz .LBB2_1680
.LBB2_1679:                             ;   in Loop: Header=BB2_1296 Depth=4
	v_and_b32_sdwa v88, v9, v103 dst_sel:DWORD dst_unused:UNUSED_PAD src0_sel:BYTE_3 src1_sel:DWORD
	v_bfe_u32 v93, v9, 26, 5
	v_ffbh_u32_e32 v91, v88
	v_cmp_eq_u32_e32 vcc_lo, 0, v93
	v_min_u32_e32 v91, 32, v91
	v_subrev_nc_u32_e32 v92, 29, v91
	v_sub_nc_u32_e32 v91, 30, v91
	v_lshlrev_b32_sdwa v92, v92, v9 dst_sel:DWORD dst_unused:UNUSED_PAD src0_sel:DWORD src1_sel:BYTE_3
	v_cndmask_b32_e32 v91, v93, v91, vcc_lo
	v_and_b32_e32 v9, 0x80000000, v9
	v_and_b32_e32 v92, 3, v92
	v_lshl_add_u32 v91, v91, 23, 0x37800000
	v_cndmask_b32_e32 v88, v88, v92, vcc_lo
	v_lshlrev_b32_e32 v88, 21, v88
	v_or3_b32 v88, v9, v91, v88
.LBB2_1680:                             ;   in Loop: Header=BB2_1296 Depth=4
	s_or_b32 exec_lo, exec_lo, s73
	v_add_f32_e32 v88, v90, v88
	v_and_b32_e32 v9, 0x7f800000, v88
	v_cmp_ne_u32_e32 vcc_lo, 0x7f800000, v9
	v_mov_b32_e32 v9, 0x8000
	s_and_saveexec_b32 s73, vcc_lo
	s_cbranch_execz .LBB2_1688
; %bb.1681:                             ;   in Loop: Header=BB2_1296 Depth=4
	v_mov_b32_e32 v9, 0
	s_mov_b32 s74, exec_lo
	v_cmpx_ne_u32_e32 0, v88
	s_cbranch_execz .LBB2_1687
; %bb.1682:                             ;   in Loop: Header=BB2_1296 Depth=4
	v_bfe_u32 v9, v88, 23, 8
	v_and_b32_e32 v90, 0x7fffff, v88
	v_sub_nc_u32_e32 v91, 0x70, v9
	v_cmp_gt_u32_e32 vcc_lo, 0x71, v9
	v_or_b32_e32 v92, 0x800000, v90
	v_cndmask_b32_e32 v91, 0, v91, vcc_lo
	v_cmp_eq_u32_e32 vcc_lo, 0, v9
	v_add_nc_u32_e32 v9, 0xffffff91, v9
	v_cndmask_b32_e64 v91, v91, 0x6f, vcc_lo
	v_cndmask_b32_e32 v90, v92, v90, vcc_lo
	v_cndmask_b32_e64 v9, v9, 0xffffff92, vcc_lo
	v_lshl_add_u32 v92, 0x200000, v91, -1
	v_lshrrev_b32_e32 v93, v91, v90
	v_lshlrev_b32_e64 v95, v91, 0x100000
	v_add_nc_u32_e32 v91, v91, v9
	v_and_b32_e32 v90, v92, v90
	v_bfe_u32 v94, v93, 21, 1
	v_cmp_eq_u32_e64 s17, v90, v95
	v_add_nc_u32_e32 v92, -1, v94
	v_cndmask_b32_e64 v90, 0, v92, s17
	v_lshrrev_b32_e32 v92, 23, v93
	s_mov_b32 s17, exec_lo
	v_add_nc_u32_e32 v90, v90, v93
	v_xor_b32_e32 v92, 1, v92
	v_and_b32_e32 v9, 0x1fffff, v90
	v_add_nc_u32_e32 v90, v9, v93
                                        ; implicit-def: $vgpr9
	v_cmpx_ne_u32_e64 v91, v92
	s_xor_b32 s17, exec_lo, s17
; %bb.1683:                             ;   in Loop: Header=BB2_1296 Depth=4
	v_cmp_lt_u32_e32 vcc_lo, 0xffffff, v90
	v_sub_nc_u32_e32 v9, v91, v92
	v_cndmask_b32_e64 v91, 0, 1, vcc_lo
	v_add_co_ci_u32_e64 v9, null, 0, v9, vcc_lo
	v_lshrrev_b32_e32 v90, v91, v90
; %bb.1684:                             ;   in Loop: Header=BB2_1296 Depth=4
	s_andn2_saveexec_b32 s17, s17
; %bb.1685:                             ;   in Loop: Header=BB2_1296 Depth=4
	v_bfe_u32 v9, v90, 23, 1
; %bb.1686:                             ;   in Loop: Header=BB2_1296 Depth=4
	s_or_b32 exec_lo, exec_lo, s17
	v_lshrrev_b32_e32 v90, 21, v90
	v_min_i32_e32 v91, 31, v9
	v_cmp_gt_i32_e32 vcc_lo, 32, v9
	v_and_b32_sdwa v88, v88, v98 dst_sel:DWORD dst_unused:UNUSED_PAD src0_sel:BYTE_3 src1_sel:DWORD
	v_lshlrev_b32_e32 v91, 2, v91
	v_cndmask_b32_e32 v90, 3, v90, vcc_lo
	v_and_b32_e32 v91, 0xfc, v91
	v_and_b32_e32 v92, 3, v90
	v_or_b32_e32 v9, v9, v90
	v_or3_b32 v88, v88, v91, v92
	v_cmp_ne_u32_e32 vcc_lo, 0, v9
	v_lshlrev_b32_e32 v88, 8, v88
	v_cndmask_b32_e32 v9, 0, v88, vcc_lo
.LBB2_1687:                             ;   in Loop: Header=BB2_1296 Depth=4
	s_or_b32 exec_lo, exec_lo, s74
.LBB2_1688:                             ;   in Loop: Header=BB2_1296 Depth=4
	s_or_b32 exec_lo, exec_lo, s73
	v_or_b32_e32 v88, v78, v74
	s_mov_b32 s17, 0
	v_cmp_gt_i16_sdwa s73, v88, v97 src0_sel:BYTE_0 src1_sel:DWORD
	s_and_saveexec_b32 s74, s73
	s_xor_b32 s73, exec_lo, s74
	s_cbranch_execz .LBB2_1910
; %bb.1689:                             ;   in Loop: Header=BB2_1296 Depth=4
	v_cmp_eq_u16_sdwa s75, v88, v98 src0_sel:BYTE_0 src1_sel:DWORD
	s_mov_b32 s17, -1
	s_and_saveexec_b32 s74, s75
; %bb.1690:                             ;   in Loop: Header=BB2_1296 Depth=4
	s_xor_b32 s17, exec_lo, -1
; %bb.1691:                             ;   in Loop: Header=BB2_1296 Depth=4
	s_or_b32 exec_lo, exec_lo, s74
	s_and_b32 s17, s17, exec_lo
	s_or_saveexec_b32 s73, s73
	v_mov_b32_e32 v74, 0x7f800001
	s_xor_b32 exec_lo, exec_lo, s73
	s_cbranch_execnz .LBB2_1911
.LBB2_1692:                             ;   in Loop: Header=BB2_1296 Depth=4
	s_or_b32 exec_lo, exec_lo, s73
	s_and_saveexec_b32 s73, s17
	s_cbranch_execz .LBB2_1694
.LBB2_1693:                             ;   in Loop: Header=BB2_1296 Depth=4
	v_and_b32_e32 v74, 3, v88
	v_bfe_u32 v91, v88, 2, 5
	v_lshlrev_b32_e32 v92, 24, v88
	v_ffbh_u32_e32 v78, v74
	v_cmp_eq_u32_e32 vcc_lo, 0, v91
	v_min_u32_e32 v78, 32, v78
	v_subrev_nc_u32_e32 v90, 29, v78
	v_sub_nc_u32_e32 v78, 30, v78
	v_lshlrev_b32_e32 v90, v90, v88
	v_cndmask_b32_e32 v78, v91, v78, vcc_lo
	v_and_b32_e32 v90, 3, v90
	v_lshl_add_u32 v78, v78, 23, 0x37800000
	v_cndmask_b32_e32 v74, v74, v90, vcc_lo
	v_and_b32_e32 v90, 0x80000000, v92
	v_lshlrev_b32_e32 v74, 21, v74
	v_or3_b32 v74, v90, v78, v74
.LBB2_1694:                             ;   in Loop: Header=BB2_1296 Depth=4
	s_or_b32 exec_lo, exec_lo, s73
	v_cmp_gt_i16_sdwa s73, v10, v97 src0_sel:BYTE_0 src1_sel:DWORD
	s_mov_b32 s17, 0
	s_and_saveexec_b32 s74, s73
	s_xor_b32 s73, exec_lo, s74
	s_cbranch_execz .LBB2_1912
; %bb.1695:                             ;   in Loop: Header=BB2_1296 Depth=4
	v_cmp_eq_u16_sdwa s75, v10, v98 src0_sel:BYTE_0 src1_sel:DWORD
	s_mov_b32 s17, -1
	s_and_saveexec_b32 s74, s75
; %bb.1696:                             ;   in Loop: Header=BB2_1296 Depth=4
	s_xor_b32 s17, exec_lo, -1
; %bb.1697:                             ;   in Loop: Header=BB2_1296 Depth=4
	s_or_b32 exec_lo, exec_lo, s74
	s_and_b32 s17, s17, exec_lo
	s_or_saveexec_b32 s73, s73
	v_mov_b32_e32 v78, 0x7f800001
	s_xor_b32 exec_lo, exec_lo, s73
	s_cbranch_execnz .LBB2_1913
.LBB2_1698:                             ;   in Loop: Header=BB2_1296 Depth=4
	s_or_b32 exec_lo, exec_lo, s73
	s_and_saveexec_b32 s73, s17
	s_cbranch_execz .LBB2_1700
.LBB2_1699:                             ;   in Loop: Header=BB2_1296 Depth=4
	v_and_b32_e32 v78, 3, v10
	v_bfe_u32 v92, v10, 2, 5
	v_lshlrev_b32_e32 v93, 24, v10
	v_ffbh_u32_e32 v90, v78
	v_cmp_eq_u32_e32 vcc_lo, 0, v92
	v_min_u32_e32 v90, 32, v90
	v_subrev_nc_u32_e32 v91, 29, v90
	v_sub_nc_u32_e32 v90, 30, v90
	v_lshlrev_b32_e32 v91, v91, v10
	v_cndmask_b32_e32 v90, v92, v90, vcc_lo
	v_and_b32_e32 v91, 3, v91
	v_lshl_add_u32 v90, v90, 23, 0x37800000
	v_cndmask_b32_e32 v78, v78, v91, vcc_lo
	v_and_b32_e32 v91, 0x80000000, v93
	v_lshlrev_b32_e32 v78, 21, v78
	v_or3_b32 v78, v91, v90, v78
.LBB2_1700:                             ;   in Loop: Header=BB2_1296 Depth=4
	s_or_b32 exec_lo, exec_lo, s73
	v_add_f32_e32 v78, v74, v78
	v_and_b32_e32 v74, 0x7f800000, v78
	v_cmp_ne_u32_e32 vcc_lo, 0x7f800000, v74
	v_mov_b32_e32 v74, 0x80
	s_and_saveexec_b32 s73, vcc_lo
	s_cbranch_execz .LBB2_1708
; %bb.1701:                             ;   in Loop: Header=BB2_1296 Depth=4
	v_mov_b32_e32 v74, 0
	s_mov_b32 s74, exec_lo
	v_cmpx_ne_u32_e32 0, v78
	s_cbranch_execz .LBB2_1707
; %bb.1702:                             ;   in Loop: Header=BB2_1296 Depth=4
	v_bfe_u32 v74, v78, 23, 8
	v_and_b32_e32 v90, 0x7fffff, v78
	v_sub_nc_u32_e32 v91, 0x70, v74
	v_cmp_gt_u32_e32 vcc_lo, 0x71, v74
	v_or_b32_e32 v92, 0x800000, v90
	v_cndmask_b32_e32 v91, 0, v91, vcc_lo
	v_cmp_eq_u32_e32 vcc_lo, 0, v74
	v_add_nc_u32_e32 v74, 0xffffff91, v74
	v_cndmask_b32_e64 v91, v91, 0x6f, vcc_lo
	v_cndmask_b32_e32 v90, v92, v90, vcc_lo
	v_cndmask_b32_e64 v74, v74, 0xffffff92, vcc_lo
	v_lshl_add_u32 v92, 0x200000, v91, -1
	v_lshrrev_b32_e32 v93, v91, v90
	v_lshlrev_b32_e64 v95, v91, 0x100000
	v_add_nc_u32_e32 v91, v91, v74
	v_and_b32_e32 v90, v92, v90
	v_bfe_u32 v94, v93, 21, 1
	v_cmp_eq_u32_e64 s17, v90, v95
	v_add_nc_u32_e32 v92, -1, v94
	v_cndmask_b32_e64 v90, 0, v92, s17
	v_lshrrev_b32_e32 v92, 23, v93
	s_mov_b32 s17, exec_lo
	v_add_nc_u32_e32 v90, v90, v93
	v_xor_b32_e32 v92, 1, v92
	v_and_b32_e32 v74, 0x1fffff, v90
	v_add_nc_u32_e32 v90, v74, v93
                                        ; implicit-def: $vgpr74
	v_cmpx_ne_u32_e64 v91, v92
	s_xor_b32 s17, exec_lo, s17
; %bb.1703:                             ;   in Loop: Header=BB2_1296 Depth=4
	v_cmp_lt_u32_e32 vcc_lo, 0xffffff, v90
	v_sub_nc_u32_e32 v74, v91, v92
	v_cndmask_b32_e64 v91, 0, 1, vcc_lo
	v_add_co_ci_u32_e64 v74, null, 0, v74, vcc_lo
	v_lshrrev_b32_e32 v90, v91, v90
; %bb.1704:                             ;   in Loop: Header=BB2_1296 Depth=4
	s_andn2_saveexec_b32 s17, s17
; %bb.1705:                             ;   in Loop: Header=BB2_1296 Depth=4
	v_bfe_u32 v74, v90, 23, 1
; %bb.1706:                             ;   in Loop: Header=BB2_1296 Depth=4
	s_or_b32 exec_lo, exec_lo, s17
	v_lshrrev_b32_e32 v90, 21, v90
	v_min_i32_e32 v91, 31, v74
	v_cmp_gt_i32_e32 vcc_lo, 32, v74
	v_and_b32_sdwa v78, v78, v98 dst_sel:DWORD dst_unused:UNUSED_PAD src0_sel:BYTE_3 src1_sel:DWORD
	v_lshlrev_b32_e32 v91, 2, v91
	v_cndmask_b32_e32 v90, 3, v90, vcc_lo
	v_and_b32_e32 v91, 0xfc, v91
	v_and_b32_e32 v92, 3, v90
	v_or_b32_e32 v74, v74, v90
	v_or3_b32 v78, v91, v78, v92
	v_cmp_ne_u32_e32 vcc_lo, 0, v74
	v_cndmask_b32_e32 v74, 0, v78, vcc_lo
.LBB2_1707:                             ;   in Loop: Header=BB2_1296 Depth=4
	s_or_b32 exec_lo, exec_lo, s74
.LBB2_1708:                             ;   in Loop: Header=BB2_1296 Depth=4
	s_or_b32 exec_lo, exec_lo, s73
	v_cmp_gt_i16_sdwa s73, v88, v97 src0_sel:BYTE_1 src1_sel:DWORD
	s_mov_b32 s17, 0
	s_and_saveexec_b32 s74, s73
	s_xor_b32 s73, exec_lo, s74
	s_cbranch_execz .LBB2_1914
; %bb.1709:                             ;   in Loop: Header=BB2_1296 Depth=4
	v_cmp_eq_u16_sdwa s75, v88, v98 src0_sel:BYTE_1 src1_sel:DWORD
	s_mov_b32 s17, -1
	s_and_saveexec_b32 s74, s75
; %bb.1710:                             ;   in Loop: Header=BB2_1296 Depth=4
	s_xor_b32 s17, exec_lo, -1
; %bb.1711:                             ;   in Loop: Header=BB2_1296 Depth=4
	s_or_b32 exec_lo, exec_lo, s74
	s_and_b32 s17, s17, exec_lo
	s_or_saveexec_b32 s73, s73
	v_mov_b32_e32 v78, 0x7f800001
	s_xor_b32 exec_lo, exec_lo, s73
	s_cbranch_execnz .LBB2_1915
.LBB2_1712:                             ;   in Loop: Header=BB2_1296 Depth=4
	s_or_b32 exec_lo, exec_lo, s73
	s_and_saveexec_b32 s73, s17
	s_cbranch_execz .LBB2_1714
.LBB2_1713:                             ;   in Loop: Header=BB2_1296 Depth=4
	v_and_b32_sdwa v78, v99, v88 dst_sel:DWORD dst_unused:UNUSED_PAD src0_sel:DWORD src1_sel:BYTE_1
	v_and_b32_e32 v90, 3, v78
	v_bfe_u32 v93, v78, 2, 5
	v_ffbh_u32_e32 v91, v90
	v_cmp_eq_u32_e32 vcc_lo, 0, v93
	v_min_u32_e32 v91, 32, v91
	v_subrev_nc_u32_e32 v92, 29, v91
	v_sub_nc_u32_e32 v91, 30, v91
	v_lshlrev_b32_e32 v78, v92, v78
	v_lshlrev_b32_sdwa v92, v100, v88 dst_sel:DWORD dst_unused:UNUSED_PAD src0_sel:DWORD src1_sel:BYTE_1
	v_cndmask_b32_e32 v91, v93, v91, vcc_lo
	v_and_b32_e32 v78, 3, v78
	v_lshl_add_u32 v91, v91, 23, 0x37800000
	v_cndmask_b32_e32 v78, v90, v78, vcc_lo
	v_and_b32_e32 v90, 0x80000000, v92
	v_lshlrev_b32_e32 v78, 21, v78
	v_or3_b32 v78, v90, v91, v78
.LBB2_1714:                             ;   in Loop: Header=BB2_1296 Depth=4
	s_or_b32 exec_lo, exec_lo, s73
	v_cmp_gt_i16_sdwa s73, v10, v97 src0_sel:BYTE_1 src1_sel:DWORD
	s_mov_b32 s17, 0
	s_and_saveexec_b32 s74, s73
	s_xor_b32 s73, exec_lo, s74
	s_cbranch_execz .LBB2_1916
; %bb.1715:                             ;   in Loop: Header=BB2_1296 Depth=4
	v_cmp_eq_u16_sdwa s75, v10, v98 src0_sel:BYTE_1 src1_sel:DWORD
	s_mov_b32 s17, -1
	s_and_saveexec_b32 s74, s75
; %bb.1716:                             ;   in Loop: Header=BB2_1296 Depth=4
	s_xor_b32 s17, exec_lo, -1
; %bb.1717:                             ;   in Loop: Header=BB2_1296 Depth=4
	s_or_b32 exec_lo, exec_lo, s74
	s_and_b32 s17, s17, exec_lo
	s_or_saveexec_b32 s73, s73
	v_mov_b32_e32 v90, 0x7f800001
	s_xor_b32 exec_lo, exec_lo, s73
	s_cbranch_execnz .LBB2_1917
.LBB2_1718:                             ;   in Loop: Header=BB2_1296 Depth=4
	s_or_b32 exec_lo, exec_lo, s73
	s_and_saveexec_b32 s73, s17
	s_cbranch_execz .LBB2_1720
.LBB2_1719:                             ;   in Loop: Header=BB2_1296 Depth=4
	v_and_b32_sdwa v90, v99, v10 dst_sel:DWORD dst_unused:UNUSED_PAD src0_sel:DWORD src1_sel:BYTE_1
	v_and_b32_e32 v91, 3, v90
	v_bfe_u32 v94, v90, 2, 5
	v_ffbh_u32_e32 v92, v91
	v_cmp_eq_u32_e32 vcc_lo, 0, v94
	v_min_u32_e32 v92, 32, v92
	v_subrev_nc_u32_e32 v93, 29, v92
	v_sub_nc_u32_e32 v92, 30, v92
	v_lshlrev_b32_e32 v90, v93, v90
	v_lshlrev_b32_sdwa v93, v100, v10 dst_sel:DWORD dst_unused:UNUSED_PAD src0_sel:DWORD src1_sel:BYTE_1
	v_cndmask_b32_e32 v92, v94, v92, vcc_lo
	v_and_b32_e32 v90, 3, v90
	v_lshl_add_u32 v92, v92, 23, 0x37800000
	v_cndmask_b32_e32 v90, v91, v90, vcc_lo
	v_and_b32_e32 v91, 0x80000000, v93
	v_lshlrev_b32_e32 v90, 21, v90
	v_or3_b32 v90, v91, v92, v90
.LBB2_1720:                             ;   in Loop: Header=BB2_1296 Depth=4
	s_or_b32 exec_lo, exec_lo, s73
	v_add_f32_e32 v90, v78, v90
	v_and_b32_e32 v78, 0x7f800000, v90
	v_cmp_ne_u32_e32 vcc_lo, 0x7f800000, v78
	v_mov_b32_e32 v78, 0x8000
	s_and_saveexec_b32 s73, vcc_lo
	s_cbranch_execz .LBB2_1728
; %bb.1721:                             ;   in Loop: Header=BB2_1296 Depth=4
	v_mov_b32_e32 v78, 0
	s_mov_b32 s74, exec_lo
	v_cmpx_ne_u32_e32 0, v90
	s_cbranch_execz .LBB2_1727
; %bb.1722:                             ;   in Loop: Header=BB2_1296 Depth=4
	v_bfe_u32 v78, v90, 23, 8
	v_and_b32_e32 v91, 0x7fffff, v90
	v_sub_nc_u32_e32 v92, 0x70, v78
	v_cmp_gt_u32_e32 vcc_lo, 0x71, v78
	v_or_b32_e32 v93, 0x800000, v91
	v_cndmask_b32_e32 v92, 0, v92, vcc_lo
	v_cmp_eq_u32_e32 vcc_lo, 0, v78
	v_add_nc_u32_e32 v78, 0xffffff91, v78
	v_cndmask_b32_e64 v92, v92, 0x6f, vcc_lo
	v_cndmask_b32_e32 v91, v93, v91, vcc_lo
	v_cndmask_b32_e64 v78, v78, 0xffffff92, vcc_lo
	v_lshl_add_u32 v93, 0x200000, v92, -1
	v_lshrrev_b32_e32 v94, v92, v91
	v_lshlrev_b32_e64 v104, v92, 0x100000
	v_add_nc_u32_e32 v92, v92, v78
	v_and_b32_e32 v91, v93, v91
	v_bfe_u32 v95, v94, 21, 1
	v_cmp_eq_u32_e64 s17, v91, v104
	v_add_nc_u32_e32 v93, -1, v95
	v_cndmask_b32_e64 v91, 0, v93, s17
	v_lshrrev_b32_e32 v93, 23, v94
	s_mov_b32 s17, exec_lo
	v_add_nc_u32_e32 v91, v91, v94
	v_xor_b32_e32 v93, 1, v93
	v_and_b32_e32 v78, 0x1fffff, v91
	v_add_nc_u32_e32 v91, v78, v94
                                        ; implicit-def: $vgpr78
	v_cmpx_ne_u32_e64 v92, v93
	s_xor_b32 s17, exec_lo, s17
; %bb.1723:                             ;   in Loop: Header=BB2_1296 Depth=4
	v_cmp_lt_u32_e32 vcc_lo, 0xffffff, v91
	v_sub_nc_u32_e32 v78, v92, v93
	v_cndmask_b32_e64 v92, 0, 1, vcc_lo
	v_add_co_ci_u32_e64 v78, null, 0, v78, vcc_lo
	v_lshrrev_b32_e32 v91, v92, v91
; %bb.1724:                             ;   in Loop: Header=BB2_1296 Depth=4
	s_andn2_saveexec_b32 s17, s17
; %bb.1725:                             ;   in Loop: Header=BB2_1296 Depth=4
	v_bfe_u32 v78, v91, 23, 1
; %bb.1726:                             ;   in Loop: Header=BB2_1296 Depth=4
	s_or_b32 exec_lo, exec_lo, s17
	v_lshrrev_b32_e32 v91, 21, v91
	v_min_i32_e32 v92, 31, v78
	v_cmp_gt_i32_e32 vcc_lo, 32, v78
	v_and_b32_sdwa v90, v90, v98 dst_sel:DWORD dst_unused:UNUSED_PAD src0_sel:BYTE_3 src1_sel:DWORD
	v_lshlrev_b32_e32 v92, 2, v92
	v_cndmask_b32_e32 v91, 3, v91, vcc_lo
	v_and_b32_e32 v92, 0xfc, v92
	v_and_b32_e32 v93, 3, v91
	v_or_b32_e32 v78, v78, v91
	v_or3_b32 v90, v90, v92, v93
	v_cmp_ne_u32_e32 vcc_lo, 0, v78
	v_lshlrev_b32_e32 v90, 8, v90
	v_cndmask_b32_e32 v78, 0, v90, vcc_lo
.LBB2_1727:                             ;   in Loop: Header=BB2_1296 Depth=4
	s_or_b32 exec_lo, exec_lo, s74
.LBB2_1728:                             ;   in Loop: Header=BB2_1296 Depth=4
	s_or_b32 exec_lo, exec_lo, s73
	v_or_b32_e32 v76, v76, v72
	s_mov_b32 s17, 0
	v_cmp_gt_i16_sdwa s73, v76, v97 src0_sel:BYTE_0 src1_sel:DWORD
	s_and_saveexec_b32 s74, s73
	s_xor_b32 s73, exec_lo, s74
	s_cbranch_execz .LBB2_1918
; %bb.1729:                             ;   in Loop: Header=BB2_1296 Depth=4
	v_cmp_eq_u16_sdwa s75, v76, v98 src0_sel:BYTE_0 src1_sel:DWORD
	s_mov_b32 s17, -1
	s_and_saveexec_b32 s74, s75
; %bb.1730:                             ;   in Loop: Header=BB2_1296 Depth=4
	s_xor_b32 s17, exec_lo, -1
; %bb.1731:                             ;   in Loop: Header=BB2_1296 Depth=4
	s_or_b32 exec_lo, exec_lo, s74
	s_and_b32 s17, s17, exec_lo
	s_or_saveexec_b32 s73, s73
	v_mov_b32_e32 v72, 0x7f800001
	s_xor_b32 exec_lo, exec_lo, s73
	s_cbranch_execnz .LBB2_1919
.LBB2_1732:                             ;   in Loop: Header=BB2_1296 Depth=4
	s_or_b32 exec_lo, exec_lo, s73
	v_lshl_or_b32 v76, v76, 16, v88
	s_and_saveexec_b32 s73, s17
	s_cbranch_execz .LBB2_1734
.LBB2_1733:                             ;   in Loop: Header=BB2_1296 Depth=4
	v_bfe_u32 v72, v76, 16, 2
	v_bfe_u32 v91, v76, 18, 5
	v_lshlrev_b32_e32 v92, 8, v76
	v_ffbh_u32_e32 v88, v72
	v_cmp_eq_u32_e32 vcc_lo, 0, v91
	v_min_u32_e32 v88, 32, v88
	v_subrev_nc_u32_e32 v90, 29, v88
	v_sub_nc_u32_e32 v88, 30, v88
	v_lshlrev_b32_sdwa v90, v90, v76 dst_sel:DWORD dst_unused:UNUSED_PAD src0_sel:DWORD src1_sel:WORD_1
	v_cndmask_b32_e32 v88, v91, v88, vcc_lo
	v_and_b32_e32 v90, 3, v90
	v_lshl_add_u32 v88, v88, 23, 0x37800000
	v_cndmask_b32_e32 v72, v72, v90, vcc_lo
	v_and_b32_e32 v90, 0x80000000, v92
	v_lshlrev_b32_e32 v72, 21, v72
	v_or3_b32 v72, v90, v88, v72
.LBB2_1734:                             ;   in Loop: Header=BB2_1296 Depth=4
	s_or_b32 exec_lo, exec_lo, s73
	v_and_b32_sdwa v90, v10, v101 dst_sel:DWORD dst_unused:UNUSED_PAD src0_sel:WORD_1 src1_sel:DWORD
	s_mov_b32 s17, 0
	s_mov_b32 s73, exec_lo
	v_cmpx_lt_i16_e32 0x7f, v90
	s_xor_b32 s73, exec_lo, s73
	s_cbranch_execz .LBB2_1920
; %bb.1735:                             ;   in Loop: Header=BB2_1296 Depth=4
	s_mov_b32 s17, -1
	s_mov_b32 s74, exec_lo
	v_cmpx_eq_u16_e32 0x80, v90
; %bb.1736:                             ;   in Loop: Header=BB2_1296 Depth=4
	s_xor_b32 s17, exec_lo, -1
; %bb.1737:                             ;   in Loop: Header=BB2_1296 Depth=4
	s_or_b32 exec_lo, exec_lo, s74
	s_and_b32 s17, s17, exec_lo
                                        ; implicit-def: $vgpr90
	s_or_saveexec_b32 s73, s73
	v_mov_b32_e32 v88, 0x7f800001
	s_xor_b32 exec_lo, exec_lo, s73
	s_cbranch_execnz .LBB2_1921
.LBB2_1738:                             ;   in Loop: Header=BB2_1296 Depth=4
	s_or_b32 exec_lo, exec_lo, s73
	s_and_saveexec_b32 s73, s17
	s_cbranch_execz .LBB2_1740
.LBB2_1739:                             ;   in Loop: Header=BB2_1296 Depth=4
	v_and_b32_sdwa v88, v10, v103 dst_sel:DWORD dst_unused:UNUSED_PAD src0_sel:WORD_1 src1_sel:DWORD
	v_bfe_u32 v92, v10, 18, 5
	v_lshlrev_b32_sdwa v93, v100, v10 dst_sel:DWORD dst_unused:UNUSED_PAD src0_sel:DWORD src1_sel:WORD_1
	v_ffbh_u32_e32 v90, v88
	v_cmp_eq_u32_e32 vcc_lo, 0, v92
	v_min_u32_e32 v90, 32, v90
	v_subrev_nc_u32_e32 v91, 29, v90
	v_sub_nc_u32_e32 v90, 30, v90
	v_lshlrev_b32_sdwa v91, v91, v10 dst_sel:DWORD dst_unused:UNUSED_PAD src0_sel:DWORD src1_sel:WORD_1
	v_cndmask_b32_e32 v90, v92, v90, vcc_lo
	v_and_b32_e32 v91, 3, v91
	v_lshl_add_u32 v90, v90, 23, 0x37800000
	v_cndmask_b32_e32 v88, v88, v91, vcc_lo
	v_and_b32_e32 v91, 0x80000000, v93
	v_lshlrev_b32_e32 v88, 21, v88
	v_or3_b32 v88, v91, v90, v88
.LBB2_1740:                             ;   in Loop: Header=BB2_1296 Depth=4
	s_or_b32 exec_lo, exec_lo, s73
	v_add_f32_e32 v88, v72, v88
	v_and_b32_e32 v72, 0x7f800000, v88
	v_cmp_ne_u32_e32 vcc_lo, 0x7f800000, v72
	v_mov_b32_e32 v72, 0x80
	s_and_saveexec_b32 s73, vcc_lo
	s_cbranch_execz .LBB2_1748
; %bb.1741:                             ;   in Loop: Header=BB2_1296 Depth=4
	v_mov_b32_e32 v72, 0
	s_mov_b32 s74, exec_lo
	v_cmpx_ne_u32_e32 0, v88
	s_cbranch_execz .LBB2_1747
; %bb.1742:                             ;   in Loop: Header=BB2_1296 Depth=4
	v_bfe_u32 v72, v88, 23, 8
	v_and_b32_e32 v90, 0x7fffff, v88
	v_sub_nc_u32_e32 v91, 0x70, v72
	v_cmp_gt_u32_e32 vcc_lo, 0x71, v72
	v_or_b32_e32 v92, 0x800000, v90
	v_cndmask_b32_e32 v91, 0, v91, vcc_lo
	v_cmp_eq_u32_e32 vcc_lo, 0, v72
	v_add_nc_u32_e32 v72, 0xffffff91, v72
	v_cndmask_b32_e64 v91, v91, 0x6f, vcc_lo
	v_cndmask_b32_e32 v90, v92, v90, vcc_lo
	v_cndmask_b32_e64 v72, v72, 0xffffff92, vcc_lo
	v_lshl_add_u32 v92, 0x200000, v91, -1
	v_lshrrev_b32_e32 v93, v91, v90
	v_lshlrev_b32_e64 v95, v91, 0x100000
	v_add_nc_u32_e32 v91, v91, v72
	v_and_b32_e32 v90, v92, v90
	v_bfe_u32 v94, v93, 21, 1
	v_cmp_eq_u32_e64 s17, v90, v95
	v_add_nc_u32_e32 v92, -1, v94
	v_cndmask_b32_e64 v90, 0, v92, s17
	v_lshrrev_b32_e32 v92, 23, v93
	s_mov_b32 s17, exec_lo
	v_add_nc_u32_e32 v90, v90, v93
	v_xor_b32_e32 v92, 1, v92
	v_and_b32_e32 v72, 0x1fffff, v90
	v_add_nc_u32_e32 v90, v72, v93
                                        ; implicit-def: $vgpr72
	v_cmpx_ne_u32_e64 v91, v92
	s_xor_b32 s17, exec_lo, s17
; %bb.1743:                             ;   in Loop: Header=BB2_1296 Depth=4
	v_cmp_lt_u32_e32 vcc_lo, 0xffffff, v90
	v_sub_nc_u32_e32 v72, v91, v92
	v_cndmask_b32_e64 v91, 0, 1, vcc_lo
	v_add_co_ci_u32_e64 v72, null, 0, v72, vcc_lo
	v_lshrrev_b32_e32 v90, v91, v90
; %bb.1744:                             ;   in Loop: Header=BB2_1296 Depth=4
	s_andn2_saveexec_b32 s17, s17
; %bb.1745:                             ;   in Loop: Header=BB2_1296 Depth=4
	v_bfe_u32 v72, v90, 23, 1
; %bb.1746:                             ;   in Loop: Header=BB2_1296 Depth=4
	s_or_b32 exec_lo, exec_lo, s17
	v_lshrrev_b32_e32 v90, 21, v90
	v_min_i32_e32 v91, 31, v72
	v_cmp_gt_i32_e32 vcc_lo, 32, v72
	v_and_b32_sdwa v88, v88, v98 dst_sel:DWORD dst_unused:UNUSED_PAD src0_sel:BYTE_3 src1_sel:DWORD
	v_lshlrev_b32_e32 v91, 2, v91
	v_cndmask_b32_e32 v90, 3, v90, vcc_lo
	v_and_b32_e32 v91, 0xfc, v91
	v_and_b32_e32 v92, 3, v90
	v_or_b32_e32 v72, v72, v90
	v_or3_b32 v88, v91, v88, v92
	v_cmp_ne_u32_e32 vcc_lo, 0, v72
	v_cndmask_b32_e32 v72, 0, v88, vcc_lo
.LBB2_1747:                             ;   in Loop: Header=BB2_1296 Depth=4
	s_or_b32 exec_lo, exec_lo, s74
.LBB2_1748:                             ;   in Loop: Header=BB2_1296 Depth=4
	s_or_b32 exec_lo, exec_lo, s73
	v_cmp_gt_i16_sdwa s73, v76, v97 src0_sel:BYTE_3 src1_sel:DWORD
	s_mov_b32 s17, 0
	s_and_saveexec_b32 s74, s73
	s_xor_b32 s73, exec_lo, s74
	s_cbranch_execz .LBB2_1922
; %bb.1749:                             ;   in Loop: Header=BB2_1296 Depth=4
	v_cmp_eq_u16_sdwa s75, v76, v98 src0_sel:BYTE_3 src1_sel:DWORD
	s_mov_b32 s17, -1
	s_and_saveexec_b32 s74, s75
; %bb.1750:                             ;   in Loop: Header=BB2_1296 Depth=4
	s_xor_b32 s17, exec_lo, -1
; %bb.1751:                             ;   in Loop: Header=BB2_1296 Depth=4
	s_or_b32 exec_lo, exec_lo, s74
	s_and_b32 s17, s17, exec_lo
	s_or_saveexec_b32 s73, s73
	v_mov_b32_e32 v88, 0x7f800001
	s_xor_b32 exec_lo, exec_lo, s73
	s_cbranch_execnz .LBB2_1923
.LBB2_1752:                             ;   in Loop: Header=BB2_1296 Depth=4
	s_or_b32 exec_lo, exec_lo, s73
	s_and_saveexec_b32 s73, s17
	s_cbranch_execz .LBB2_1754
.LBB2_1753:                             ;   in Loop: Header=BB2_1296 Depth=4
	v_bfe_u32 v88, v76, 24, 2
	v_bfe_u32 v92, v76, 26, 5
	v_ffbh_u32_e32 v90, v88
	v_cmp_eq_u32_e32 vcc_lo, 0, v92
	v_min_u32_e32 v90, 32, v90
	v_subrev_nc_u32_e32 v91, 29, v90
	v_sub_nc_u32_e32 v90, 30, v90
	v_lshlrev_b32_sdwa v91, v91, v76 dst_sel:DWORD dst_unused:UNUSED_PAD src0_sel:DWORD src1_sel:BYTE_3
	v_cndmask_b32_e32 v90, v92, v90, vcc_lo
	v_and_b32_e32 v76, 0x80000000, v76
	v_and_b32_e32 v91, 3, v91
	v_lshl_add_u32 v90, v90, 23, 0x37800000
	v_cndmask_b32_e32 v88, v88, v91, vcc_lo
	v_lshlrev_b32_e32 v88, 21, v88
	v_or3_b32 v88, v76, v90, v88
.LBB2_1754:                             ;   in Loop: Header=BB2_1296 Depth=4
	s_or_b32 exec_lo, exec_lo, s73
	v_cmp_gt_i16_sdwa s73, v10, v97 src0_sel:BYTE_3 src1_sel:DWORD
	s_mov_b32 s17, 0
	s_and_saveexec_b32 s74, s73
	s_xor_b32 s73, exec_lo, s74
	s_cbranch_execz .LBB2_1924
; %bb.1755:                             ;   in Loop: Header=BB2_1296 Depth=4
	v_cmp_eq_u16_sdwa s75, v10, v98 src0_sel:BYTE_3 src1_sel:DWORD
	s_mov_b32 s17, -1
	s_and_saveexec_b32 s74, s75
; %bb.1756:                             ;   in Loop: Header=BB2_1296 Depth=4
	s_xor_b32 s17, exec_lo, -1
; %bb.1757:                             ;   in Loop: Header=BB2_1296 Depth=4
	s_or_b32 exec_lo, exec_lo, s74
	s_and_b32 s17, s17, exec_lo
	s_or_saveexec_b32 s73, s73
	v_mov_b32_e32 v76, 0x7f800001
	s_xor_b32 exec_lo, exec_lo, s73
	s_cbranch_execnz .LBB2_1925
.LBB2_1758:                             ;   in Loop: Header=BB2_1296 Depth=4
	s_or_b32 exec_lo, exec_lo, s73
	s_and_saveexec_b32 s73, s17
	s_cbranch_execz .LBB2_1760
.LBB2_1759:                             ;   in Loop: Header=BB2_1296 Depth=4
	v_and_b32_sdwa v76, v10, v103 dst_sel:DWORD dst_unused:UNUSED_PAD src0_sel:BYTE_3 src1_sel:DWORD
	v_bfe_u32 v92, v10, 26, 5
	v_ffbh_u32_e32 v90, v76
	v_cmp_eq_u32_e32 vcc_lo, 0, v92
	v_min_u32_e32 v90, 32, v90
	v_subrev_nc_u32_e32 v91, 29, v90
	v_sub_nc_u32_e32 v90, 30, v90
	v_lshlrev_b32_sdwa v91, v91, v10 dst_sel:DWORD dst_unused:UNUSED_PAD src0_sel:DWORD src1_sel:BYTE_3
	v_cndmask_b32_e32 v90, v92, v90, vcc_lo
	v_and_b32_e32 v10, 0x80000000, v10
	v_and_b32_e32 v91, 3, v91
	v_lshl_add_u32 v90, v90, 23, 0x37800000
	v_cndmask_b32_e32 v76, v76, v91, vcc_lo
	v_lshlrev_b32_e32 v76, 21, v76
	v_or3_b32 v76, v10, v90, v76
.LBB2_1760:                             ;   in Loop: Header=BB2_1296 Depth=4
	s_or_b32 exec_lo, exec_lo, s73
	v_add_f32_e32 v76, v88, v76
	v_and_b32_e32 v10, 0x7f800000, v76
	v_cmp_ne_u32_e32 vcc_lo, 0x7f800000, v10
	v_mov_b32_e32 v10, 0x8000
	s_and_saveexec_b32 s73, vcc_lo
	s_cbranch_execz .LBB2_1768
; %bb.1761:                             ;   in Loop: Header=BB2_1296 Depth=4
	v_mov_b32_e32 v10, 0
	s_mov_b32 s74, exec_lo
	v_cmpx_ne_u32_e32 0, v76
	s_cbranch_execz .LBB2_1767
; %bb.1762:                             ;   in Loop: Header=BB2_1296 Depth=4
	v_bfe_u32 v10, v76, 23, 8
	v_and_b32_e32 v88, 0x7fffff, v76
	v_sub_nc_u32_e32 v90, 0x70, v10
	v_cmp_gt_u32_e32 vcc_lo, 0x71, v10
	v_or_b32_e32 v91, 0x800000, v88
	v_cndmask_b32_e32 v90, 0, v90, vcc_lo
	v_cmp_eq_u32_e32 vcc_lo, 0, v10
	v_add_nc_u32_e32 v10, 0xffffff91, v10
	v_cndmask_b32_e64 v90, v90, 0x6f, vcc_lo
	v_cndmask_b32_e32 v88, v91, v88, vcc_lo
	v_cndmask_b32_e64 v10, v10, 0xffffff92, vcc_lo
	v_lshl_add_u32 v91, 0x200000, v90, -1
	v_lshrrev_b32_e32 v92, v90, v88
	v_lshlrev_b32_e64 v94, v90, 0x100000
	v_add_nc_u32_e32 v90, v90, v10
	v_and_b32_e32 v88, v91, v88
	v_bfe_u32 v93, v92, 21, 1
	v_cmp_eq_u32_e64 s17, v88, v94
	v_add_nc_u32_e32 v91, -1, v93
	v_cndmask_b32_e64 v88, 0, v91, s17
	v_lshrrev_b32_e32 v91, 23, v92
	s_mov_b32 s17, exec_lo
	v_add_nc_u32_e32 v88, v88, v92
	v_xor_b32_e32 v91, 1, v91
	v_and_b32_e32 v10, 0x1fffff, v88
	v_add_nc_u32_e32 v88, v10, v92
                                        ; implicit-def: $vgpr10
	v_cmpx_ne_u32_e64 v90, v91
	s_xor_b32 s17, exec_lo, s17
; %bb.1763:                             ;   in Loop: Header=BB2_1296 Depth=4
	v_cmp_lt_u32_e32 vcc_lo, 0xffffff, v88
	v_sub_nc_u32_e32 v10, v90, v91
	v_cndmask_b32_e64 v90, 0, 1, vcc_lo
	v_add_co_ci_u32_e64 v10, null, 0, v10, vcc_lo
	v_lshrrev_b32_e32 v88, v90, v88
; %bb.1764:                             ;   in Loop: Header=BB2_1296 Depth=4
	s_andn2_saveexec_b32 s17, s17
; %bb.1765:                             ;   in Loop: Header=BB2_1296 Depth=4
	v_bfe_u32 v10, v88, 23, 1
; %bb.1766:                             ;   in Loop: Header=BB2_1296 Depth=4
	s_or_b32 exec_lo, exec_lo, s17
	v_lshrrev_b32_e32 v88, 21, v88
	v_min_i32_e32 v90, 31, v10
	v_cmp_gt_i32_e32 vcc_lo, 32, v10
	v_and_b32_sdwa v76, v76, v98 dst_sel:DWORD dst_unused:UNUSED_PAD src0_sel:BYTE_3 src1_sel:DWORD
	v_lshlrev_b32_e32 v90, 2, v90
	v_cndmask_b32_e32 v88, 3, v88, vcc_lo
	v_and_b32_e32 v90, 0xfc, v90
	v_and_b32_e32 v91, 3, v88
	v_or_b32_e32 v10, v10, v88
	v_or3_b32 v76, v76, v90, v91
	v_cmp_ne_u32_e32 vcc_lo, 0, v10
	v_lshlrev_b32_e32 v76, 8, v76
	v_cndmask_b32_e32 v10, 0, v76, vcc_lo
.LBB2_1767:                             ;   in Loop: Header=BB2_1296 Depth=4
	s_or_b32 exec_lo, exec_lo, s74
.LBB2_1768:                             ;   in Loop: Header=BB2_1296 Depth=4
	s_or_b32 exec_lo, exec_lo, s73
	v_or_b32_e32 v73, v73, v61
	s_mov_b32 s17, 0
	v_cmp_gt_i16_sdwa s73, v73, v97 src0_sel:BYTE_0 src1_sel:DWORD
	s_and_saveexec_b32 s74, s73
	s_xor_b32 s73, exec_lo, s74
	s_cbranch_execz .LBB2_1926
; %bb.1769:                             ;   in Loop: Header=BB2_1296 Depth=4
	v_cmp_eq_u16_sdwa s75, v73, v98 src0_sel:BYTE_0 src1_sel:DWORD
	s_mov_b32 s17, -1
	s_and_saveexec_b32 s74, s75
; %bb.1770:                             ;   in Loop: Header=BB2_1296 Depth=4
	s_xor_b32 s17, exec_lo, -1
; %bb.1771:                             ;   in Loop: Header=BB2_1296 Depth=4
	s_or_b32 exec_lo, exec_lo, s74
	s_and_b32 s17, s17, exec_lo
	s_or_saveexec_b32 s73, s73
	v_mov_b32_e32 v61, 0x7f800001
	s_xor_b32 exec_lo, exec_lo, s73
	s_cbranch_execnz .LBB2_1927
.LBB2_1772:                             ;   in Loop: Header=BB2_1296 Depth=4
	s_or_b32 exec_lo, exec_lo, s73
	s_and_saveexec_b32 s73, s17
	s_cbranch_execz .LBB2_1774
.LBB2_1773:                             ;   in Loop: Header=BB2_1296 Depth=4
	v_and_b32_e32 v61, 3, v73
	v_bfe_u32 v90, v73, 2, 5
	v_lshlrev_b32_e32 v91, 24, v73
	v_ffbh_u32_e32 v76, v61
	v_cmp_eq_u32_e32 vcc_lo, 0, v90
	v_min_u32_e32 v76, 32, v76
	v_subrev_nc_u32_e32 v88, 29, v76
	v_sub_nc_u32_e32 v76, 30, v76
	v_lshlrev_b32_e32 v88, v88, v73
	v_cndmask_b32_e32 v76, v90, v76, vcc_lo
	v_and_b32_e32 v88, 3, v88
	v_lshl_add_u32 v76, v76, 23, 0x37800000
	v_cndmask_b32_e32 v61, v61, v88, vcc_lo
	v_and_b32_e32 v88, 0x80000000, v91
	v_lshlrev_b32_e32 v61, 21, v61
	v_or3_b32 v61, v88, v76, v61
.LBB2_1774:                             ;   in Loop: Header=BB2_1296 Depth=4
	s_or_b32 exec_lo, exec_lo, s73
	v_cmp_gt_i16_sdwa s73, v11, v97 src0_sel:BYTE_0 src1_sel:DWORD
	s_mov_b32 s17, 0
	s_and_saveexec_b32 s74, s73
	s_xor_b32 s73, exec_lo, s74
	s_cbranch_execz .LBB2_1928
; %bb.1775:                             ;   in Loop: Header=BB2_1296 Depth=4
	v_cmp_eq_u16_sdwa s75, v11, v98 src0_sel:BYTE_0 src1_sel:DWORD
	s_mov_b32 s17, -1
	s_and_saveexec_b32 s74, s75
; %bb.1776:                             ;   in Loop: Header=BB2_1296 Depth=4
	s_xor_b32 s17, exec_lo, -1
; %bb.1777:                             ;   in Loop: Header=BB2_1296 Depth=4
	s_or_b32 exec_lo, exec_lo, s74
	s_and_b32 s17, s17, exec_lo
	s_or_saveexec_b32 s73, s73
	v_mov_b32_e32 v76, 0x7f800001
	s_xor_b32 exec_lo, exec_lo, s73
	s_cbranch_execnz .LBB2_1929
.LBB2_1778:                             ;   in Loop: Header=BB2_1296 Depth=4
	s_or_b32 exec_lo, exec_lo, s73
	s_and_saveexec_b32 s73, s17
	s_cbranch_execz .LBB2_1780
.LBB2_1779:                             ;   in Loop: Header=BB2_1296 Depth=4
	v_and_b32_e32 v76, 3, v11
	v_bfe_u32 v91, v11, 2, 5
	v_lshlrev_b32_e32 v92, 24, v11
	v_ffbh_u32_e32 v88, v76
	v_cmp_eq_u32_e32 vcc_lo, 0, v91
	v_min_u32_e32 v88, 32, v88
	v_subrev_nc_u32_e32 v90, 29, v88
	v_sub_nc_u32_e32 v88, 30, v88
	v_lshlrev_b32_e32 v90, v90, v11
	v_cndmask_b32_e32 v88, v91, v88, vcc_lo
	v_and_b32_e32 v90, 3, v90
	v_lshl_add_u32 v88, v88, 23, 0x37800000
	v_cndmask_b32_e32 v76, v76, v90, vcc_lo
	v_and_b32_e32 v90, 0x80000000, v92
	v_lshlrev_b32_e32 v76, 21, v76
	v_or3_b32 v76, v90, v88, v76
.LBB2_1780:                             ;   in Loop: Header=BB2_1296 Depth=4
	s_or_b32 exec_lo, exec_lo, s73
	v_add_f32_e32 v76, v61, v76
	v_and_b32_e32 v61, 0x7f800000, v76
	v_cmp_ne_u32_e32 vcc_lo, 0x7f800000, v61
	v_mov_b32_e32 v61, 0x80
	s_and_saveexec_b32 s73, vcc_lo
	s_cbranch_execz .LBB2_1788
; %bb.1781:                             ;   in Loop: Header=BB2_1296 Depth=4
	v_mov_b32_e32 v61, 0
	s_mov_b32 s74, exec_lo
	v_cmpx_ne_u32_e32 0, v76
	s_cbranch_execz .LBB2_1787
; %bb.1782:                             ;   in Loop: Header=BB2_1296 Depth=4
	v_bfe_u32 v61, v76, 23, 8
	v_and_b32_e32 v88, 0x7fffff, v76
	v_sub_nc_u32_e32 v90, 0x70, v61
	v_cmp_gt_u32_e32 vcc_lo, 0x71, v61
	v_or_b32_e32 v91, 0x800000, v88
	v_cndmask_b32_e32 v90, 0, v90, vcc_lo
	v_cmp_eq_u32_e32 vcc_lo, 0, v61
	v_add_nc_u32_e32 v61, 0xffffff91, v61
	v_cndmask_b32_e64 v90, v90, 0x6f, vcc_lo
	v_cndmask_b32_e32 v88, v91, v88, vcc_lo
	v_cndmask_b32_e64 v61, v61, 0xffffff92, vcc_lo
	v_lshl_add_u32 v91, 0x200000, v90, -1
	v_lshrrev_b32_e32 v92, v90, v88
	v_lshlrev_b32_e64 v94, v90, 0x100000
	v_add_nc_u32_e32 v90, v90, v61
	v_and_b32_e32 v88, v91, v88
	v_bfe_u32 v93, v92, 21, 1
	v_cmp_eq_u32_e64 s17, v88, v94
	v_add_nc_u32_e32 v91, -1, v93
	v_cndmask_b32_e64 v88, 0, v91, s17
	v_lshrrev_b32_e32 v91, 23, v92
	s_mov_b32 s17, exec_lo
	v_add_nc_u32_e32 v88, v88, v92
	v_xor_b32_e32 v91, 1, v91
	v_and_b32_e32 v61, 0x1fffff, v88
	v_add_nc_u32_e32 v88, v61, v92
                                        ; implicit-def: $vgpr61
	v_cmpx_ne_u32_e64 v90, v91
	s_xor_b32 s17, exec_lo, s17
; %bb.1783:                             ;   in Loop: Header=BB2_1296 Depth=4
	v_cmp_lt_u32_e32 vcc_lo, 0xffffff, v88
	v_sub_nc_u32_e32 v61, v90, v91
	v_cndmask_b32_e64 v90, 0, 1, vcc_lo
	v_add_co_ci_u32_e64 v61, null, 0, v61, vcc_lo
	v_lshrrev_b32_e32 v88, v90, v88
; %bb.1784:                             ;   in Loop: Header=BB2_1296 Depth=4
	s_andn2_saveexec_b32 s17, s17
; %bb.1785:                             ;   in Loop: Header=BB2_1296 Depth=4
	v_bfe_u32 v61, v88, 23, 1
; %bb.1786:                             ;   in Loop: Header=BB2_1296 Depth=4
	s_or_b32 exec_lo, exec_lo, s17
	v_lshrrev_b32_e32 v88, 21, v88
	v_min_i32_e32 v90, 31, v61
	v_cmp_gt_i32_e32 vcc_lo, 32, v61
	v_and_b32_sdwa v76, v76, v98 dst_sel:DWORD dst_unused:UNUSED_PAD src0_sel:BYTE_3 src1_sel:DWORD
	v_lshlrev_b32_e32 v90, 2, v90
	v_cndmask_b32_e32 v88, 3, v88, vcc_lo
	v_and_b32_e32 v90, 0xfc, v90
	v_and_b32_e32 v91, 3, v88
	v_or_b32_e32 v61, v61, v88
	v_or3_b32 v76, v90, v76, v91
	v_cmp_ne_u32_e32 vcc_lo, 0, v61
	v_cndmask_b32_e32 v61, 0, v76, vcc_lo
.LBB2_1787:                             ;   in Loop: Header=BB2_1296 Depth=4
	s_or_b32 exec_lo, exec_lo, s74
.LBB2_1788:                             ;   in Loop: Header=BB2_1296 Depth=4
	s_or_b32 exec_lo, exec_lo, s73
	v_cmp_gt_i16_sdwa s73, v73, v97 src0_sel:BYTE_1 src1_sel:DWORD
	s_mov_b32 s17, 0
	s_and_saveexec_b32 s74, s73
	s_xor_b32 s73, exec_lo, s74
	s_cbranch_execz .LBB2_1930
; %bb.1789:                             ;   in Loop: Header=BB2_1296 Depth=4
	v_cmp_eq_u16_sdwa s75, v73, v98 src0_sel:BYTE_1 src1_sel:DWORD
	s_mov_b32 s17, -1
	s_and_saveexec_b32 s74, s75
; %bb.1790:                             ;   in Loop: Header=BB2_1296 Depth=4
	s_xor_b32 s17, exec_lo, -1
; %bb.1791:                             ;   in Loop: Header=BB2_1296 Depth=4
	s_or_b32 exec_lo, exec_lo, s74
	s_and_b32 s17, s17, exec_lo
	s_or_saveexec_b32 s73, s73
	v_mov_b32_e32 v76, 0x7f800001
	s_xor_b32 exec_lo, exec_lo, s73
	s_cbranch_execnz .LBB2_1931
.LBB2_1792:                             ;   in Loop: Header=BB2_1296 Depth=4
	s_or_b32 exec_lo, exec_lo, s73
	s_and_saveexec_b32 s73, s17
	s_cbranch_execz .LBB2_1794
.LBB2_1793:                             ;   in Loop: Header=BB2_1296 Depth=4
	v_and_b32_sdwa v76, v99, v73 dst_sel:DWORD dst_unused:UNUSED_PAD src0_sel:DWORD src1_sel:BYTE_1
	v_and_b32_e32 v88, 3, v76
	v_bfe_u32 v92, v76, 2, 5
	v_ffbh_u32_e32 v90, v88
	v_cmp_eq_u32_e32 vcc_lo, 0, v92
	v_min_u32_e32 v90, 32, v90
	v_subrev_nc_u32_e32 v91, 29, v90
	v_sub_nc_u32_e32 v90, 30, v90
	v_lshlrev_b32_e32 v76, v91, v76
	v_lshlrev_b32_sdwa v91, v100, v73 dst_sel:DWORD dst_unused:UNUSED_PAD src0_sel:DWORD src1_sel:BYTE_1
	v_cndmask_b32_e32 v90, v92, v90, vcc_lo
	v_and_b32_e32 v76, 3, v76
	v_lshl_add_u32 v90, v90, 23, 0x37800000
	v_cndmask_b32_e32 v76, v88, v76, vcc_lo
	v_and_b32_e32 v88, 0x80000000, v91
	v_lshlrev_b32_e32 v76, 21, v76
	v_or3_b32 v76, v88, v90, v76
.LBB2_1794:                             ;   in Loop: Header=BB2_1296 Depth=4
	s_or_b32 exec_lo, exec_lo, s73
	v_cmp_gt_i16_sdwa s73, v11, v97 src0_sel:BYTE_1 src1_sel:DWORD
	s_mov_b32 s17, 0
	s_and_saveexec_b32 s74, s73
	s_xor_b32 s73, exec_lo, s74
	s_cbranch_execz .LBB2_1932
; %bb.1795:                             ;   in Loop: Header=BB2_1296 Depth=4
	v_cmp_eq_u16_sdwa s75, v11, v98 src0_sel:BYTE_1 src1_sel:DWORD
	s_mov_b32 s17, -1
	s_and_saveexec_b32 s74, s75
; %bb.1796:                             ;   in Loop: Header=BB2_1296 Depth=4
	s_xor_b32 s17, exec_lo, -1
; %bb.1797:                             ;   in Loop: Header=BB2_1296 Depth=4
	s_or_b32 exec_lo, exec_lo, s74
	s_and_b32 s17, s17, exec_lo
	s_or_saveexec_b32 s73, s73
	v_mov_b32_e32 v88, 0x7f800001
	s_xor_b32 exec_lo, exec_lo, s73
	s_cbranch_execnz .LBB2_1933
.LBB2_1798:                             ;   in Loop: Header=BB2_1296 Depth=4
	s_or_b32 exec_lo, exec_lo, s73
	s_and_saveexec_b32 s73, s17
	s_cbranch_execz .LBB2_1800
.LBB2_1799:                             ;   in Loop: Header=BB2_1296 Depth=4
	v_and_b32_sdwa v88, v99, v11 dst_sel:DWORD dst_unused:UNUSED_PAD src0_sel:DWORD src1_sel:BYTE_1
	v_and_b32_e32 v90, 3, v88
	v_bfe_u32 v93, v88, 2, 5
	v_ffbh_u32_e32 v91, v90
	v_cmp_eq_u32_e32 vcc_lo, 0, v93
	v_min_u32_e32 v91, 32, v91
	v_subrev_nc_u32_e32 v92, 29, v91
	v_sub_nc_u32_e32 v91, 30, v91
	v_lshlrev_b32_e32 v88, v92, v88
	v_lshlrev_b32_sdwa v92, v100, v11 dst_sel:DWORD dst_unused:UNUSED_PAD src0_sel:DWORD src1_sel:BYTE_1
	v_cndmask_b32_e32 v91, v93, v91, vcc_lo
	v_and_b32_e32 v88, 3, v88
	v_lshl_add_u32 v91, v91, 23, 0x37800000
	v_cndmask_b32_e32 v88, v90, v88, vcc_lo
	v_and_b32_e32 v90, 0x80000000, v92
	v_lshlrev_b32_e32 v88, 21, v88
	v_or3_b32 v88, v90, v91, v88
.LBB2_1800:                             ;   in Loop: Header=BB2_1296 Depth=4
	s_or_b32 exec_lo, exec_lo, s73
	v_add_f32_e32 v88, v76, v88
	v_and_b32_e32 v76, 0x7f800000, v88
	v_cmp_ne_u32_e32 vcc_lo, 0x7f800000, v76
	v_mov_b32_e32 v76, 0x8000
	s_and_saveexec_b32 s73, vcc_lo
	s_cbranch_execz .LBB2_1808
; %bb.1801:                             ;   in Loop: Header=BB2_1296 Depth=4
	v_mov_b32_e32 v76, 0
	s_mov_b32 s74, exec_lo
	v_cmpx_ne_u32_e32 0, v88
	s_cbranch_execz .LBB2_1807
; %bb.1802:                             ;   in Loop: Header=BB2_1296 Depth=4
	v_bfe_u32 v76, v88, 23, 8
	v_and_b32_e32 v90, 0x7fffff, v88
	v_sub_nc_u32_e32 v91, 0x70, v76
	v_cmp_gt_u32_e32 vcc_lo, 0x71, v76
	v_or_b32_e32 v92, 0x800000, v90
	v_cndmask_b32_e32 v91, 0, v91, vcc_lo
	v_cmp_eq_u32_e32 vcc_lo, 0, v76
	v_add_nc_u32_e32 v76, 0xffffff91, v76
	v_cndmask_b32_e64 v91, v91, 0x6f, vcc_lo
	v_cndmask_b32_e32 v90, v92, v90, vcc_lo
	v_cndmask_b32_e64 v76, v76, 0xffffff92, vcc_lo
	v_lshl_add_u32 v92, 0x200000, v91, -1
	v_lshrrev_b32_e32 v93, v91, v90
	v_lshlrev_b32_e64 v95, v91, 0x100000
	v_add_nc_u32_e32 v91, v91, v76
	v_and_b32_e32 v90, v92, v90
	v_bfe_u32 v94, v93, 21, 1
	v_cmp_eq_u32_e64 s17, v90, v95
	v_add_nc_u32_e32 v92, -1, v94
	v_cndmask_b32_e64 v90, 0, v92, s17
	v_lshrrev_b32_e32 v92, 23, v93
	s_mov_b32 s17, exec_lo
	v_add_nc_u32_e32 v90, v90, v93
	v_xor_b32_e32 v92, 1, v92
	v_and_b32_e32 v76, 0x1fffff, v90
	v_add_nc_u32_e32 v90, v76, v93
                                        ; implicit-def: $vgpr76
	v_cmpx_ne_u32_e64 v91, v92
	s_xor_b32 s17, exec_lo, s17
; %bb.1803:                             ;   in Loop: Header=BB2_1296 Depth=4
	v_cmp_lt_u32_e32 vcc_lo, 0xffffff, v90
	v_sub_nc_u32_e32 v76, v91, v92
	v_cndmask_b32_e64 v91, 0, 1, vcc_lo
	v_add_co_ci_u32_e64 v76, null, 0, v76, vcc_lo
	v_lshrrev_b32_e32 v90, v91, v90
; %bb.1804:                             ;   in Loop: Header=BB2_1296 Depth=4
	s_andn2_saveexec_b32 s17, s17
; %bb.1805:                             ;   in Loop: Header=BB2_1296 Depth=4
	v_bfe_u32 v76, v90, 23, 1
; %bb.1806:                             ;   in Loop: Header=BB2_1296 Depth=4
	s_or_b32 exec_lo, exec_lo, s17
	v_lshrrev_b32_e32 v90, 21, v90
	v_min_i32_e32 v91, 31, v76
	v_cmp_gt_i32_e32 vcc_lo, 32, v76
	v_and_b32_sdwa v88, v88, v98 dst_sel:DWORD dst_unused:UNUSED_PAD src0_sel:BYTE_3 src1_sel:DWORD
	v_lshlrev_b32_e32 v91, 2, v91
	v_cndmask_b32_e32 v90, 3, v90, vcc_lo
	v_and_b32_e32 v91, 0xfc, v91
	v_and_b32_e32 v92, 3, v90
	v_or_b32_e32 v76, v76, v90
	v_or3_b32 v88, v88, v91, v92
	v_cmp_ne_u32_e32 vcc_lo, 0, v76
	v_lshlrev_b32_e32 v88, 8, v88
	v_cndmask_b32_e32 v76, 0, v88, vcc_lo
.LBB2_1807:                             ;   in Loop: Header=BB2_1296 Depth=4
	s_or_b32 exec_lo, exec_lo, s74
.LBB2_1808:                             ;   in Loop: Header=BB2_1296 Depth=4
	s_or_b32 exec_lo, exec_lo, s73
	v_or_b32_e32 v63, v63, v60
	s_mov_b32 s17, 0
	v_cmp_gt_i16_sdwa s73, v63, v97 src0_sel:BYTE_0 src1_sel:DWORD
	s_and_saveexec_b32 s74, s73
	s_xor_b32 s73, exec_lo, s74
	s_cbranch_execz .LBB2_1934
; %bb.1809:                             ;   in Loop: Header=BB2_1296 Depth=4
	v_cmp_eq_u16_sdwa s75, v63, v98 src0_sel:BYTE_0 src1_sel:DWORD
	s_mov_b32 s17, -1
	s_and_saveexec_b32 s74, s75
; %bb.1810:                             ;   in Loop: Header=BB2_1296 Depth=4
	s_xor_b32 s17, exec_lo, -1
; %bb.1811:                             ;   in Loop: Header=BB2_1296 Depth=4
	s_or_b32 exec_lo, exec_lo, s74
	s_and_b32 s17, s17, exec_lo
	s_or_saveexec_b32 s73, s73
	v_mov_b32_e32 v60, 0x7f800001
	s_xor_b32 exec_lo, exec_lo, s73
	s_cbranch_execnz .LBB2_1935
.LBB2_1812:                             ;   in Loop: Header=BB2_1296 Depth=4
	s_or_b32 exec_lo, exec_lo, s73
	v_lshl_or_b32 v63, v63, 16, v73
	s_and_saveexec_b32 s73, s17
	s_cbranch_execz .LBB2_1814
.LBB2_1813:                             ;   in Loop: Header=BB2_1296 Depth=4
	v_bfe_u32 v60, v63, 16, 2
	v_bfe_u32 v90, v63, 18, 5
	v_lshlrev_b32_e32 v91, 8, v63
	v_ffbh_u32_e32 v73, v60
	v_cmp_eq_u32_e32 vcc_lo, 0, v90
	v_min_u32_e32 v73, 32, v73
	v_subrev_nc_u32_e32 v88, 29, v73
	v_sub_nc_u32_e32 v73, 30, v73
	v_lshlrev_b32_sdwa v88, v88, v63 dst_sel:DWORD dst_unused:UNUSED_PAD src0_sel:DWORD src1_sel:WORD_1
	v_cndmask_b32_e32 v73, v90, v73, vcc_lo
	v_and_b32_e32 v88, 3, v88
	v_lshl_add_u32 v73, v73, 23, 0x37800000
	v_cndmask_b32_e32 v60, v60, v88, vcc_lo
	v_and_b32_e32 v88, 0x80000000, v91
	v_lshlrev_b32_e32 v60, 21, v60
	v_or3_b32 v60, v88, v73, v60
.LBB2_1814:                             ;   in Loop: Header=BB2_1296 Depth=4
	s_or_b32 exec_lo, exec_lo, s73
	v_and_b32_sdwa v88, v11, v101 dst_sel:DWORD dst_unused:UNUSED_PAD src0_sel:WORD_1 src1_sel:DWORD
	s_mov_b32 s17, 0
	s_mov_b32 s73, exec_lo
	v_cmpx_lt_i16_e32 0x7f, v88
	s_xor_b32 s73, exec_lo, s73
	s_cbranch_execz .LBB2_1936
; %bb.1815:                             ;   in Loop: Header=BB2_1296 Depth=4
	s_mov_b32 s17, -1
	s_mov_b32 s74, exec_lo
	v_cmpx_eq_u16_e32 0x80, v88
; %bb.1816:                             ;   in Loop: Header=BB2_1296 Depth=4
	s_xor_b32 s17, exec_lo, -1
; %bb.1817:                             ;   in Loop: Header=BB2_1296 Depth=4
	s_or_b32 exec_lo, exec_lo, s74
	s_and_b32 s17, s17, exec_lo
                                        ; implicit-def: $vgpr88
	s_or_saveexec_b32 s73, s73
	v_mov_b32_e32 v73, 0x7f800001
	s_xor_b32 exec_lo, exec_lo, s73
	s_cbranch_execnz .LBB2_1937
.LBB2_1818:                             ;   in Loop: Header=BB2_1296 Depth=4
	s_or_b32 exec_lo, exec_lo, s73
	s_and_saveexec_b32 s73, s17
	s_cbranch_execz .LBB2_1820
.LBB2_1819:                             ;   in Loop: Header=BB2_1296 Depth=4
	v_and_b32_sdwa v73, v11, v103 dst_sel:DWORD dst_unused:UNUSED_PAD src0_sel:WORD_1 src1_sel:DWORD
	v_bfe_u32 v91, v11, 18, 5
	v_lshlrev_b32_sdwa v92, v100, v11 dst_sel:DWORD dst_unused:UNUSED_PAD src0_sel:DWORD src1_sel:WORD_1
	v_ffbh_u32_e32 v88, v73
	v_cmp_eq_u32_e32 vcc_lo, 0, v91
	v_min_u32_e32 v88, 32, v88
	v_subrev_nc_u32_e32 v90, 29, v88
	v_sub_nc_u32_e32 v88, 30, v88
	v_lshlrev_b32_sdwa v90, v90, v11 dst_sel:DWORD dst_unused:UNUSED_PAD src0_sel:DWORD src1_sel:WORD_1
	v_cndmask_b32_e32 v88, v91, v88, vcc_lo
	v_and_b32_e32 v90, 3, v90
	v_lshl_add_u32 v88, v88, 23, 0x37800000
	v_cndmask_b32_e32 v73, v73, v90, vcc_lo
	v_and_b32_e32 v90, 0x80000000, v92
	v_lshlrev_b32_e32 v73, 21, v73
	v_or3_b32 v73, v90, v88, v73
.LBB2_1820:                             ;   in Loop: Header=BB2_1296 Depth=4
	s_or_b32 exec_lo, exec_lo, s73
	v_add_f32_e32 v73, v60, v73
	v_and_b32_e32 v60, 0x7f800000, v73
	v_cmp_ne_u32_e32 vcc_lo, 0x7f800000, v60
	v_mov_b32_e32 v60, 0x80
	s_and_saveexec_b32 s73, vcc_lo
	s_cbranch_execz .LBB2_1828
; %bb.1821:                             ;   in Loop: Header=BB2_1296 Depth=4
	v_mov_b32_e32 v60, 0
	s_mov_b32 s74, exec_lo
	v_cmpx_ne_u32_e32 0, v73
	s_cbranch_execz .LBB2_1827
; %bb.1822:                             ;   in Loop: Header=BB2_1296 Depth=4
	v_bfe_u32 v60, v73, 23, 8
	v_and_b32_e32 v88, 0x7fffff, v73
	v_sub_nc_u32_e32 v90, 0x70, v60
	v_cmp_gt_u32_e32 vcc_lo, 0x71, v60
	v_or_b32_e32 v91, 0x800000, v88
	v_cndmask_b32_e32 v90, 0, v90, vcc_lo
	v_cmp_eq_u32_e32 vcc_lo, 0, v60
	v_add_nc_u32_e32 v60, 0xffffff91, v60
	v_cndmask_b32_e64 v90, v90, 0x6f, vcc_lo
	v_cndmask_b32_e32 v88, v91, v88, vcc_lo
	v_cndmask_b32_e64 v60, v60, 0xffffff92, vcc_lo
	v_lshl_add_u32 v91, 0x200000, v90, -1
	v_lshrrev_b32_e32 v92, v90, v88
	v_lshlrev_b32_e64 v94, v90, 0x100000
	v_add_nc_u32_e32 v90, v90, v60
	v_and_b32_e32 v88, v91, v88
	v_bfe_u32 v93, v92, 21, 1
	v_cmp_eq_u32_e64 s17, v88, v94
	v_add_nc_u32_e32 v91, -1, v93
	v_cndmask_b32_e64 v88, 0, v91, s17
	v_lshrrev_b32_e32 v91, 23, v92
	s_mov_b32 s17, exec_lo
	v_add_nc_u32_e32 v88, v88, v92
	v_xor_b32_e32 v91, 1, v91
	v_and_b32_e32 v60, 0x1fffff, v88
	v_add_nc_u32_e32 v88, v60, v92
                                        ; implicit-def: $vgpr60
	v_cmpx_ne_u32_e64 v90, v91
	s_xor_b32 s17, exec_lo, s17
; %bb.1823:                             ;   in Loop: Header=BB2_1296 Depth=4
	v_cmp_lt_u32_e32 vcc_lo, 0xffffff, v88
	v_sub_nc_u32_e32 v60, v90, v91
	v_cndmask_b32_e64 v90, 0, 1, vcc_lo
	v_add_co_ci_u32_e64 v60, null, 0, v60, vcc_lo
	v_lshrrev_b32_e32 v88, v90, v88
; %bb.1824:                             ;   in Loop: Header=BB2_1296 Depth=4
	s_andn2_saveexec_b32 s17, s17
; %bb.1825:                             ;   in Loop: Header=BB2_1296 Depth=4
	v_bfe_u32 v60, v88, 23, 1
; %bb.1826:                             ;   in Loop: Header=BB2_1296 Depth=4
	s_or_b32 exec_lo, exec_lo, s17
	v_lshrrev_b32_e32 v88, 21, v88
	v_min_i32_e32 v90, 31, v60
	v_cmp_gt_i32_e32 vcc_lo, 32, v60
	v_and_b32_sdwa v73, v73, v98 dst_sel:DWORD dst_unused:UNUSED_PAD src0_sel:BYTE_3 src1_sel:DWORD
	v_lshlrev_b32_e32 v90, 2, v90
	v_cndmask_b32_e32 v88, 3, v88, vcc_lo
	v_and_b32_e32 v90, 0xfc, v90
	v_and_b32_e32 v91, 3, v88
	v_or_b32_e32 v60, v60, v88
	v_or3_b32 v73, v90, v73, v91
	v_cmp_ne_u32_e32 vcc_lo, 0, v60
	v_cndmask_b32_e32 v60, 0, v73, vcc_lo
.LBB2_1827:                             ;   in Loop: Header=BB2_1296 Depth=4
	s_or_b32 exec_lo, exec_lo, s74
.LBB2_1828:                             ;   in Loop: Header=BB2_1296 Depth=4
	s_or_b32 exec_lo, exec_lo, s73
	v_cmp_gt_i16_sdwa s73, v63, v97 src0_sel:BYTE_3 src1_sel:DWORD
	s_mov_b32 s17, 0
	s_and_saveexec_b32 s74, s73
	s_xor_b32 s73, exec_lo, s74
	s_cbranch_execz .LBB2_1938
; %bb.1829:                             ;   in Loop: Header=BB2_1296 Depth=4
	v_cmp_eq_u16_sdwa s75, v63, v98 src0_sel:BYTE_3 src1_sel:DWORD
	s_mov_b32 s17, -1
	s_and_saveexec_b32 s74, s75
; %bb.1830:                             ;   in Loop: Header=BB2_1296 Depth=4
	s_xor_b32 s17, exec_lo, -1
; %bb.1831:                             ;   in Loop: Header=BB2_1296 Depth=4
	s_or_b32 exec_lo, exec_lo, s74
	s_and_b32 s17, s17, exec_lo
	s_or_saveexec_b32 s73, s73
	v_mov_b32_e32 v73, 0x7f800001
	s_xor_b32 exec_lo, exec_lo, s73
	s_cbranch_execnz .LBB2_1939
.LBB2_1832:                             ;   in Loop: Header=BB2_1296 Depth=4
	s_or_b32 exec_lo, exec_lo, s73
	s_and_saveexec_b32 s73, s17
	s_cbranch_execz .LBB2_1834
.LBB2_1833:                             ;   in Loop: Header=BB2_1296 Depth=4
	v_bfe_u32 v73, v63, 24, 2
	v_bfe_u32 v91, v63, 26, 5
	v_ffbh_u32_e32 v88, v73
	v_cmp_eq_u32_e32 vcc_lo, 0, v91
	v_min_u32_e32 v88, 32, v88
	v_subrev_nc_u32_e32 v90, 29, v88
	v_sub_nc_u32_e32 v88, 30, v88
	v_lshlrev_b32_sdwa v90, v90, v63 dst_sel:DWORD dst_unused:UNUSED_PAD src0_sel:DWORD src1_sel:BYTE_3
	v_cndmask_b32_e32 v88, v91, v88, vcc_lo
	v_and_b32_e32 v63, 0x80000000, v63
	v_and_b32_e32 v90, 3, v90
	v_lshl_add_u32 v88, v88, 23, 0x37800000
	v_cndmask_b32_e32 v73, v73, v90, vcc_lo
	v_lshlrev_b32_e32 v73, 21, v73
	v_or3_b32 v73, v63, v88, v73
.LBB2_1834:                             ;   in Loop: Header=BB2_1296 Depth=4
	s_or_b32 exec_lo, exec_lo, s73
	v_cmp_gt_i16_sdwa s73, v11, v97 src0_sel:BYTE_3 src1_sel:DWORD
	s_mov_b32 s17, 0
	s_and_saveexec_b32 s74, s73
	s_xor_b32 s73, exec_lo, s74
	s_cbranch_execz .LBB2_1940
; %bb.1835:                             ;   in Loop: Header=BB2_1296 Depth=4
	v_cmp_eq_u16_sdwa s75, v11, v98 src0_sel:BYTE_3 src1_sel:DWORD
	s_mov_b32 s17, -1
	s_and_saveexec_b32 s74, s75
; %bb.1836:                             ;   in Loop: Header=BB2_1296 Depth=4
	s_xor_b32 s17, exec_lo, -1
; %bb.1837:                             ;   in Loop: Header=BB2_1296 Depth=4
	s_or_b32 exec_lo, exec_lo, s74
	s_and_b32 s17, s17, exec_lo
	s_or_saveexec_b32 s73, s73
	v_mov_b32_e32 v63, 0x7f800001
	s_xor_b32 exec_lo, exec_lo, s73
	s_cbranch_execnz .LBB2_1941
.LBB2_1838:                             ;   in Loop: Header=BB2_1296 Depth=4
	s_or_b32 exec_lo, exec_lo, s73
	s_and_saveexec_b32 s73, s17
	s_cbranch_execz .LBB2_1840
.LBB2_1839:                             ;   in Loop: Header=BB2_1296 Depth=4
	v_and_b32_sdwa v63, v11, v103 dst_sel:DWORD dst_unused:UNUSED_PAD src0_sel:BYTE_3 src1_sel:DWORD
	v_bfe_u32 v91, v11, 26, 5
	v_ffbh_u32_e32 v88, v63
	v_cmp_eq_u32_e32 vcc_lo, 0, v91
	v_min_u32_e32 v88, 32, v88
	v_subrev_nc_u32_e32 v90, 29, v88
	v_sub_nc_u32_e32 v88, 30, v88
	v_lshlrev_b32_sdwa v90, v90, v11 dst_sel:DWORD dst_unused:UNUSED_PAD src0_sel:DWORD src1_sel:BYTE_3
	v_cndmask_b32_e32 v88, v91, v88, vcc_lo
	v_and_b32_e32 v11, 0x80000000, v11
	v_and_b32_e32 v90, 3, v90
	v_lshl_add_u32 v88, v88, 23, 0x37800000
	v_cndmask_b32_e32 v63, v63, v90, vcc_lo
	v_lshlrev_b32_e32 v63, 21, v63
	v_or3_b32 v63, v11, v88, v63
.LBB2_1840:                             ;   in Loop: Header=BB2_1296 Depth=4
	s_or_b32 exec_lo, exec_lo, s73
	v_add_f32_e32 v11, v73, v63
	v_and_b32_e32 v63, 0x7f800000, v11
	v_cmp_ne_u32_e32 vcc_lo, 0x7f800000, v63
	v_mov_b32_e32 v63, 0x8000
	s_and_saveexec_b32 s73, vcc_lo
	s_cbranch_execz .LBB2_1295
; %bb.1841:                             ;   in Loop: Header=BB2_1296 Depth=4
	v_mov_b32_e32 v63, 0
	s_mov_b32 s74, exec_lo
	v_cmpx_ne_u32_e32 0, v11
	s_cbranch_execz .LBB2_1294
; %bb.1842:                             ;   in Loop: Header=BB2_1296 Depth=4
	v_bfe_u32 v63, v11, 23, 8
	v_and_b32_e32 v73, 0x7fffff, v11
	v_sub_nc_u32_e32 v88, 0x70, v63
	v_cmp_gt_u32_e32 vcc_lo, 0x71, v63
	v_or_b32_e32 v90, 0x800000, v73
	v_cndmask_b32_e32 v88, 0, v88, vcc_lo
	v_cmp_eq_u32_e32 vcc_lo, 0, v63
	v_add_nc_u32_e32 v63, 0xffffff91, v63
	v_cndmask_b32_e64 v88, v88, 0x6f, vcc_lo
	v_cndmask_b32_e32 v73, v90, v73, vcc_lo
	v_cndmask_b32_e64 v63, v63, 0xffffff92, vcc_lo
	v_lshl_add_u32 v90, 0x200000, v88, -1
	v_lshrrev_b32_e32 v91, v88, v73
	v_lshlrev_b32_e64 v93, v88, 0x100000
	v_add_nc_u32_e32 v88, v88, v63
	v_and_b32_e32 v73, v90, v73
	v_bfe_u32 v92, v91, 21, 1
	v_cmp_eq_u32_e64 s17, v73, v93
	v_add_nc_u32_e32 v90, -1, v92
	v_cndmask_b32_e64 v73, 0, v90, s17
	v_lshrrev_b32_e32 v90, 23, v91
	s_mov_b32 s17, exec_lo
	v_add_nc_u32_e32 v73, v73, v91
	v_xor_b32_e32 v90, 1, v90
	v_and_b32_e32 v63, 0x1fffff, v73
	v_add_nc_u32_e32 v73, v63, v91
                                        ; implicit-def: $vgpr63
	v_cmpx_ne_u32_e64 v88, v90
	s_xor_b32 s17, exec_lo, s17
; %bb.1843:                             ;   in Loop: Header=BB2_1296 Depth=4
	v_cmp_lt_u32_e32 vcc_lo, 0xffffff, v73
	v_sub_nc_u32_e32 v63, v88, v90
	v_cndmask_b32_e64 v88, 0, 1, vcc_lo
	v_add_co_ci_u32_e64 v63, null, 0, v63, vcc_lo
	v_lshrrev_b32_e32 v73, v88, v73
; %bb.1844:                             ;   in Loop: Header=BB2_1296 Depth=4
	s_andn2_saveexec_b32 s17, s17
	s_cbranch_execz .LBB2_1293
; %bb.1845:                             ;   in Loop: Header=BB2_1296 Depth=4
	v_bfe_u32 v63, v73, 23, 1
	s_branch .LBB2_1293
.LBB2_1846:                             ;   in Loop: Header=BB2_1296 Depth=4
	s_or_saveexec_b32 s74, s74
	v_mov_b32_e32 v59, 0x7f800001
	s_xor_b32 exec_lo, exec_lo, s74
	s_cbranch_execz .LBB2_1308
.LBB2_1847:                             ;   in Loop: Header=BB2_1296 Depth=4
	v_cmp_ne_u16_sdwa s75, v8, v2 src0_sel:BYTE_0 src1_sel:DWORD
	v_mov_b32_e32 v59, 0
	s_andn2_b32 s17, s17, exec_lo
	s_and_b32 s75, s75, exec_lo
	s_or_b32 s17, s17, s75
	s_or_b32 exec_lo, exec_lo, s74
	s_and_saveexec_b32 s74, s17
	s_cbranch_execnz .LBB2_1309
	s_branch .LBB2_1310
.LBB2_1848:                             ;   in Loop: Header=BB2_1296 Depth=4
	s_or_saveexec_b32 s74, s74
	v_mov_b32_e32 v60, 0x7f800001
	s_xor_b32 exec_lo, exec_lo, s74
	s_cbranch_execz .LBB2_1322
.LBB2_1849:                             ;   in Loop: Header=BB2_1296 Depth=4
	v_cmp_ne_u16_sdwa s75, v8, v2 src0_sel:BYTE_1 src1_sel:DWORD
	v_mov_b32_e32 v60, 0
	s_andn2_b32 s17, s17, exec_lo
	s_and_b32 s75, s75, exec_lo
	s_or_b32 s17, s17, s75
	s_or_b32 exec_lo, exec_lo, s74
	s_and_saveexec_b32 s74, s17
	s_cbranch_execnz .LBB2_1323
	s_branch .LBB2_1324
.LBB2_1850:                             ;   in Loop: Header=BB2_1296 Depth=4
	s_or_saveexec_b32 s74, s74
	v_mov_b32_e32 v60, 0x7f800001
	s_xor_b32 exec_lo, exec_lo, s74
	s_cbranch_execz .LBB2_1336
.LBB2_1851:                             ;   in Loop: Header=BB2_1296 Depth=4
	v_cmp_ne_u16_e32 vcc_lo, 0, v61
	v_mov_b32_e32 v60, 0
	s_andn2_b32 s17, s17, exec_lo
	s_and_b32 s75, vcc_lo, exec_lo
	s_or_b32 s17, s17, s75
	s_or_b32 exec_lo, exec_lo, s74
	s_and_saveexec_b32 s74, s17
	s_cbranch_execnz .LBB2_1337
	s_branch .LBB2_1338
.LBB2_1852:                             ;   in Loop: Header=BB2_1296 Depth=4
	s_or_saveexec_b32 s74, s74
	v_mov_b32_e32 v60, 0x7f800001
	s_xor_b32 exec_lo, exec_lo, s74
	s_cbranch_execz .LBB2_1350
.LBB2_1853:                             ;   in Loop: Header=BB2_1296 Depth=4
	v_cmp_ne_u16_sdwa s75, v8, v2 src0_sel:BYTE_3 src1_sel:DWORD
	v_mov_b32_e32 v60, 0
	s_andn2_b32 s17, s17, exec_lo
	s_and_b32 s75, s75, exec_lo
	s_or_b32 s17, s17, s75
	s_or_b32 exec_lo, exec_lo, s74
	s_and_saveexec_b32 s74, s17
	s_cbranch_execnz .LBB2_1351
	s_branch .LBB2_1352
.LBB2_1854:                             ;   in Loop: Header=BB2_1296 Depth=4
	s_or_saveexec_b32 s74, s74
	v_mov_b32_e32 v8, 0x7f800001
	s_xor_b32 exec_lo, exec_lo, s74
	s_cbranch_execz .LBB2_1364
.LBB2_1855:                             ;   in Loop: Header=BB2_1296 Depth=4
	v_cmp_ne_u16_sdwa s75, v9, v2 src0_sel:BYTE_0 src1_sel:DWORD
	v_mov_b32_e32 v8, 0
	s_andn2_b32 s17, s17, exec_lo
	s_and_b32 s75, s75, exec_lo
	s_or_b32 s17, s17, s75
	s_or_b32 exec_lo, exec_lo, s74
	s_and_saveexec_b32 s74, s17
	s_cbranch_execnz .LBB2_1365
	s_branch .LBB2_1366
.LBB2_1856:                             ;   in Loop: Header=BB2_1296 Depth=4
	s_or_saveexec_b32 s74, s74
	v_mov_b32_e32 v8, 0x7f800001
	s_xor_b32 exec_lo, exec_lo, s74
	s_cbranch_execz .LBB2_1378
.LBB2_1857:                             ;   in Loop: Header=BB2_1296 Depth=4
	v_cmp_ne_u16_sdwa s75, v9, v2 src0_sel:BYTE_1 src1_sel:DWORD
	v_mov_b32_e32 v8, 0
	s_andn2_b32 s17, s17, exec_lo
	s_and_b32 s75, s75, exec_lo
	s_or_b32 s17, s17, s75
	s_or_b32 exec_lo, exec_lo, s74
	s_and_saveexec_b32 s74, s17
	s_cbranch_execnz .LBB2_1379
	s_branch .LBB2_1380
.LBB2_1858:                             ;   in Loop: Header=BB2_1296 Depth=4
	s_or_saveexec_b32 s74, s74
	v_mov_b32_e32 v8, 0x7f800001
	s_xor_b32 exec_lo, exec_lo, s74
	s_cbranch_execz .LBB2_1392
.LBB2_1859:                             ;   in Loop: Header=BB2_1296 Depth=4
	v_cmp_ne_u16_e32 vcc_lo, 0, v60
	v_mov_b32_e32 v8, 0
	s_andn2_b32 s17, s17, exec_lo
	s_and_b32 s75, vcc_lo, exec_lo
	s_or_b32 s17, s17, s75
	s_or_b32 exec_lo, exec_lo, s74
	s_and_saveexec_b32 s74, s17
	s_cbranch_execnz .LBB2_1393
	s_branch .LBB2_1394
.LBB2_1860:                             ;   in Loop: Header=BB2_1296 Depth=4
	s_or_saveexec_b32 s74, s74
	v_mov_b32_e32 v8, 0x7f800001
	s_xor_b32 exec_lo, exec_lo, s74
	s_cbranch_execz .LBB2_1406
.LBB2_1861:                             ;   in Loop: Header=BB2_1296 Depth=4
	v_cmp_ne_u16_sdwa s75, v9, v2 src0_sel:BYTE_3 src1_sel:DWORD
	v_mov_b32_e32 v8, 0
	s_andn2_b32 s17, s17, exec_lo
	s_and_b32 s75, s75, exec_lo
	s_or_b32 s17, s17, s75
	s_or_b32 exec_lo, exec_lo, s74
	s_and_saveexec_b32 s74, s17
	s_cbranch_execnz .LBB2_1407
	s_branch .LBB2_1408
.LBB2_1862:                             ;   in Loop: Header=BB2_1296 Depth=4
	s_or_saveexec_b32 s74, s74
	v_mov_b32_e32 v8, 0x7f800001
	s_xor_b32 exec_lo, exec_lo, s74
	s_cbranch_execz .LBB2_1420
.LBB2_1863:                             ;   in Loop: Header=BB2_1296 Depth=4
	v_cmp_ne_u16_sdwa s75, v10, v2 src0_sel:BYTE_0 src1_sel:DWORD
	v_mov_b32_e32 v8, 0
	s_andn2_b32 s17, s17, exec_lo
	s_and_b32 s75, s75, exec_lo
	s_or_b32 s17, s17, s75
	s_or_b32 exec_lo, exec_lo, s74
	s_and_saveexec_b32 s74, s17
	s_cbranch_execnz .LBB2_1421
	s_branch .LBB2_1422
.LBB2_1864:                             ;   in Loop: Header=BB2_1296 Depth=4
	s_or_saveexec_b32 s74, s74
	v_mov_b32_e32 v8, 0x7f800001
	s_xor_b32 exec_lo, exec_lo, s74
	s_cbranch_execz .LBB2_1434
.LBB2_1865:                             ;   in Loop: Header=BB2_1296 Depth=4
	v_cmp_ne_u16_sdwa s75, v10, v2 src0_sel:BYTE_1 src1_sel:DWORD
	v_mov_b32_e32 v8, 0
	s_andn2_b32 s17, s17, exec_lo
	s_and_b32 s75, s75, exec_lo
	s_or_b32 s17, s17, s75
	s_or_b32 exec_lo, exec_lo, s74
	s_and_saveexec_b32 s74, s17
	s_cbranch_execnz .LBB2_1435
	s_branch .LBB2_1436
.LBB2_1866:                             ;   in Loop: Header=BB2_1296 Depth=4
	s_or_saveexec_b32 s74, s74
	v_mov_b32_e32 v8, 0x7f800001
	s_xor_b32 exec_lo, exec_lo, s74
	s_cbranch_execz .LBB2_1448
.LBB2_1867:                             ;   in Loop: Header=BB2_1296 Depth=4
	v_cmp_ne_u16_e32 vcc_lo, 0, v9
	v_mov_b32_e32 v8, 0
	s_andn2_b32 s17, s17, exec_lo
	s_and_b32 s75, vcc_lo, exec_lo
	s_or_b32 s17, s17, s75
	s_or_b32 exec_lo, exec_lo, s74
	s_and_saveexec_b32 s74, s17
	s_cbranch_execnz .LBB2_1449
	s_branch .LBB2_1450
.LBB2_1868:                             ;   in Loop: Header=BB2_1296 Depth=4
	s_or_saveexec_b32 s74, s74
	v_mov_b32_e32 v8, 0x7f800001
	s_xor_b32 exec_lo, exec_lo, s74
	s_cbranch_execz .LBB2_1462
.LBB2_1869:                             ;   in Loop: Header=BB2_1296 Depth=4
	v_cmp_ne_u16_sdwa s75, v10, v2 src0_sel:BYTE_3 src1_sel:DWORD
	v_mov_b32_e32 v8, 0
	s_andn2_b32 s17, s17, exec_lo
	s_and_b32 s75, s75, exec_lo
	s_or_b32 s17, s17, s75
	s_or_b32 exec_lo, exec_lo, s74
	s_and_saveexec_b32 s74, s17
	s_cbranch_execnz .LBB2_1463
	s_branch .LBB2_1464
.LBB2_1870:                             ;   in Loop: Header=BB2_1296 Depth=4
	s_or_saveexec_b32 s74, s74
	v_mov_b32_e32 v8, 0x7f800001
	s_xor_b32 exec_lo, exec_lo, s74
	s_cbranch_execz .LBB2_1476
.LBB2_1871:                             ;   in Loop: Header=BB2_1296 Depth=4
	v_cmp_ne_u16_sdwa s75, v11, v2 src0_sel:BYTE_0 src1_sel:DWORD
	v_mov_b32_e32 v8, 0
	s_andn2_b32 s17, s17, exec_lo
	s_and_b32 s75, s75, exec_lo
	s_or_b32 s17, s17, s75
	s_or_b32 exec_lo, exec_lo, s74
	s_and_saveexec_b32 s74, s17
	s_cbranch_execnz .LBB2_1477
	s_branch .LBB2_1478
.LBB2_1872:                             ;   in Loop: Header=BB2_1296 Depth=4
	s_or_saveexec_b32 s74, s74
	v_mov_b32_e32 v8, 0x7f800001
	s_xor_b32 exec_lo, exec_lo, s74
	s_cbranch_execz .LBB2_1490
.LBB2_1873:                             ;   in Loop: Header=BB2_1296 Depth=4
	v_cmp_ne_u16_sdwa s75, v11, v2 src0_sel:BYTE_1 src1_sel:DWORD
	v_mov_b32_e32 v8, 0
	s_andn2_b32 s17, s17, exec_lo
	s_and_b32 s75, s75, exec_lo
	s_or_b32 s17, s17, s75
	s_or_b32 exec_lo, exec_lo, s74
	s_and_saveexec_b32 s74, s17
	s_cbranch_execnz .LBB2_1491
	s_branch .LBB2_1492
.LBB2_1874:                             ;   in Loop: Header=BB2_1296 Depth=4
	s_or_saveexec_b32 s74, s74
	v_mov_b32_e32 v8, 0x7f800001
	s_xor_b32 exec_lo, exec_lo, s74
	s_cbranch_execz .LBB2_1504
.LBB2_1875:                             ;   in Loop: Header=BB2_1296 Depth=4
	v_cmp_ne_u16_e32 vcc_lo, 0, v9
	v_mov_b32_e32 v8, 0
	s_andn2_b32 s17, s17, exec_lo
	s_and_b32 s75, vcc_lo, exec_lo
	s_or_b32 s17, s17, s75
	s_or_b32 exec_lo, exec_lo, s74
	s_and_saveexec_b32 s74, s17
	s_cbranch_execnz .LBB2_1505
	s_branch .LBB2_1506
.LBB2_1876:                             ;   in Loop: Header=BB2_1296 Depth=4
	s_or_saveexec_b32 s74, s74
	v_mov_b32_e32 v8, 0x7f800001
	s_xor_b32 exec_lo, exec_lo, s74
	s_cbranch_execz .LBB2_1518
.LBB2_1877:                             ;   in Loop: Header=BB2_1296 Depth=4
	v_cmp_ne_u16_sdwa s75, v11, v2 src0_sel:BYTE_3 src1_sel:DWORD
	v_mov_b32_e32 v8, 0
	s_andn2_b32 s17, s17, exec_lo
	s_and_b32 s75, s75, exec_lo
	s_or_b32 s17, s17, s75
	s_or_b32 exec_lo, exec_lo, s74
	s_and_saveexec_b32 s74, s17
	s_cbranch_execnz .LBB2_1519
	s_branch .LBB2_1520
.LBB2_1878:                             ;   in Loop: Header=BB2_1296 Depth=4
	s_or_saveexec_b32 s73, s73
	v_mov_b32_e32 v59, 0x7f800001
	s_xor_b32 exec_lo, exec_lo, s73
	s_cbranch_execz .LBB2_1532
.LBB2_1879:                             ;   in Loop: Header=BB2_1296 Depth=4
	v_cmp_ne_u16_sdwa s74, v91, v2 src0_sel:BYTE_0 src1_sel:DWORD
	v_mov_b32_e32 v59, 0
	s_andn2_b32 s17, s17, exec_lo
	s_and_b32 s74, s74, exec_lo
	s_or_b32 s17, s17, s74
	s_or_b32 exec_lo, exec_lo, s73
	s_and_saveexec_b32 s73, s17
	s_cbranch_execnz .LBB2_1533
	s_branch .LBB2_1534
.LBB2_1880:                             ;   in Loop: Header=BB2_1296 Depth=4
	s_or_saveexec_b32 s73, s73
	v_mov_b32_e32 v62, 0x7f800001
	s_xor_b32 exec_lo, exec_lo, s73
	s_cbranch_execz .LBB2_1538
.LBB2_1881:                             ;   in Loop: Header=BB2_1296 Depth=4
	v_cmp_ne_u16_sdwa s74, v8, v2 src0_sel:BYTE_0 src1_sel:DWORD
	v_mov_b32_e32 v62, 0
	s_andn2_b32 s17, s17, exec_lo
	s_and_b32 s74, s74, exec_lo
	s_or_b32 s17, s17, s74
	s_or_b32 exec_lo, exec_lo, s73
	s_and_saveexec_b32 s73, s17
	s_cbranch_execnz .LBB2_1539
	s_branch .LBB2_1540
.LBB2_1882:                             ;   in Loop: Header=BB2_1296 Depth=4
	s_or_saveexec_b32 s73, s73
	v_mov_b32_e32 v62, 0x7f800001
	s_xor_b32 exec_lo, exec_lo, s73
	s_cbranch_execz .LBB2_1552
.LBB2_1883:                             ;   in Loop: Header=BB2_1296 Depth=4
	v_cmp_ne_u16_sdwa s74, v91, v2 src0_sel:BYTE_1 src1_sel:DWORD
	v_mov_b32_e32 v62, 0
	s_andn2_b32 s17, s17, exec_lo
	s_and_b32 s74, s74, exec_lo
	s_or_b32 s17, s17, s74
	s_or_b32 exec_lo, exec_lo, s73
	s_and_saveexec_b32 s73, s17
	s_cbranch_execnz .LBB2_1553
	s_branch .LBB2_1554
.LBB2_1884:                             ;   in Loop: Header=BB2_1296 Depth=4
	s_or_saveexec_b32 s73, s73
	v_mov_b32_e32 v92, 0x7f800001
	s_xor_b32 exec_lo, exec_lo, s73
	s_cbranch_execz .LBB2_1558
.LBB2_1885:                             ;   in Loop: Header=BB2_1296 Depth=4
	v_cmp_ne_u16_sdwa s74, v8, v2 src0_sel:BYTE_1 src1_sel:DWORD
	v_mov_b32_e32 v92, 0
	s_andn2_b32 s17, s17, exec_lo
	s_and_b32 s74, s74, exec_lo
	s_or_b32 s17, s17, s74
	s_or_b32 exec_lo, exec_lo, s73
	s_and_saveexec_b32 s73, s17
	s_cbranch_execnz .LBB2_1559
	s_branch .LBB2_1560
.LBB2_1886:                             ;   in Loop: Header=BB2_1296 Depth=4
	s_or_saveexec_b32 s73, s73
	v_mov_b32_e32 v75, 0x7f800001
	s_xor_b32 exec_lo, exec_lo, s73
	s_cbranch_execz .LBB2_1572
.LBB2_1887:                             ;   in Loop: Header=BB2_1296 Depth=4
	v_cmp_ne_u16_sdwa s74, v90, v2 src0_sel:BYTE_0 src1_sel:DWORD
	v_mov_b32_e32 v75, 0
	s_andn2_b32 s17, s17, exec_lo
	s_and_b32 s74, s74, exec_lo
	s_or_b32 s17, s17, s74
	s_or_b32 exec_lo, exec_lo, s73
	v_lshl_or_b32 v90, v90, 16, v91
	s_and_saveexec_b32 s73, s17
	s_cbranch_execnz .LBB2_1573
	s_branch .LBB2_1574
.LBB2_1888:                             ;   in Loop: Header=BB2_1296 Depth=4
	s_or_saveexec_b32 s73, s73
	v_mov_b32_e32 v91, 0x7f800001
	s_xor_b32 exec_lo, exec_lo, s73
	s_cbranch_execz .LBB2_1578
.LBB2_1889:                             ;   in Loop: Header=BB2_1296 Depth=4
	v_cmp_ne_u16_e32 vcc_lo, 0, v92
	v_mov_b32_e32 v91, 0
	s_andn2_b32 s17, s17, exec_lo
	s_and_b32 s74, vcc_lo, exec_lo
	s_or_b32 s17, s17, s74
	s_or_b32 exec_lo, exec_lo, s73
	s_and_saveexec_b32 s73, s17
	s_cbranch_execnz .LBB2_1579
	s_branch .LBB2_1580
.LBB2_1890:                             ;   in Loop: Header=BB2_1296 Depth=4
	s_or_saveexec_b32 s73, s73
	v_mov_b32_e32 v91, 0x7f800001
	s_xor_b32 exec_lo, exec_lo, s73
	s_cbranch_execz .LBB2_1592
.LBB2_1891:                             ;   in Loop: Header=BB2_1296 Depth=4
	v_cmp_ne_u16_sdwa s74, v90, v2 src0_sel:BYTE_3 src1_sel:DWORD
	v_mov_b32_e32 v91, 0
	s_andn2_b32 s17, s17, exec_lo
	s_and_b32 s74, s74, exec_lo
	s_or_b32 s17, s17, s74
	s_or_b32 exec_lo, exec_lo, s73
	s_and_saveexec_b32 s73, s17
	s_cbranch_execnz .LBB2_1593
	s_branch .LBB2_1594
.LBB2_1892:                             ;   in Loop: Header=BB2_1296 Depth=4
	s_or_saveexec_b32 s73, s73
	v_mov_b32_e32 v90, 0x7f800001
	s_xor_b32 exec_lo, exec_lo, s73
	s_cbranch_execz .LBB2_1598
.LBB2_1893:                             ;   in Loop: Header=BB2_1296 Depth=4
	v_cmp_ne_u16_sdwa s74, v8, v2 src0_sel:BYTE_3 src1_sel:DWORD
	v_mov_b32_e32 v90, 0
	s_andn2_b32 s17, s17, exec_lo
	s_and_b32 s74, s74, exec_lo
	s_or_b32 s17, s17, s74
	s_or_b32 exec_lo, exec_lo, s73
	s_and_saveexec_b32 s73, s17
	s_cbranch_execnz .LBB2_1599
	s_branch .LBB2_1600
.LBB2_1894:                             ;   in Loop: Header=BB2_1296 Depth=4
	s_or_saveexec_b32 s73, s73
	v_mov_b32_e32 v79, 0x7f800001
	s_xor_b32 exec_lo, exec_lo, s73
	s_cbranch_execz .LBB2_1612
.LBB2_1895:                             ;   in Loop: Header=BB2_1296 Depth=4
	v_cmp_ne_u16_sdwa s74, v90, v2 src0_sel:BYTE_0 src1_sel:DWORD
	v_mov_b32_e32 v79, 0
	s_andn2_b32 s17, s17, exec_lo
	s_and_b32 s74, s74, exec_lo
	s_or_b32 s17, s17, s74
	s_or_b32 exec_lo, exec_lo, s73
	s_and_saveexec_b32 s73, s17
	s_cbranch_execnz .LBB2_1613
	s_branch .LBB2_1614
.LBB2_1896:                             ;   in Loop: Header=BB2_1296 Depth=4
	s_or_saveexec_b32 s73, s73
	v_mov_b32_e32 v89, 0x7f800001
	s_xor_b32 exec_lo, exec_lo, s73
	s_cbranch_execz .LBB2_1618
.LBB2_1897:                             ;   in Loop: Header=BB2_1296 Depth=4
	v_cmp_ne_u16_sdwa s74, v9, v2 src0_sel:BYTE_0 src1_sel:DWORD
	v_mov_b32_e32 v89, 0
	s_andn2_b32 s17, s17, exec_lo
	s_and_b32 s74, s74, exec_lo
	s_or_b32 s17, s17, s74
	s_or_b32 exec_lo, exec_lo, s73
	s_and_saveexec_b32 s73, s17
	s_cbranch_execnz .LBB2_1619
	s_branch .LBB2_1620
.LBB2_1898:                             ;   in Loop: Header=BB2_1296 Depth=4
	s_or_saveexec_b32 s73, s73
	v_mov_b32_e32 v89, 0x7f800001
	s_xor_b32 exec_lo, exec_lo, s73
	s_cbranch_execz .LBB2_1632
.LBB2_1899:                             ;   in Loop: Header=BB2_1296 Depth=4
	v_cmp_ne_u16_sdwa s74, v90, v2 src0_sel:BYTE_1 src1_sel:DWORD
	v_mov_b32_e32 v89, 0
	s_andn2_b32 s17, s17, exec_lo
	s_and_b32 s74, s74, exec_lo
	s_or_b32 s17, s17, s74
	s_or_b32 exec_lo, exec_lo, s73
	s_and_saveexec_b32 s73, s17
	s_cbranch_execnz .LBB2_1633
	s_branch .LBB2_1634
.LBB2_1900:                             ;   in Loop: Header=BB2_1296 Depth=4
	s_or_saveexec_b32 s73, s73
	v_mov_b32_e32 v91, 0x7f800001
	s_xor_b32 exec_lo, exec_lo, s73
	s_cbranch_execz .LBB2_1638
.LBB2_1901:                             ;   in Loop: Header=BB2_1296 Depth=4
	v_cmp_ne_u16_sdwa s74, v9, v2 src0_sel:BYTE_1 src1_sel:DWORD
	v_mov_b32_e32 v91, 0
	s_andn2_b32 s17, s17, exec_lo
	s_and_b32 s74, s74, exec_lo
	s_or_b32 s17, s17, s74
	s_or_b32 exec_lo, exec_lo, s73
	s_and_saveexec_b32 s73, s17
	s_cbranch_execnz .LBB2_1639
	s_branch .LBB2_1640
.LBB2_1902:                             ;   in Loop: Header=BB2_1296 Depth=4
	s_or_saveexec_b32 s73, s73
	v_mov_b32_e32 v77, 0x7f800001
	s_xor_b32 exec_lo, exec_lo, s73
	s_cbranch_execz .LBB2_1652
.LBB2_1903:                             ;   in Loop: Header=BB2_1296 Depth=4
	v_cmp_ne_u16_sdwa s74, v88, v2 src0_sel:BYTE_0 src1_sel:DWORD
	v_mov_b32_e32 v77, 0
	s_andn2_b32 s17, s17, exec_lo
	s_and_b32 s74, s74, exec_lo
	s_or_b32 s17, s17, s74
	s_or_b32 exec_lo, exec_lo, s73
	v_lshl_or_b32 v88, v88, 16, v90
	s_and_saveexec_b32 s73, s17
	s_cbranch_execnz .LBB2_1653
	s_branch .LBB2_1654
.LBB2_1904:                             ;   in Loop: Header=BB2_1296 Depth=4
	s_or_saveexec_b32 s73, s73
	v_mov_b32_e32 v90, 0x7f800001
	s_xor_b32 exec_lo, exec_lo, s73
	s_cbranch_execz .LBB2_1658
.LBB2_1905:                             ;   in Loop: Header=BB2_1296 Depth=4
	v_cmp_ne_u16_e32 vcc_lo, 0, v91
	v_mov_b32_e32 v90, 0
	s_andn2_b32 s17, s17, exec_lo
	s_and_b32 s74, vcc_lo, exec_lo
	s_or_b32 s17, s17, s74
	s_or_b32 exec_lo, exec_lo, s73
	s_and_saveexec_b32 s73, s17
	s_cbranch_execnz .LBB2_1659
	s_branch .LBB2_1660
.LBB2_1906:                             ;   in Loop: Header=BB2_1296 Depth=4
	s_or_saveexec_b32 s73, s73
	v_mov_b32_e32 v90, 0x7f800001
	s_xor_b32 exec_lo, exec_lo, s73
	s_cbranch_execz .LBB2_1672
.LBB2_1907:                             ;   in Loop: Header=BB2_1296 Depth=4
	v_cmp_ne_u16_sdwa s74, v88, v2 src0_sel:BYTE_3 src1_sel:DWORD
	v_mov_b32_e32 v90, 0
	s_andn2_b32 s17, s17, exec_lo
	s_and_b32 s74, s74, exec_lo
	s_or_b32 s17, s17, s74
	s_or_b32 exec_lo, exec_lo, s73
	s_and_saveexec_b32 s73, s17
	s_cbranch_execnz .LBB2_1673
	s_branch .LBB2_1674
.LBB2_1908:                             ;   in Loop: Header=BB2_1296 Depth=4
	s_or_saveexec_b32 s73, s73
	v_mov_b32_e32 v88, 0x7f800001
	s_xor_b32 exec_lo, exec_lo, s73
	s_cbranch_execz .LBB2_1678
.LBB2_1909:                             ;   in Loop: Header=BB2_1296 Depth=4
	v_cmp_ne_u16_sdwa s74, v9, v2 src0_sel:BYTE_3 src1_sel:DWORD
	v_mov_b32_e32 v88, 0
	s_andn2_b32 s17, s17, exec_lo
	s_and_b32 s74, s74, exec_lo
	s_or_b32 s17, s17, s74
	s_or_b32 exec_lo, exec_lo, s73
	s_and_saveexec_b32 s73, s17
	s_cbranch_execnz .LBB2_1679
	s_branch .LBB2_1680
.LBB2_1910:                             ;   in Loop: Header=BB2_1296 Depth=4
	s_or_saveexec_b32 s73, s73
	v_mov_b32_e32 v74, 0x7f800001
	s_xor_b32 exec_lo, exec_lo, s73
	s_cbranch_execz .LBB2_1692
.LBB2_1911:                             ;   in Loop: Header=BB2_1296 Depth=4
	v_cmp_ne_u16_sdwa s74, v88, v2 src0_sel:BYTE_0 src1_sel:DWORD
	v_mov_b32_e32 v74, 0
	s_andn2_b32 s17, s17, exec_lo
	s_and_b32 s74, s74, exec_lo
	s_or_b32 s17, s17, s74
	s_or_b32 exec_lo, exec_lo, s73
	s_and_saveexec_b32 s73, s17
	s_cbranch_execnz .LBB2_1693
	s_branch .LBB2_1694
.LBB2_1912:                             ;   in Loop: Header=BB2_1296 Depth=4
	s_or_saveexec_b32 s73, s73
	v_mov_b32_e32 v78, 0x7f800001
	s_xor_b32 exec_lo, exec_lo, s73
	s_cbranch_execz .LBB2_1698
.LBB2_1913:                             ;   in Loop: Header=BB2_1296 Depth=4
	v_cmp_ne_u16_sdwa s74, v10, v2 src0_sel:BYTE_0 src1_sel:DWORD
	v_mov_b32_e32 v78, 0
	s_andn2_b32 s17, s17, exec_lo
	s_and_b32 s74, s74, exec_lo
	s_or_b32 s17, s17, s74
	s_or_b32 exec_lo, exec_lo, s73
	s_and_saveexec_b32 s73, s17
	s_cbranch_execnz .LBB2_1699
	s_branch .LBB2_1700
.LBB2_1914:                             ;   in Loop: Header=BB2_1296 Depth=4
	s_or_saveexec_b32 s73, s73
	v_mov_b32_e32 v78, 0x7f800001
	s_xor_b32 exec_lo, exec_lo, s73
	s_cbranch_execz .LBB2_1712
.LBB2_1915:                             ;   in Loop: Header=BB2_1296 Depth=4
	v_cmp_ne_u16_sdwa s74, v88, v2 src0_sel:BYTE_1 src1_sel:DWORD
	v_mov_b32_e32 v78, 0
	s_andn2_b32 s17, s17, exec_lo
	s_and_b32 s74, s74, exec_lo
	s_or_b32 s17, s17, s74
	s_or_b32 exec_lo, exec_lo, s73
	s_and_saveexec_b32 s73, s17
	s_cbranch_execnz .LBB2_1713
	s_branch .LBB2_1714
.LBB2_1916:                             ;   in Loop: Header=BB2_1296 Depth=4
	s_or_saveexec_b32 s73, s73
	v_mov_b32_e32 v90, 0x7f800001
	s_xor_b32 exec_lo, exec_lo, s73
	s_cbranch_execz .LBB2_1718
.LBB2_1917:                             ;   in Loop: Header=BB2_1296 Depth=4
	v_cmp_ne_u16_sdwa s74, v10, v2 src0_sel:BYTE_1 src1_sel:DWORD
	v_mov_b32_e32 v90, 0
	s_andn2_b32 s17, s17, exec_lo
	s_and_b32 s74, s74, exec_lo
	s_or_b32 s17, s17, s74
	s_or_b32 exec_lo, exec_lo, s73
	s_and_saveexec_b32 s73, s17
	s_cbranch_execnz .LBB2_1719
	s_branch .LBB2_1720
.LBB2_1918:                             ;   in Loop: Header=BB2_1296 Depth=4
	s_or_saveexec_b32 s73, s73
	v_mov_b32_e32 v72, 0x7f800001
	s_xor_b32 exec_lo, exec_lo, s73
	s_cbranch_execz .LBB2_1732
.LBB2_1919:                             ;   in Loop: Header=BB2_1296 Depth=4
	v_cmp_ne_u16_sdwa s74, v76, v2 src0_sel:BYTE_0 src1_sel:DWORD
	v_mov_b32_e32 v72, 0
	s_andn2_b32 s17, s17, exec_lo
	s_and_b32 s74, s74, exec_lo
	s_or_b32 s17, s17, s74
	s_or_b32 exec_lo, exec_lo, s73
	v_lshl_or_b32 v76, v76, 16, v88
	s_and_saveexec_b32 s73, s17
	s_cbranch_execnz .LBB2_1733
	s_branch .LBB2_1734
.LBB2_1920:                             ;   in Loop: Header=BB2_1296 Depth=4
	s_or_saveexec_b32 s73, s73
	v_mov_b32_e32 v88, 0x7f800001
	s_xor_b32 exec_lo, exec_lo, s73
	s_cbranch_execz .LBB2_1738
.LBB2_1921:                             ;   in Loop: Header=BB2_1296 Depth=4
	v_cmp_ne_u16_e32 vcc_lo, 0, v90
	v_mov_b32_e32 v88, 0
	s_andn2_b32 s17, s17, exec_lo
	s_and_b32 s74, vcc_lo, exec_lo
	s_or_b32 s17, s17, s74
	s_or_b32 exec_lo, exec_lo, s73
	s_and_saveexec_b32 s73, s17
	s_cbranch_execnz .LBB2_1739
	s_branch .LBB2_1740
.LBB2_1922:                             ;   in Loop: Header=BB2_1296 Depth=4
	s_or_saveexec_b32 s73, s73
	v_mov_b32_e32 v88, 0x7f800001
	s_xor_b32 exec_lo, exec_lo, s73
	s_cbranch_execz .LBB2_1752
.LBB2_1923:                             ;   in Loop: Header=BB2_1296 Depth=4
	v_cmp_ne_u16_sdwa s74, v76, v2 src0_sel:BYTE_3 src1_sel:DWORD
	v_mov_b32_e32 v88, 0
	s_andn2_b32 s17, s17, exec_lo
	s_and_b32 s74, s74, exec_lo
	s_or_b32 s17, s17, s74
	s_or_b32 exec_lo, exec_lo, s73
	s_and_saveexec_b32 s73, s17
	s_cbranch_execnz .LBB2_1753
	s_branch .LBB2_1754
.LBB2_1924:                             ;   in Loop: Header=BB2_1296 Depth=4
	s_or_saveexec_b32 s73, s73
	v_mov_b32_e32 v76, 0x7f800001
	s_xor_b32 exec_lo, exec_lo, s73
	s_cbranch_execz .LBB2_1758
.LBB2_1925:                             ;   in Loop: Header=BB2_1296 Depth=4
	v_cmp_ne_u16_sdwa s74, v10, v2 src0_sel:BYTE_3 src1_sel:DWORD
	v_mov_b32_e32 v76, 0
	s_andn2_b32 s17, s17, exec_lo
	s_and_b32 s74, s74, exec_lo
	s_or_b32 s17, s17, s74
	s_or_b32 exec_lo, exec_lo, s73
	s_and_saveexec_b32 s73, s17
	s_cbranch_execnz .LBB2_1759
	s_branch .LBB2_1760
.LBB2_1926:                             ;   in Loop: Header=BB2_1296 Depth=4
	s_or_saveexec_b32 s73, s73
	v_mov_b32_e32 v61, 0x7f800001
	s_xor_b32 exec_lo, exec_lo, s73
	s_cbranch_execz .LBB2_1772
.LBB2_1927:                             ;   in Loop: Header=BB2_1296 Depth=4
	v_cmp_ne_u16_sdwa s74, v73, v2 src0_sel:BYTE_0 src1_sel:DWORD
	v_mov_b32_e32 v61, 0
	s_andn2_b32 s17, s17, exec_lo
	s_and_b32 s74, s74, exec_lo
	s_or_b32 s17, s17, s74
	s_or_b32 exec_lo, exec_lo, s73
	s_and_saveexec_b32 s73, s17
	s_cbranch_execnz .LBB2_1773
	s_branch .LBB2_1774
.LBB2_1928:                             ;   in Loop: Header=BB2_1296 Depth=4
	s_or_saveexec_b32 s73, s73
	v_mov_b32_e32 v76, 0x7f800001
	s_xor_b32 exec_lo, exec_lo, s73
	s_cbranch_execz .LBB2_1778
.LBB2_1929:                             ;   in Loop: Header=BB2_1296 Depth=4
	v_cmp_ne_u16_sdwa s74, v11, v2 src0_sel:BYTE_0 src1_sel:DWORD
	v_mov_b32_e32 v76, 0
	s_andn2_b32 s17, s17, exec_lo
	s_and_b32 s74, s74, exec_lo
	s_or_b32 s17, s17, s74
	s_or_b32 exec_lo, exec_lo, s73
	s_and_saveexec_b32 s73, s17
	s_cbranch_execnz .LBB2_1779
	s_branch .LBB2_1780
.LBB2_1930:                             ;   in Loop: Header=BB2_1296 Depth=4
	s_or_saveexec_b32 s73, s73
	v_mov_b32_e32 v76, 0x7f800001
	s_xor_b32 exec_lo, exec_lo, s73
	s_cbranch_execz .LBB2_1792
.LBB2_1931:                             ;   in Loop: Header=BB2_1296 Depth=4
	v_cmp_ne_u16_sdwa s74, v73, v2 src0_sel:BYTE_1 src1_sel:DWORD
	v_mov_b32_e32 v76, 0
	s_andn2_b32 s17, s17, exec_lo
	s_and_b32 s74, s74, exec_lo
	s_or_b32 s17, s17, s74
	s_or_b32 exec_lo, exec_lo, s73
	s_and_saveexec_b32 s73, s17
	s_cbranch_execnz .LBB2_1793
	s_branch .LBB2_1794
.LBB2_1932:                             ;   in Loop: Header=BB2_1296 Depth=4
	s_or_saveexec_b32 s73, s73
	v_mov_b32_e32 v88, 0x7f800001
	s_xor_b32 exec_lo, exec_lo, s73
	s_cbranch_execz .LBB2_1798
.LBB2_1933:                             ;   in Loop: Header=BB2_1296 Depth=4
	v_cmp_ne_u16_sdwa s74, v11, v2 src0_sel:BYTE_1 src1_sel:DWORD
	v_mov_b32_e32 v88, 0
	s_andn2_b32 s17, s17, exec_lo
	s_and_b32 s74, s74, exec_lo
	s_or_b32 s17, s17, s74
	s_or_b32 exec_lo, exec_lo, s73
	s_and_saveexec_b32 s73, s17
	s_cbranch_execnz .LBB2_1799
	s_branch .LBB2_1800
.LBB2_1934:                             ;   in Loop: Header=BB2_1296 Depth=4
	s_or_saveexec_b32 s73, s73
	v_mov_b32_e32 v60, 0x7f800001
	s_xor_b32 exec_lo, exec_lo, s73
	s_cbranch_execz .LBB2_1812
.LBB2_1935:                             ;   in Loop: Header=BB2_1296 Depth=4
	v_cmp_ne_u16_sdwa s74, v63, v2 src0_sel:BYTE_0 src1_sel:DWORD
	v_mov_b32_e32 v60, 0
	s_andn2_b32 s17, s17, exec_lo
	s_and_b32 s74, s74, exec_lo
	s_or_b32 s17, s17, s74
	s_or_b32 exec_lo, exec_lo, s73
	v_lshl_or_b32 v63, v63, 16, v73
	s_and_saveexec_b32 s73, s17
	s_cbranch_execnz .LBB2_1813
	s_branch .LBB2_1814
.LBB2_1936:                             ;   in Loop: Header=BB2_1296 Depth=4
	s_or_saveexec_b32 s73, s73
	v_mov_b32_e32 v73, 0x7f800001
	s_xor_b32 exec_lo, exec_lo, s73
	s_cbranch_execz .LBB2_1818
.LBB2_1937:                             ;   in Loop: Header=BB2_1296 Depth=4
	v_cmp_ne_u16_e32 vcc_lo, 0, v88
	v_mov_b32_e32 v73, 0
	s_andn2_b32 s17, s17, exec_lo
	s_and_b32 s74, vcc_lo, exec_lo
	s_or_b32 s17, s17, s74
	s_or_b32 exec_lo, exec_lo, s73
	s_and_saveexec_b32 s73, s17
	s_cbranch_execnz .LBB2_1819
	s_branch .LBB2_1820
.LBB2_1938:                             ;   in Loop: Header=BB2_1296 Depth=4
	s_or_saveexec_b32 s73, s73
	v_mov_b32_e32 v73, 0x7f800001
	s_xor_b32 exec_lo, exec_lo, s73
	s_cbranch_execz .LBB2_1832
.LBB2_1939:                             ;   in Loop: Header=BB2_1296 Depth=4
	v_cmp_ne_u16_sdwa s74, v63, v2 src0_sel:BYTE_3 src1_sel:DWORD
	v_mov_b32_e32 v73, 0
	s_andn2_b32 s17, s17, exec_lo
	s_and_b32 s74, s74, exec_lo
	s_or_b32 s17, s17, s74
	s_or_b32 exec_lo, exec_lo, s73
	s_and_saveexec_b32 s73, s17
	s_cbranch_execnz .LBB2_1833
	s_branch .LBB2_1834
.LBB2_1940:                             ;   in Loop: Header=BB2_1296 Depth=4
	s_or_saveexec_b32 s73, s73
	v_mov_b32_e32 v63, 0x7f800001
	s_xor_b32 exec_lo, exec_lo, s73
	s_cbranch_execz .LBB2_1838
.LBB2_1941:                             ;   in Loop: Header=BB2_1296 Depth=4
	v_cmp_ne_u16_sdwa s74, v11, v2 src0_sel:BYTE_3 src1_sel:DWORD
	v_mov_b32_e32 v63, 0
	s_andn2_b32 s17, s17, exec_lo
	s_and_b32 s74, s74, exec_lo
	s_or_b32 s17, s17, s74
	s_or_b32 exec_lo, exec_lo, s73
	s_and_saveexec_b32 s73, s17
	s_cbranch_execnz .LBB2_1839
	s_branch .LBB2_1840
.LBB2_1942:                             ;   in Loop: Header=BB2_1216 Depth=3
	s_or_b32 exec_lo, exec_lo, s62
.LBB2_1943:                             ;   in Loop: Header=BB2_1216 Depth=3
	s_or_b32 exec_lo, exec_lo, s61
	v_and_b32_e32 v8, 15, v3
	v_mov_b32_e32 v66, 0
	s_mov_b32 s62, 0
	s_mov_b32 s61, exec_lo
                                        ; implicit-def: $vgpr67
                                        ; implicit-def: $vgpr68
	v_cndmask_b32_e64 v56, v57, v8, s16
	v_cmpx_ne_u32_e32 0, v56
	s_cbranch_execz .LBB2_2597
; %bb.1944:                             ;   in Loop: Header=BB2_1216 Depth=3
	v_cmp_lt_i32_e32 vcc_lo, 0, v58
	v_ashrrev_i32_e32 v11, 31, v56
	s_mov_b32 s62, exec_lo
	v_cndmask_b32_e32 v9, 0, v83, vcc_lo
	v_lshrrev_b32_e32 v11, 23, v11
	v_sub_nc_u32_e32 v9, v9, v58
	v_add_nc_u32_e32 v11, v56, v11
	v_lshl_or_b32 v9, v9, 5, v84
	v_and_b32_e32 v59, 0xfffffe00, v11
	v_ashrrev_i32_e32 v11, 9, v11
	v_ashrrev_i32_e32 v10, 31, v9
	v_lshrrev_b32_e32 v10, 27, v10
	v_add_nc_u32_e32 v10, v9, v10
	v_and_b32_e32 v66, 0xffffffe0, v10
	v_sub_nc_u32_e32 v58, v9, v66
	v_ashrrev_i32_e32 v9, 5, v10
	v_sub_nc_u32_e32 v66, v57, v8
	v_sub_nc_u32_e32 v57, v56, v59
	v_lshlrev_b32_e32 v10, 4, v58
	v_lshl_add_u32 v8, v9, 9, v10
	v_cndmask_b32_e64 v10, 0, v66, s16
	v_cmp_lt_i32_e64 s16, 15, v57
	v_sub_nc_u32_e32 v61, v56, v8
	v_add_nc_u32_e32 v51, v10, v51
	v_add_co_ci_u32_e64 v11, null, 0, v11, s16
	v_sub_nc_u32_e32 v60, v11, v9
	v_cmpx_lt_i32_e32 15, v61
	s_cbranch_execz .LBB2_2596
; %bb.1945:                             ;   in Loop: Header=BB2_1216 Depth=3
	s_trap 2
	ds_read_b64 v[9:10], v0
	v_add_nc_u32_e32 v8, v8, v51
	v_ashrrev_i32_e32 v11, 31, v8
	v_add_co_u32 v66, vcc_lo, v8, v54
	v_add_co_ci_u32_e64 v67, null, v11, v55, vcc_lo
	v_add_co_u32 v68, vcc_lo, v8, v64
	v_add_co_ci_u32_e64 v69, null, v11, v65, vcc_lo
	s_waitcnt lgkmcnt(0)
	v_readfirstlane_b32 s17, v9
	v_add_co_u32 v70, vcc_lo, v9, v8
	v_add_co_ci_u32_e64 v71, null, v10, v11, vcc_lo
	s_and_b32 s63, s17, 3
	s_bfe_u32 s74, s17, 0x50002
	s_flbit_i32_b32 s72, s63
	s_min_u32 s72, s72, 32
	s_sub_i32 s73, s72, 29
	s_sub_i32 s72, 30, s72
	s_lshl_b32 s73, s17, s73
	s_and_b32 s73, s73, 3
	s_cmp_eq_u32 s74, 0
	s_cselect_b32 s72, s72, s74
	s_cselect_b32 s63, s73, s63
	s_lshl_b32 s73, s17, 24
	s_lshl_b32 s72, s72, 23
	s_and_b32 s73, s73, 0x80000000
	s_add_i32 s72, s72, 0x37800000
	s_lshl_b32 s74, s63, 21
	s_or_b32 s72, s73, s72
	s_mov_b32 s63, 0
	s_or_b32 s72, s72, s74
	s_and_b32 s73, s17, 0xff
	s_branch .LBB2_1949
.LBB2_1946:                             ;   in Loop: Header=BB2_1949 Depth=4
	s_or_b32 exec_lo, exec_lo, s17
	v_lshrrev_b32_e32 v76, 21, v76
	v_min_i32_e32 v91, 31, v74
	v_cmp_gt_i32_e32 vcc_lo, 32, v74
	v_and_b32_sdwa v11, v11, v98 dst_sel:DWORD dst_unused:UNUSED_PAD src0_sel:BYTE_3 src1_sel:DWORD
	v_lshlrev_b32_e32 v91, 2, v91
	v_cndmask_b32_e32 v76, 3, v76, vcc_lo
	v_and_b32_e32 v91, 0xfc, v91
	v_and_b32_e32 v93, 3, v76
	v_or_b32_e32 v74, v74, v76
	v_or3_b32 v11, v11, v91, v93
	v_cmp_ne_u32_e32 vcc_lo, 0, v74
	v_lshlrev_b32_e32 v11, 8, v11
	v_cndmask_b32_e32 v74, 0, v11, vcc_lo
.LBB2_1947:                             ;   in Loop: Header=BB2_1949 Depth=4
	s_or_b32 exec_lo, exec_lo, s75
.LBB2_1948:                             ;   in Loop: Header=BB2_1949 Depth=4
	s_or_b32 exec_lo, exec_lo, s74
	v_or_b32_sdwa v9, v9, v88 dst_sel:WORD_1 dst_unused:UNUSED_PAD src0_sel:DWORD src1_sel:DWORD
	v_or_b32_sdwa v8, v8, v78 dst_sel:WORD_1 dst_unused:UNUSED_PAD src0_sel:DWORD src1_sel:DWORD
	;; [unrolled: 1-line block ×4, first 2 shown]
	v_sub_nc_u32_e32 v61, v61, v114
	v_or3_b32 v9, v92, v90, v9
	v_or3_b32 v8, v73, v62, v8
	;; [unrolled: 1-line block ×4, first 2 shown]
	v_add_co_u32 v66, vcc_lo, v66, v114
	v_add_co_ci_u32_e64 v67, null, 0, v67, vcc_lo
	v_add_co_u32 v70, vcc_lo, v70, v114
	global_store_dwordx4 v[68:69], v[8:11], off glc slc
	v_add_co_ci_u32_e64 v71, null, 0, v71, vcc_lo
	v_cmp_gt_i32_e32 vcc_lo, 16, v61
	v_add_co_u32 v68, s17, v68, v114
	v_add_co_ci_u32_e64 v69, null, 0, v69, s17
	v_sub_nc_u32_e32 v60, v60, v83
	s_or_b32 s63, vcc_lo, s63
	s_andn2_b32 exec_lo, exec_lo, s63
	s_cbranch_execz .LBB2_2595
.LBB2_1949:                             ;   Parent Loop BB2_47 Depth=1
                                        ;     Parent Loop BB2_1213 Depth=2
                                        ;       Parent Loop BB2_1216 Depth=3
                                        ; =>      This Inner Loop Header: Depth=4
	s_cmpk_lt_i32 s73, 0x80
	s_cbranch_scc1 .LBB2_1953
; %bb.1950:                             ;   in Loop: Header=BB2_1949 Depth=4
	s_and_b32 s17, 0xffff, s73
	s_cmpk_eq_i32 s17, 0x80
	s_mov_b32 s17, -1
	s_cbranch_scc0 .LBB2_1952
; %bb.1951:                             ;   in Loop: Header=BB2_1949 Depth=4
	s_mov_b32 s17, 0
.LBB2_1952:                             ;   in Loop: Header=BB2_1949 Depth=4
	s_mov_b32 s74, 0x7f800001
	s_branch .LBB2_1955
.LBB2_1953:                             ;   in Loop: Header=BB2_1949 Depth=4
	s_mov_b32 s17, 0
	s_mov_b32 s74, 0x7f800001
	s_cbranch_execz .LBB2_1955
; %bb.1954:                             ;   in Loop: Header=BB2_1949 Depth=4
	s_and_b32 s17, 0xffff, s73
	s_mov_b32 s74, 0
	s_cmp_lg_u32 s17, 0
	s_cselect_b32 s17, -1, 0
.LBB2_1955:                             ;   in Loop: Header=BB2_1949 Depth=4
	s_andn2_b32 vcc_lo, exec_lo, s17
	s_cbranch_vccnz .LBB2_1957
; %bb.1956:                             ;   in Loop: Header=BB2_1949 Depth=4
	s_mov_b32 s74, s72
.LBB2_1957:                             ;   in Loop: Header=BB2_1949 Depth=4
	global_load_dwordx4 v[8:11], v[66:67], off slc
	s_mov_b32 s17, 0
	s_waitcnt vmcnt(0)
	v_cmp_gt_i16_sdwa s75, v8, v97 src0_sel:BYTE_0 src1_sel:DWORD
	s_and_saveexec_b32 s76, s75
	s_xor_b32 s75, exec_lo, s76
	s_cbranch_execz .LBB2_2499
; %bb.1958:                             ;   in Loop: Header=BB2_1949 Depth=4
	v_cmp_eq_u16_sdwa s77, v8, v98 src0_sel:BYTE_0 src1_sel:DWORD
	s_mov_b32 s17, -1
	s_and_saveexec_b32 s76, s77
; %bb.1959:                             ;   in Loop: Header=BB2_1949 Depth=4
	s_xor_b32 s17, exec_lo, -1
; %bb.1960:                             ;   in Loop: Header=BB2_1949 Depth=4
	s_or_b32 exec_lo, exec_lo, s76
	s_and_b32 s17, s17, exec_lo
	s_or_saveexec_b32 s75, s75
	v_mov_b32_e32 v62, 0x7f800001
	s_xor_b32 exec_lo, exec_lo, s75
	s_cbranch_execnz .LBB2_2500
.LBB2_1961:                             ;   in Loop: Header=BB2_1949 Depth=4
	s_or_b32 exec_lo, exec_lo, s75
	s_and_saveexec_b32 s75, s17
	s_cbranch_execz .LBB2_1963
.LBB2_1962:                             ;   in Loop: Header=BB2_1949 Depth=4
	v_and_b32_e32 v62, 3, v8
	v_bfe_u32 v73, v8, 2, 5
	v_lshlrev_b32_e32 v74, 24, v8
	v_ffbh_u32_e32 v63, v62
	v_cmp_eq_u32_e32 vcc_lo, 0, v73
	v_min_u32_e32 v63, 32, v63
	v_subrev_nc_u32_e32 v72, 29, v63
	v_sub_nc_u32_e32 v63, 30, v63
	v_lshlrev_b32_e32 v72, v72, v8
	v_cndmask_b32_e32 v63, v73, v63, vcc_lo
	v_and_b32_e32 v72, 3, v72
	v_lshl_add_u32 v63, v63, 23, 0x37800000
	v_cndmask_b32_e32 v62, v62, v72, vcc_lo
	v_and_b32_e32 v72, 0x80000000, v74
	v_lshlrev_b32_e32 v62, 21, v62
	v_or3_b32 v62, v72, v63, v62
.LBB2_1963:                             ;   in Loop: Header=BB2_1949 Depth=4
	s_or_b32 exec_lo, exec_lo, s75
	v_mul_f32_e32 v63, s74, v62
	v_and_b32_e32 v62, 0x7f800000, v63
	v_cmp_ne_u32_e32 vcc_lo, 0x7f800000, v62
	v_mov_b32_e32 v62, 0x80
	s_and_saveexec_b32 s75, vcc_lo
	s_cbranch_execz .LBB2_1971
; %bb.1964:                             ;   in Loop: Header=BB2_1949 Depth=4
	v_mov_b32_e32 v62, 0
	s_mov_b32 s76, exec_lo
	v_cmpx_ne_u32_e32 0, v63
	s_cbranch_execz .LBB2_1970
; %bb.1965:                             ;   in Loop: Header=BB2_1949 Depth=4
	v_bfe_u32 v62, v63, 23, 8
	v_and_b32_e32 v72, 0x7fffff, v63
	v_sub_nc_u32_e32 v73, 0x70, v62
	v_cmp_gt_u32_e32 vcc_lo, 0x71, v62
	v_or_b32_e32 v74, 0x800000, v72
	v_cndmask_b32_e32 v73, 0, v73, vcc_lo
	v_cmp_eq_u32_e32 vcc_lo, 0, v62
	v_add_nc_u32_e32 v62, 0xffffff91, v62
	v_cndmask_b32_e64 v73, v73, 0x6f, vcc_lo
	v_cndmask_b32_e32 v72, v74, v72, vcc_lo
	v_cndmask_b32_e64 v62, v62, 0xffffff92, vcc_lo
	v_lshl_add_u32 v74, 0x200000, v73, -1
	v_lshrrev_b32_e32 v75, v73, v72
	v_lshlrev_b32_e64 v77, v73, 0x100000
	v_add_nc_u32_e32 v73, v73, v62
	v_and_b32_e32 v72, v74, v72
	v_bfe_u32 v76, v75, 21, 1
	v_cmp_eq_u32_e64 s17, v72, v77
	v_add_nc_u32_e32 v74, -1, v76
	v_cndmask_b32_e64 v72, 0, v74, s17
	v_lshrrev_b32_e32 v74, 23, v75
	s_mov_b32 s17, exec_lo
	v_add_nc_u32_e32 v72, v72, v75
	v_xor_b32_e32 v74, 1, v74
	v_and_b32_e32 v62, 0x1fffff, v72
	v_add_nc_u32_e32 v72, v62, v75
                                        ; implicit-def: $vgpr62
	v_cmpx_ne_u32_e64 v73, v74
	s_xor_b32 s17, exec_lo, s17
; %bb.1966:                             ;   in Loop: Header=BB2_1949 Depth=4
	v_cmp_lt_u32_e32 vcc_lo, 0xffffff, v72
	v_sub_nc_u32_e32 v62, v73, v74
	v_cndmask_b32_e64 v73, 0, 1, vcc_lo
	v_add_co_ci_u32_e64 v62, null, 0, v62, vcc_lo
	v_lshrrev_b32_e32 v72, v73, v72
; %bb.1967:                             ;   in Loop: Header=BB2_1949 Depth=4
	s_andn2_saveexec_b32 s17, s17
; %bb.1968:                             ;   in Loop: Header=BB2_1949 Depth=4
	v_bfe_u32 v62, v72, 23, 1
; %bb.1969:                             ;   in Loop: Header=BB2_1949 Depth=4
	s_or_b32 exec_lo, exec_lo, s17
	v_lshrrev_b32_e32 v72, 21, v72
	v_min_i32_e32 v73, 31, v62
	v_cmp_gt_i32_e32 vcc_lo, 32, v62
	v_and_b32_sdwa v63, v63, v98 dst_sel:DWORD dst_unused:UNUSED_PAD src0_sel:BYTE_3 src1_sel:DWORD
	v_lshlrev_b32_e32 v73, 2, v73
	v_cndmask_b32_e32 v72, 3, v72, vcc_lo
	v_and_b32_e32 v73, 0xfc, v73
	v_and_b32_e32 v74, 3, v72
	v_or_b32_e32 v62, v62, v72
	v_or3_b32 v63, v73, v63, v74
	v_cmp_ne_u32_e32 vcc_lo, 0, v62
	v_cndmask_b32_e32 v62, 0, v63, vcc_lo
.LBB2_1970:                             ;   in Loop: Header=BB2_1949 Depth=4
	s_or_b32 exec_lo, exec_lo, s76
.LBB2_1971:                             ;   in Loop: Header=BB2_1949 Depth=4
	s_or_b32 exec_lo, exec_lo, s75
	v_cmp_gt_i16_sdwa s75, v8, v97 src0_sel:BYTE_1 src1_sel:DWORD
	s_mov_b32 s17, 0
	s_and_saveexec_b32 s76, s75
	s_xor_b32 s75, exec_lo, s76
	s_cbranch_execz .LBB2_2501
; %bb.1972:                             ;   in Loop: Header=BB2_1949 Depth=4
	v_cmp_eq_u16_sdwa s77, v8, v98 src0_sel:BYTE_1 src1_sel:DWORD
	s_mov_b32 s17, -1
	s_and_saveexec_b32 s76, s77
; %bb.1973:                             ;   in Loop: Header=BB2_1949 Depth=4
	s_xor_b32 s17, exec_lo, -1
; %bb.1974:                             ;   in Loop: Header=BB2_1949 Depth=4
	s_or_b32 exec_lo, exec_lo, s76
	s_and_b32 s17, s17, exec_lo
	s_or_saveexec_b32 s75, s75
	v_mov_b32_e32 v63, 0x7f800001
	s_xor_b32 exec_lo, exec_lo, s75
	s_cbranch_execnz .LBB2_2502
.LBB2_1975:                             ;   in Loop: Header=BB2_1949 Depth=4
	s_or_b32 exec_lo, exec_lo, s75
	s_and_saveexec_b32 s75, s17
	s_cbranch_execz .LBB2_1977
.LBB2_1976:                             ;   in Loop: Header=BB2_1949 Depth=4
	v_and_b32_sdwa v63, v99, v8 dst_sel:DWORD dst_unused:UNUSED_PAD src0_sel:DWORD src1_sel:BYTE_1
	v_and_b32_e32 v72, 3, v63
	v_bfe_u32 v75, v63, 2, 5
	v_ffbh_u32_e32 v73, v72
	v_cmp_eq_u32_e32 vcc_lo, 0, v75
	v_min_u32_e32 v73, 32, v73
	v_subrev_nc_u32_e32 v74, 29, v73
	v_sub_nc_u32_e32 v73, 30, v73
	v_lshlrev_b32_e32 v63, v74, v63
	v_lshlrev_b32_sdwa v74, v100, v8 dst_sel:DWORD dst_unused:UNUSED_PAD src0_sel:DWORD src1_sel:BYTE_1
	v_cndmask_b32_e32 v73, v75, v73, vcc_lo
	v_and_b32_e32 v63, 3, v63
	v_lshl_add_u32 v73, v73, 23, 0x37800000
	v_cndmask_b32_e32 v63, v72, v63, vcc_lo
	v_and_b32_e32 v72, 0x80000000, v74
	v_lshlrev_b32_e32 v63, 21, v63
	v_or3_b32 v63, v72, v73, v63
.LBB2_1977:                             ;   in Loop: Header=BB2_1949 Depth=4
	s_or_b32 exec_lo, exec_lo, s75
	v_mul_f32_e32 v63, s74, v63
	v_mov_b32_e32 v73, 0x8000
	s_mov_b32 s75, exec_lo
	v_and_b32_e32 v72, 0x7f800000, v63
	v_cmpx_ne_u32_e32 0x7f800000, v72
	s_cbranch_execz .LBB2_1985
; %bb.1978:                             ;   in Loop: Header=BB2_1949 Depth=4
	v_mov_b32_e32 v73, 0
	s_mov_b32 s76, exec_lo
	v_cmpx_ne_u32_e32 0, v63
	s_cbranch_execz .LBB2_1984
; %bb.1979:                             ;   in Loop: Header=BB2_1949 Depth=4
	v_bfe_u32 v72, v63, 23, 8
	v_and_b32_e32 v73, 0x7fffff, v63
	v_sub_nc_u32_e32 v74, 0x70, v72
	v_cmp_gt_u32_e32 vcc_lo, 0x71, v72
	v_or_b32_e32 v75, 0x800000, v73
	v_cndmask_b32_e32 v74, 0, v74, vcc_lo
	v_cmp_eq_u32_e32 vcc_lo, 0, v72
	v_add_nc_u32_e32 v72, 0xffffff91, v72
	v_cndmask_b32_e64 v74, v74, 0x6f, vcc_lo
	v_cndmask_b32_e32 v73, v75, v73, vcc_lo
	v_cndmask_b32_e64 v72, v72, 0xffffff92, vcc_lo
	v_lshl_add_u32 v75, 0x200000, v74, -1
	v_lshrrev_b32_e32 v76, v74, v73
	v_lshlrev_b32_e64 v78, v74, 0x100000
	v_add_nc_u32_e32 v74, v74, v72
	v_and_b32_e32 v73, v75, v73
	v_bfe_u32 v77, v76, 21, 1
	v_cmp_eq_u32_e64 s17, v73, v78
	v_add_nc_u32_e32 v75, -1, v77
	v_cndmask_b32_e64 v73, 0, v75, s17
	v_lshrrev_b32_e32 v75, 23, v76
	s_mov_b32 s17, exec_lo
	v_add_nc_u32_e32 v73, v73, v76
	v_xor_b32_e32 v75, 1, v75
	v_and_b32_e32 v72, 0x1fffff, v73
	v_add_nc_u32_e32 v73, v72, v76
                                        ; implicit-def: $vgpr72
	v_cmpx_ne_u32_e64 v74, v75
	s_xor_b32 s17, exec_lo, s17
; %bb.1980:                             ;   in Loop: Header=BB2_1949 Depth=4
	v_cmp_lt_u32_e32 vcc_lo, 0xffffff, v73
	v_sub_nc_u32_e32 v72, v74, v75
	v_cndmask_b32_e64 v74, 0, 1, vcc_lo
	v_add_co_ci_u32_e64 v72, null, 0, v72, vcc_lo
	v_lshrrev_b32_e32 v73, v74, v73
; %bb.1981:                             ;   in Loop: Header=BB2_1949 Depth=4
	s_andn2_saveexec_b32 s17, s17
; %bb.1982:                             ;   in Loop: Header=BB2_1949 Depth=4
	v_bfe_u32 v72, v73, 23, 1
; %bb.1983:                             ;   in Loop: Header=BB2_1949 Depth=4
	s_or_b32 exec_lo, exec_lo, s17
	v_lshrrev_b32_e32 v73, 21, v73
	v_min_i32_e32 v74, 31, v72
	v_cmp_gt_i32_e32 vcc_lo, 32, v72
	v_and_b32_sdwa v63, v63, v98 dst_sel:DWORD dst_unused:UNUSED_PAD src0_sel:BYTE_3 src1_sel:DWORD
	v_lshlrev_b32_e32 v74, 2, v74
	v_cndmask_b32_e32 v73, 3, v73, vcc_lo
	v_and_b32_e32 v74, 0xfc, v74
	v_and_b32_e32 v75, 3, v73
	v_or_b32_e32 v72, v72, v73
	v_or3_b32 v63, v63, v74, v75
	v_cmp_ne_u32_e32 vcc_lo, 0, v72
	v_lshlrev_b32_e32 v63, 8, v63
	v_cndmask_b32_e32 v73, 0, v63, vcc_lo
.LBB2_1984:                             ;   in Loop: Header=BB2_1949 Depth=4
	s_or_b32 exec_lo, exec_lo, s76
.LBB2_1985:                             ;   in Loop: Header=BB2_1949 Depth=4
	s_or_b32 exec_lo, exec_lo, s75
	v_and_b32_sdwa v72, v8, v101 dst_sel:DWORD dst_unused:UNUSED_PAD src0_sel:WORD_1 src1_sel:DWORD
	s_mov_b32 s17, 0
	s_mov_b32 s75, exec_lo
	v_cmpx_lt_i16_e32 0x7f, v72
	s_xor_b32 s75, exec_lo, s75
	s_cbranch_execz .LBB2_2503
; %bb.1986:                             ;   in Loop: Header=BB2_1949 Depth=4
	s_mov_b32 s17, -1
	s_mov_b32 s76, exec_lo
	v_cmpx_eq_u16_e32 0x80, v72
; %bb.1987:                             ;   in Loop: Header=BB2_1949 Depth=4
	s_xor_b32 s17, exec_lo, -1
; %bb.1988:                             ;   in Loop: Header=BB2_1949 Depth=4
	s_or_b32 exec_lo, exec_lo, s76
	s_and_b32 s17, s17, exec_lo
                                        ; implicit-def: $vgpr72
	s_or_saveexec_b32 s75, s75
	v_mov_b32_e32 v63, 0x7f800001
	s_xor_b32 exec_lo, exec_lo, s75
	s_cbranch_execnz .LBB2_2504
.LBB2_1989:                             ;   in Loop: Header=BB2_1949 Depth=4
	s_or_b32 exec_lo, exec_lo, s75
	s_and_saveexec_b32 s75, s17
	s_cbranch_execz .LBB2_1991
.LBB2_1990:                             ;   in Loop: Header=BB2_1949 Depth=4
	v_bfe_u32 v63, v8, 16, 2
	v_bfe_u32 v75, v8, 18, 5
	v_lshlrev_b32_e32 v76, 8, v8
	v_ffbh_u32_e32 v72, v63
	v_cmp_eq_u32_e32 vcc_lo, 0, v75
	v_min_u32_e32 v72, 32, v72
	v_subrev_nc_u32_e32 v74, 29, v72
	v_sub_nc_u32_e32 v72, 30, v72
	v_lshlrev_b32_sdwa v74, v74, v8 dst_sel:DWORD dst_unused:UNUSED_PAD src0_sel:DWORD src1_sel:WORD_1
	v_cndmask_b32_e32 v72, v75, v72, vcc_lo
	v_and_b32_e32 v74, 3, v74
	v_lshl_add_u32 v72, v72, 23, 0x37800000
	v_cndmask_b32_e32 v63, v63, v74, vcc_lo
	v_and_b32_e32 v74, 0x80000000, v76
	v_lshlrev_b32_e32 v63, 21, v63
	v_or3_b32 v63, v74, v72, v63
.LBB2_1991:                             ;   in Loop: Header=BB2_1949 Depth=4
	s_or_b32 exec_lo, exec_lo, s75
	v_mul_f32_e32 v63, s74, v63
	v_mov_b32_e32 v78, 0x80
	s_mov_b32 s75, exec_lo
	v_and_b32_e32 v72, 0x7f800000, v63
	v_cmpx_ne_u32_e32 0x7f800000, v72
	s_cbranch_execz .LBB2_1999
; %bb.1992:                             ;   in Loop: Header=BB2_1949 Depth=4
	v_mov_b32_e32 v78, 0
	s_mov_b32 s76, exec_lo
	v_cmpx_ne_u32_e32 0, v63
	s_cbranch_execz .LBB2_1998
; %bb.1993:                             ;   in Loop: Header=BB2_1949 Depth=4
	v_bfe_u32 v72, v63, 23, 8
	v_and_b32_e32 v74, 0x7fffff, v63
	v_sub_nc_u32_e32 v75, 0x70, v72
	v_cmp_gt_u32_e32 vcc_lo, 0x71, v72
	v_or_b32_e32 v76, 0x800000, v74
	v_cndmask_b32_e32 v75, 0, v75, vcc_lo
	v_cmp_eq_u32_e32 vcc_lo, 0, v72
	v_add_nc_u32_e32 v72, 0xffffff91, v72
	v_cndmask_b32_e64 v75, v75, 0x6f, vcc_lo
	v_cndmask_b32_e32 v74, v76, v74, vcc_lo
	v_cndmask_b32_e64 v72, v72, 0xffffff92, vcc_lo
	v_lshl_add_u32 v76, 0x200000, v75, -1
	v_lshrrev_b32_e32 v77, v75, v74
	v_lshlrev_b32_e64 v79, v75, 0x100000
	v_add_nc_u32_e32 v75, v75, v72
	v_and_b32_e32 v74, v76, v74
	v_bfe_u32 v78, v77, 21, 1
	v_cmp_eq_u32_e64 s17, v74, v79
	v_add_nc_u32_e32 v76, -1, v78
	v_cndmask_b32_e64 v74, 0, v76, s17
	v_lshrrev_b32_e32 v76, 23, v77
	s_mov_b32 s17, exec_lo
	v_add_nc_u32_e32 v74, v74, v77
	v_xor_b32_e32 v76, 1, v76
	v_and_b32_e32 v72, 0x1fffff, v74
	v_add_nc_u32_e32 v74, v72, v77
                                        ; implicit-def: $vgpr72
	v_cmpx_ne_u32_e64 v75, v76
	s_xor_b32 s17, exec_lo, s17
; %bb.1994:                             ;   in Loop: Header=BB2_1949 Depth=4
	v_cmp_lt_u32_e32 vcc_lo, 0xffffff, v74
	v_sub_nc_u32_e32 v72, v75, v76
	v_cndmask_b32_e64 v75, 0, 1, vcc_lo
	v_add_co_ci_u32_e64 v72, null, 0, v72, vcc_lo
	v_lshrrev_b32_e32 v74, v75, v74
; %bb.1995:                             ;   in Loop: Header=BB2_1949 Depth=4
	s_andn2_saveexec_b32 s17, s17
; %bb.1996:                             ;   in Loop: Header=BB2_1949 Depth=4
	v_bfe_u32 v72, v74, 23, 1
; %bb.1997:                             ;   in Loop: Header=BB2_1949 Depth=4
	s_or_b32 exec_lo, exec_lo, s17
	v_lshrrev_b32_e32 v74, 21, v74
	v_min_i32_e32 v75, 31, v72
	v_cmp_gt_i32_e32 vcc_lo, 32, v72
	v_and_b32_sdwa v63, v63, v98 dst_sel:DWORD dst_unused:UNUSED_PAD src0_sel:BYTE_3 src1_sel:DWORD
	v_lshlrev_b32_e32 v75, 2, v75
	v_cndmask_b32_e32 v74, 3, v74, vcc_lo
	v_and_b32_e32 v75, 0xfc, v75
	v_and_b32_e32 v76, 3, v74
	v_or_b32_e32 v72, v72, v74
	v_or3_b32 v63, v75, v63, v76
	v_cmp_ne_u32_e32 vcc_lo, 0, v72
	v_cndmask_b32_e32 v78, 0, v63, vcc_lo
.LBB2_1998:                             ;   in Loop: Header=BB2_1949 Depth=4
	s_or_b32 exec_lo, exec_lo, s76
.LBB2_1999:                             ;   in Loop: Header=BB2_1949 Depth=4
	s_or_b32 exec_lo, exec_lo, s75
	v_cmp_gt_i16_sdwa s75, v8, v97 src0_sel:BYTE_3 src1_sel:DWORD
	s_mov_b32 s17, 0
	s_and_saveexec_b32 s76, s75
	s_xor_b32 s75, exec_lo, s76
	s_cbranch_execz .LBB2_2505
; %bb.2000:                             ;   in Loop: Header=BB2_1949 Depth=4
	v_cmp_eq_u16_sdwa s77, v8, v98 src0_sel:BYTE_3 src1_sel:DWORD
	s_mov_b32 s17, -1
	s_and_saveexec_b32 s76, s77
; %bb.2001:                             ;   in Loop: Header=BB2_1949 Depth=4
	s_xor_b32 s17, exec_lo, -1
; %bb.2002:                             ;   in Loop: Header=BB2_1949 Depth=4
	s_or_b32 exec_lo, exec_lo, s76
	s_and_b32 s17, s17, exec_lo
	s_or_saveexec_b32 s75, s75
	v_mov_b32_e32 v63, 0x7f800001
	s_xor_b32 exec_lo, exec_lo, s75
	s_cbranch_execnz .LBB2_2506
.LBB2_2003:                             ;   in Loop: Header=BB2_1949 Depth=4
	s_or_b32 exec_lo, exec_lo, s75
	s_and_saveexec_b32 s75, s17
	s_cbranch_execz .LBB2_2005
.LBB2_2004:                             ;   in Loop: Header=BB2_1949 Depth=4
	v_bfe_u32 v63, v8, 24, 2
	v_bfe_u32 v75, v8, 26, 5
	v_ffbh_u32_e32 v72, v63
	v_cmp_eq_u32_e32 vcc_lo, 0, v75
	v_min_u32_e32 v72, 32, v72
	v_subrev_nc_u32_e32 v74, 29, v72
	v_sub_nc_u32_e32 v72, 30, v72
	v_lshlrev_b32_sdwa v74, v74, v8 dst_sel:DWORD dst_unused:UNUSED_PAD src0_sel:DWORD src1_sel:BYTE_3
	v_cndmask_b32_e32 v72, v75, v72, vcc_lo
	v_and_b32_e32 v8, 0x80000000, v8
	v_and_b32_e32 v74, 3, v74
	v_lshl_add_u32 v72, v72, 23, 0x37800000
	v_cndmask_b32_e32 v63, v63, v74, vcc_lo
	v_lshlrev_b32_e32 v63, 21, v63
	v_or3_b32 v63, v8, v72, v63
.LBB2_2005:                             ;   in Loop: Header=BB2_1949 Depth=4
	s_or_b32 exec_lo, exec_lo, s75
	v_mul_f32_e32 v8, s74, v63
	v_mov_b32_e32 v93, 0x8000
	s_mov_b32 s75, exec_lo
	v_and_b32_e32 v63, 0x7f800000, v8
	v_cmpx_ne_u32_e32 0x7f800000, v63
	s_cbranch_execz .LBB2_2013
; %bb.2006:                             ;   in Loop: Header=BB2_1949 Depth=4
	v_mov_b32_e32 v93, 0
	s_mov_b32 s76, exec_lo
	v_cmpx_ne_u32_e32 0, v8
	s_cbranch_execz .LBB2_2012
; %bb.2007:                             ;   in Loop: Header=BB2_1949 Depth=4
	v_bfe_u32 v63, v8, 23, 8
	v_and_b32_e32 v72, 0x7fffff, v8
	v_sub_nc_u32_e32 v74, 0x70, v63
	v_cmp_gt_u32_e32 vcc_lo, 0x71, v63
	v_or_b32_e32 v75, 0x800000, v72
	v_cndmask_b32_e32 v74, 0, v74, vcc_lo
	v_cmp_eq_u32_e32 vcc_lo, 0, v63
	v_add_nc_u32_e32 v63, 0xffffff91, v63
	v_cndmask_b32_e64 v74, v74, 0x6f, vcc_lo
	v_cndmask_b32_e32 v72, v75, v72, vcc_lo
	v_cndmask_b32_e64 v63, v63, 0xffffff92, vcc_lo
	v_lshl_add_u32 v75, 0x200000, v74, -1
	v_lshrrev_b32_e32 v76, v74, v72
	v_lshlrev_b32_e64 v79, v74, 0x100000
	v_add_nc_u32_e32 v74, v74, v63
	v_and_b32_e32 v72, v75, v72
	v_bfe_u32 v77, v76, 21, 1
	v_cmp_eq_u32_e64 s17, v72, v79
	v_add_nc_u32_e32 v75, -1, v77
	v_cndmask_b32_e64 v72, 0, v75, s17
	v_lshrrev_b32_e32 v75, 23, v76
	s_mov_b32 s17, exec_lo
	v_add_nc_u32_e32 v72, v72, v76
	v_xor_b32_e32 v75, 1, v75
	v_and_b32_e32 v63, 0x1fffff, v72
	v_add_nc_u32_e32 v72, v63, v76
                                        ; implicit-def: $vgpr63
	v_cmpx_ne_u32_e64 v74, v75
	s_xor_b32 s17, exec_lo, s17
; %bb.2008:                             ;   in Loop: Header=BB2_1949 Depth=4
	v_cmp_lt_u32_e32 vcc_lo, 0xffffff, v72
	v_sub_nc_u32_e32 v63, v74, v75
	v_cndmask_b32_e64 v74, 0, 1, vcc_lo
	v_add_co_ci_u32_e64 v63, null, 0, v63, vcc_lo
	v_lshrrev_b32_e32 v72, v74, v72
; %bb.2009:                             ;   in Loop: Header=BB2_1949 Depth=4
	s_andn2_saveexec_b32 s17, s17
; %bb.2010:                             ;   in Loop: Header=BB2_1949 Depth=4
	v_bfe_u32 v63, v72, 23, 1
; %bb.2011:                             ;   in Loop: Header=BB2_1949 Depth=4
	s_or_b32 exec_lo, exec_lo, s17
	v_lshrrev_b32_e32 v72, 21, v72
	v_min_i32_e32 v74, 31, v63
	v_cmp_gt_i32_e32 vcc_lo, 32, v63
	v_and_b32_sdwa v8, v8, v98 dst_sel:DWORD dst_unused:UNUSED_PAD src0_sel:BYTE_3 src1_sel:DWORD
	v_lshlrev_b32_e32 v74, 2, v74
	v_cndmask_b32_e32 v72, 3, v72, vcc_lo
	v_and_b32_e32 v74, 0xfc, v74
	v_and_b32_e32 v75, 3, v72
	v_or_b32_e32 v63, v63, v72
	v_or3_b32 v8, v8, v74, v75
	v_cmp_ne_u32_e32 vcc_lo, 0, v63
	v_lshlrev_b32_e32 v8, 8, v8
	v_cndmask_b32_e32 v93, 0, v8, vcc_lo
.LBB2_2012:                             ;   in Loop: Header=BB2_1949 Depth=4
	s_or_b32 exec_lo, exec_lo, s76
.LBB2_2013:                             ;   in Loop: Header=BB2_1949 Depth=4
	s_or_b32 exec_lo, exec_lo, s75
	v_cmp_gt_i16_sdwa s75, v9, v97 src0_sel:BYTE_0 src1_sel:DWORD
	s_mov_b32 s17, 0
	s_and_saveexec_b32 s76, s75
	s_xor_b32 s75, exec_lo, s76
	s_cbranch_execz .LBB2_2507
; %bb.2014:                             ;   in Loop: Header=BB2_1949 Depth=4
	v_cmp_eq_u16_sdwa s77, v9, v98 src0_sel:BYTE_0 src1_sel:DWORD
	s_mov_b32 s17, -1
	s_and_saveexec_b32 s76, s77
; %bb.2015:                             ;   in Loop: Header=BB2_1949 Depth=4
	s_xor_b32 s17, exec_lo, -1
; %bb.2016:                             ;   in Loop: Header=BB2_1949 Depth=4
	s_or_b32 exec_lo, exec_lo, s76
	s_and_b32 s17, s17, exec_lo
	s_or_saveexec_b32 s75, s75
	v_mov_b32_e32 v8, 0x7f800001
	s_xor_b32 exec_lo, exec_lo, s75
	s_cbranch_execnz .LBB2_2508
.LBB2_2017:                             ;   in Loop: Header=BB2_1949 Depth=4
	s_or_b32 exec_lo, exec_lo, s75
	s_and_saveexec_b32 s75, s17
	s_cbranch_execz .LBB2_2019
.LBB2_2018:                             ;   in Loop: Header=BB2_1949 Depth=4
	v_and_b32_e32 v8, 3, v9
	v_bfe_u32 v74, v9, 2, 5
	v_lshlrev_b32_e32 v75, 24, v9
	v_ffbh_u32_e32 v63, v8
	v_cmp_eq_u32_e32 vcc_lo, 0, v74
	v_min_u32_e32 v63, 32, v63
	v_subrev_nc_u32_e32 v72, 29, v63
	v_sub_nc_u32_e32 v63, 30, v63
	v_lshlrev_b32_e32 v72, v72, v9
	v_cndmask_b32_e32 v63, v74, v63, vcc_lo
	v_and_b32_e32 v72, 3, v72
	v_lshl_add_u32 v63, v63, 23, 0x37800000
	v_cndmask_b32_e32 v8, v8, v72, vcc_lo
	v_and_b32_e32 v72, 0x80000000, v75
	v_lshlrev_b32_e32 v8, 21, v8
	v_or3_b32 v8, v72, v63, v8
.LBB2_2019:                             ;   in Loop: Header=BB2_1949 Depth=4
	s_or_b32 exec_lo, exec_lo, s75
	v_mul_f32_e32 v8, s74, v8
	v_mov_b32_e32 v90, 0x80
	s_mov_b32 s75, exec_lo
	v_and_b32_e32 v63, 0x7f800000, v8
	v_cmpx_ne_u32_e32 0x7f800000, v63
	s_cbranch_execz .LBB2_2027
; %bb.2020:                             ;   in Loop: Header=BB2_1949 Depth=4
	v_mov_b32_e32 v90, 0
	s_mov_b32 s76, exec_lo
	v_cmpx_ne_u32_e32 0, v8
	s_cbranch_execz .LBB2_2026
; %bb.2021:                             ;   in Loop: Header=BB2_1949 Depth=4
	v_bfe_u32 v63, v8, 23, 8
	v_and_b32_e32 v72, 0x7fffff, v8
	v_sub_nc_u32_e32 v74, 0x70, v63
	v_cmp_gt_u32_e32 vcc_lo, 0x71, v63
	v_or_b32_e32 v75, 0x800000, v72
	v_cndmask_b32_e32 v74, 0, v74, vcc_lo
	v_cmp_eq_u32_e32 vcc_lo, 0, v63
	v_add_nc_u32_e32 v63, 0xffffff91, v63
	v_cndmask_b32_e64 v74, v74, 0x6f, vcc_lo
	v_cndmask_b32_e32 v72, v75, v72, vcc_lo
	v_cndmask_b32_e64 v63, v63, 0xffffff92, vcc_lo
	v_lshl_add_u32 v75, 0x200000, v74, -1
	v_lshrrev_b32_e32 v76, v74, v72
	v_lshlrev_b32_e64 v79, v74, 0x100000
	v_add_nc_u32_e32 v74, v74, v63
	v_and_b32_e32 v72, v75, v72
	v_bfe_u32 v77, v76, 21, 1
	v_cmp_eq_u32_e64 s17, v72, v79
	v_add_nc_u32_e32 v75, -1, v77
	v_cndmask_b32_e64 v72, 0, v75, s17
	v_lshrrev_b32_e32 v75, 23, v76
	s_mov_b32 s17, exec_lo
	v_add_nc_u32_e32 v72, v72, v76
	v_xor_b32_e32 v75, 1, v75
	v_and_b32_e32 v63, 0x1fffff, v72
	v_add_nc_u32_e32 v72, v63, v76
                                        ; implicit-def: $vgpr63
	v_cmpx_ne_u32_e64 v74, v75
	s_xor_b32 s17, exec_lo, s17
; %bb.2022:                             ;   in Loop: Header=BB2_1949 Depth=4
	v_cmp_lt_u32_e32 vcc_lo, 0xffffff, v72
	v_sub_nc_u32_e32 v63, v74, v75
	v_cndmask_b32_e64 v74, 0, 1, vcc_lo
	v_add_co_ci_u32_e64 v63, null, 0, v63, vcc_lo
	v_lshrrev_b32_e32 v72, v74, v72
; %bb.2023:                             ;   in Loop: Header=BB2_1949 Depth=4
	s_andn2_saveexec_b32 s17, s17
; %bb.2024:                             ;   in Loop: Header=BB2_1949 Depth=4
	v_bfe_u32 v63, v72, 23, 1
; %bb.2025:                             ;   in Loop: Header=BB2_1949 Depth=4
	s_or_b32 exec_lo, exec_lo, s17
	v_lshrrev_b32_e32 v72, 21, v72
	v_min_i32_e32 v74, 31, v63
	v_cmp_gt_i32_e32 vcc_lo, 32, v63
	v_and_b32_sdwa v8, v8, v98 dst_sel:DWORD dst_unused:UNUSED_PAD src0_sel:BYTE_3 src1_sel:DWORD
	v_lshlrev_b32_e32 v74, 2, v74
	v_cndmask_b32_e32 v72, 3, v72, vcc_lo
	v_and_b32_e32 v74, 0xfc, v74
	v_and_b32_e32 v75, 3, v72
	v_or_b32_e32 v63, v63, v72
	v_or3_b32 v8, v74, v8, v75
	v_cmp_ne_u32_e32 vcc_lo, 0, v63
	v_cndmask_b32_e32 v90, 0, v8, vcc_lo
.LBB2_2026:                             ;   in Loop: Header=BB2_1949 Depth=4
	s_or_b32 exec_lo, exec_lo, s76
.LBB2_2027:                             ;   in Loop: Header=BB2_1949 Depth=4
	s_or_b32 exec_lo, exec_lo, s75
	v_cmp_gt_i16_sdwa s75, v9, v97 src0_sel:BYTE_1 src1_sel:DWORD
	s_mov_b32 s17, 0
	s_and_saveexec_b32 s76, s75
	s_xor_b32 s75, exec_lo, s76
	s_cbranch_execz .LBB2_2509
; %bb.2028:                             ;   in Loop: Header=BB2_1949 Depth=4
	v_cmp_eq_u16_sdwa s77, v9, v98 src0_sel:BYTE_1 src1_sel:DWORD
	s_mov_b32 s17, -1
	s_and_saveexec_b32 s76, s77
; %bb.2029:                             ;   in Loop: Header=BB2_1949 Depth=4
	s_xor_b32 s17, exec_lo, -1
; %bb.2030:                             ;   in Loop: Header=BB2_1949 Depth=4
	s_or_b32 exec_lo, exec_lo, s76
	s_and_b32 s17, s17, exec_lo
	s_or_saveexec_b32 s75, s75
	v_mov_b32_e32 v8, 0x7f800001
	s_xor_b32 exec_lo, exec_lo, s75
	s_cbranch_execnz .LBB2_2510
.LBB2_2031:                             ;   in Loop: Header=BB2_1949 Depth=4
	s_or_b32 exec_lo, exec_lo, s75
	s_and_saveexec_b32 s75, s17
	s_cbranch_execz .LBB2_2033
.LBB2_2032:                             ;   in Loop: Header=BB2_1949 Depth=4
	v_and_b32_sdwa v8, v99, v9 dst_sel:DWORD dst_unused:UNUSED_PAD src0_sel:DWORD src1_sel:BYTE_1
	v_and_b32_e32 v63, 3, v8
	v_bfe_u32 v75, v8, 2, 5
	v_ffbh_u32_e32 v72, v63
	v_cmp_eq_u32_e32 vcc_lo, 0, v75
	v_min_u32_e32 v72, 32, v72
	v_subrev_nc_u32_e32 v74, 29, v72
	v_sub_nc_u32_e32 v72, 30, v72
	v_lshlrev_b32_e32 v8, v74, v8
	v_lshlrev_b32_sdwa v74, v100, v9 dst_sel:DWORD dst_unused:UNUSED_PAD src0_sel:DWORD src1_sel:BYTE_1
	v_cndmask_b32_e32 v72, v75, v72, vcc_lo
	v_and_b32_e32 v8, 3, v8
	v_lshl_add_u32 v72, v72, 23, 0x37800000
	v_cndmask_b32_e32 v8, v63, v8, vcc_lo
	v_and_b32_e32 v63, 0x80000000, v74
	v_lshlrev_b32_e32 v8, 21, v8
	v_or3_b32 v8, v63, v72, v8
.LBB2_2033:                             ;   in Loop: Header=BB2_1949 Depth=4
	s_or_b32 exec_lo, exec_lo, s75
	v_mul_f32_e32 v8, s74, v8
	v_mov_b32_e32 v92, 0x8000
	s_mov_b32 s75, exec_lo
	v_and_b32_e32 v63, 0x7f800000, v8
	v_cmpx_ne_u32_e32 0x7f800000, v63
	s_cbranch_execz .LBB2_2041
; %bb.2034:                             ;   in Loop: Header=BB2_1949 Depth=4
	v_mov_b32_e32 v92, 0
	s_mov_b32 s76, exec_lo
	v_cmpx_ne_u32_e32 0, v8
	s_cbranch_execz .LBB2_2040
; %bb.2035:                             ;   in Loop: Header=BB2_1949 Depth=4
	v_bfe_u32 v63, v8, 23, 8
	v_and_b32_e32 v72, 0x7fffff, v8
	v_sub_nc_u32_e32 v74, 0x70, v63
	v_cmp_gt_u32_e32 vcc_lo, 0x71, v63
	v_or_b32_e32 v75, 0x800000, v72
	v_cndmask_b32_e32 v74, 0, v74, vcc_lo
	v_cmp_eq_u32_e32 vcc_lo, 0, v63
	v_add_nc_u32_e32 v63, 0xffffff91, v63
	v_cndmask_b32_e64 v74, v74, 0x6f, vcc_lo
	v_cndmask_b32_e32 v72, v75, v72, vcc_lo
	v_cndmask_b32_e64 v63, v63, 0xffffff92, vcc_lo
	v_lshl_add_u32 v75, 0x200000, v74, -1
	v_lshrrev_b32_e32 v76, v74, v72
	v_lshlrev_b32_e64 v79, v74, 0x100000
	v_add_nc_u32_e32 v74, v74, v63
	v_and_b32_e32 v72, v75, v72
	v_bfe_u32 v77, v76, 21, 1
	v_cmp_eq_u32_e64 s17, v72, v79
	v_add_nc_u32_e32 v75, -1, v77
	v_cndmask_b32_e64 v72, 0, v75, s17
	v_lshrrev_b32_e32 v75, 23, v76
	s_mov_b32 s17, exec_lo
	v_add_nc_u32_e32 v72, v72, v76
	v_xor_b32_e32 v75, 1, v75
	v_and_b32_e32 v63, 0x1fffff, v72
	v_add_nc_u32_e32 v72, v63, v76
                                        ; implicit-def: $vgpr63
	v_cmpx_ne_u32_e64 v74, v75
	s_xor_b32 s17, exec_lo, s17
; %bb.2036:                             ;   in Loop: Header=BB2_1949 Depth=4
	v_cmp_lt_u32_e32 vcc_lo, 0xffffff, v72
	v_sub_nc_u32_e32 v63, v74, v75
	v_cndmask_b32_e64 v74, 0, 1, vcc_lo
	v_add_co_ci_u32_e64 v63, null, 0, v63, vcc_lo
	v_lshrrev_b32_e32 v72, v74, v72
; %bb.2037:                             ;   in Loop: Header=BB2_1949 Depth=4
	s_andn2_saveexec_b32 s17, s17
; %bb.2038:                             ;   in Loop: Header=BB2_1949 Depth=4
	v_bfe_u32 v63, v72, 23, 1
; %bb.2039:                             ;   in Loop: Header=BB2_1949 Depth=4
	s_or_b32 exec_lo, exec_lo, s17
	v_lshrrev_b32_e32 v72, 21, v72
	v_min_i32_e32 v74, 31, v63
	v_cmp_gt_i32_e32 vcc_lo, 32, v63
	v_and_b32_sdwa v8, v8, v98 dst_sel:DWORD dst_unused:UNUSED_PAD src0_sel:BYTE_3 src1_sel:DWORD
	v_lshlrev_b32_e32 v74, 2, v74
	v_cndmask_b32_e32 v72, 3, v72, vcc_lo
	v_and_b32_e32 v74, 0xfc, v74
	v_and_b32_e32 v75, 3, v72
	v_or_b32_e32 v63, v63, v72
	v_or3_b32 v8, v8, v74, v75
	v_cmp_ne_u32_e32 vcc_lo, 0, v63
	v_lshlrev_b32_e32 v8, 8, v8
	v_cndmask_b32_e32 v92, 0, v8, vcc_lo
.LBB2_2040:                             ;   in Loop: Header=BB2_1949 Depth=4
	s_or_b32 exec_lo, exec_lo, s76
.LBB2_2041:                             ;   in Loop: Header=BB2_1949 Depth=4
	s_or_b32 exec_lo, exec_lo, s75
	v_and_b32_sdwa v63, v9, v101 dst_sel:DWORD dst_unused:UNUSED_PAD src0_sel:WORD_1 src1_sel:DWORD
	s_mov_b32 s17, 0
	s_mov_b32 s75, exec_lo
	v_cmpx_lt_i16_e32 0x7f, v63
	s_xor_b32 s75, exec_lo, s75
	s_cbranch_execz .LBB2_2511
; %bb.2042:                             ;   in Loop: Header=BB2_1949 Depth=4
	s_mov_b32 s17, -1
	s_mov_b32 s76, exec_lo
	v_cmpx_eq_u16_e32 0x80, v63
; %bb.2043:                             ;   in Loop: Header=BB2_1949 Depth=4
	s_xor_b32 s17, exec_lo, -1
; %bb.2044:                             ;   in Loop: Header=BB2_1949 Depth=4
	s_or_b32 exec_lo, exec_lo, s76
	s_and_b32 s17, s17, exec_lo
                                        ; implicit-def: $vgpr63
	s_or_saveexec_b32 s75, s75
	v_mov_b32_e32 v8, 0x7f800001
	s_xor_b32 exec_lo, exec_lo, s75
	s_cbranch_execnz .LBB2_2512
.LBB2_2045:                             ;   in Loop: Header=BB2_1949 Depth=4
	s_or_b32 exec_lo, exec_lo, s75
	s_and_saveexec_b32 s75, s17
	s_cbranch_execz .LBB2_2047
.LBB2_2046:                             ;   in Loop: Header=BB2_1949 Depth=4
	v_bfe_u32 v8, v9, 16, 2
	v_bfe_u32 v74, v9, 18, 5
	v_lshlrev_b32_e32 v75, 8, v9
	v_ffbh_u32_e32 v63, v8
	v_cmp_eq_u32_e32 vcc_lo, 0, v74
	v_min_u32_e32 v63, 32, v63
	v_subrev_nc_u32_e32 v72, 29, v63
	v_sub_nc_u32_e32 v63, 30, v63
	v_lshlrev_b32_sdwa v72, v72, v9 dst_sel:DWORD dst_unused:UNUSED_PAD src0_sel:DWORD src1_sel:WORD_1
	v_cndmask_b32_e32 v63, v74, v63, vcc_lo
	v_and_b32_e32 v72, 3, v72
	v_lshl_add_u32 v63, v63, 23, 0x37800000
	v_cndmask_b32_e32 v8, v8, v72, vcc_lo
	v_and_b32_e32 v72, 0x80000000, v75
	v_lshlrev_b32_e32 v8, 21, v8
	v_or3_b32 v8, v72, v63, v8
.LBB2_2047:                             ;   in Loop: Header=BB2_1949 Depth=4
	s_or_b32 exec_lo, exec_lo, s75
	v_mul_f32_e32 v8, s74, v8
	v_mov_b32_e32 v88, 0x80
	s_mov_b32 s75, exec_lo
	v_and_b32_e32 v63, 0x7f800000, v8
	v_cmpx_ne_u32_e32 0x7f800000, v63
	s_cbranch_execz .LBB2_2055
; %bb.2048:                             ;   in Loop: Header=BB2_1949 Depth=4
	v_mov_b32_e32 v88, 0
	s_mov_b32 s76, exec_lo
	v_cmpx_ne_u32_e32 0, v8
	s_cbranch_execz .LBB2_2054
; %bb.2049:                             ;   in Loop: Header=BB2_1949 Depth=4
	v_bfe_u32 v63, v8, 23, 8
	v_and_b32_e32 v72, 0x7fffff, v8
	v_sub_nc_u32_e32 v74, 0x70, v63
	v_cmp_gt_u32_e32 vcc_lo, 0x71, v63
	v_or_b32_e32 v75, 0x800000, v72
	v_cndmask_b32_e32 v74, 0, v74, vcc_lo
	v_cmp_eq_u32_e32 vcc_lo, 0, v63
	v_add_nc_u32_e32 v63, 0xffffff91, v63
	v_cndmask_b32_e64 v74, v74, 0x6f, vcc_lo
	v_cndmask_b32_e32 v72, v75, v72, vcc_lo
	v_cndmask_b32_e64 v63, v63, 0xffffff92, vcc_lo
	v_lshl_add_u32 v75, 0x200000, v74, -1
	v_lshrrev_b32_e32 v76, v74, v72
	v_lshlrev_b32_e64 v79, v74, 0x100000
	v_add_nc_u32_e32 v74, v74, v63
	v_and_b32_e32 v72, v75, v72
	v_bfe_u32 v77, v76, 21, 1
	v_cmp_eq_u32_e64 s17, v72, v79
	v_add_nc_u32_e32 v75, -1, v77
	v_cndmask_b32_e64 v72, 0, v75, s17
	v_lshrrev_b32_e32 v75, 23, v76
	s_mov_b32 s17, exec_lo
	v_add_nc_u32_e32 v72, v72, v76
	v_xor_b32_e32 v75, 1, v75
	v_and_b32_e32 v63, 0x1fffff, v72
	v_add_nc_u32_e32 v72, v63, v76
                                        ; implicit-def: $vgpr63
	v_cmpx_ne_u32_e64 v74, v75
	s_xor_b32 s17, exec_lo, s17
; %bb.2050:                             ;   in Loop: Header=BB2_1949 Depth=4
	v_cmp_lt_u32_e32 vcc_lo, 0xffffff, v72
	v_sub_nc_u32_e32 v63, v74, v75
	v_cndmask_b32_e64 v74, 0, 1, vcc_lo
	v_add_co_ci_u32_e64 v63, null, 0, v63, vcc_lo
	v_lshrrev_b32_e32 v72, v74, v72
; %bb.2051:                             ;   in Loop: Header=BB2_1949 Depth=4
	s_andn2_saveexec_b32 s17, s17
; %bb.2052:                             ;   in Loop: Header=BB2_1949 Depth=4
	v_bfe_u32 v63, v72, 23, 1
; %bb.2053:                             ;   in Loop: Header=BB2_1949 Depth=4
	s_or_b32 exec_lo, exec_lo, s17
	v_lshrrev_b32_e32 v72, 21, v72
	v_min_i32_e32 v74, 31, v63
	v_cmp_gt_i32_e32 vcc_lo, 32, v63
	v_and_b32_sdwa v8, v8, v98 dst_sel:DWORD dst_unused:UNUSED_PAD src0_sel:BYTE_3 src1_sel:DWORD
	v_lshlrev_b32_e32 v74, 2, v74
	v_cndmask_b32_e32 v72, 3, v72, vcc_lo
	v_and_b32_e32 v74, 0xfc, v74
	v_and_b32_e32 v75, 3, v72
	v_or_b32_e32 v63, v63, v72
	v_or3_b32 v8, v74, v8, v75
	v_cmp_ne_u32_e32 vcc_lo, 0, v63
	v_cndmask_b32_e32 v88, 0, v8, vcc_lo
.LBB2_2054:                             ;   in Loop: Header=BB2_1949 Depth=4
	s_or_b32 exec_lo, exec_lo, s76
.LBB2_2055:                             ;   in Loop: Header=BB2_1949 Depth=4
	s_or_b32 exec_lo, exec_lo, s75
	v_cmp_gt_i16_sdwa s75, v9, v97 src0_sel:BYTE_3 src1_sel:DWORD
	s_mov_b32 s17, 0
	s_and_saveexec_b32 s76, s75
	s_xor_b32 s75, exec_lo, s76
	s_cbranch_execz .LBB2_2513
; %bb.2056:                             ;   in Loop: Header=BB2_1949 Depth=4
	v_cmp_eq_u16_sdwa s77, v9, v98 src0_sel:BYTE_3 src1_sel:DWORD
	s_mov_b32 s17, -1
	s_and_saveexec_b32 s76, s77
; %bb.2057:                             ;   in Loop: Header=BB2_1949 Depth=4
	s_xor_b32 s17, exec_lo, -1
; %bb.2058:                             ;   in Loop: Header=BB2_1949 Depth=4
	s_or_b32 exec_lo, exec_lo, s76
	s_and_b32 s17, s17, exec_lo
	s_or_saveexec_b32 s75, s75
	v_mov_b32_e32 v8, 0x7f800001
	s_xor_b32 exec_lo, exec_lo, s75
	s_cbranch_execnz .LBB2_2514
.LBB2_2059:                             ;   in Loop: Header=BB2_1949 Depth=4
	s_or_b32 exec_lo, exec_lo, s75
	s_and_saveexec_b32 s75, s17
	s_cbranch_execz .LBB2_2061
.LBB2_2060:                             ;   in Loop: Header=BB2_1949 Depth=4
	v_bfe_u32 v8, v9, 24, 2
	v_bfe_u32 v74, v9, 26, 5
	v_ffbh_u32_e32 v63, v8
	v_cmp_eq_u32_e32 vcc_lo, 0, v74
	v_min_u32_e32 v63, 32, v63
	v_subrev_nc_u32_e32 v72, 29, v63
	v_sub_nc_u32_e32 v63, 30, v63
	v_lshlrev_b32_sdwa v72, v72, v9 dst_sel:DWORD dst_unused:UNUSED_PAD src0_sel:DWORD src1_sel:BYTE_3
	v_cndmask_b32_e32 v63, v74, v63, vcc_lo
	v_and_b32_e32 v9, 0x80000000, v9
	v_and_b32_e32 v72, 3, v72
	v_lshl_add_u32 v63, v63, 23, 0x37800000
	v_cndmask_b32_e32 v8, v8, v72, vcc_lo
	v_lshlrev_b32_e32 v8, 21, v8
	v_or3_b32 v8, v9, v63, v8
.LBB2_2061:                             ;   in Loop: Header=BB2_1949 Depth=4
	s_or_b32 exec_lo, exec_lo, s75
	v_mul_f32_e32 v8, s74, v8
	v_mov_b32_e32 v91, 0x8000
	s_mov_b32 s75, exec_lo
	v_and_b32_e32 v9, 0x7f800000, v8
	v_cmpx_ne_u32_e32 0x7f800000, v9
	s_cbranch_execz .LBB2_2069
; %bb.2062:                             ;   in Loop: Header=BB2_1949 Depth=4
	v_mov_b32_e32 v91, 0
	s_mov_b32 s76, exec_lo
	v_cmpx_ne_u32_e32 0, v8
	s_cbranch_execz .LBB2_2068
; %bb.2063:                             ;   in Loop: Header=BB2_1949 Depth=4
	v_bfe_u32 v9, v8, 23, 8
	v_and_b32_e32 v63, 0x7fffff, v8
	v_sub_nc_u32_e32 v72, 0x70, v9
	v_cmp_gt_u32_e32 vcc_lo, 0x71, v9
	v_or_b32_e32 v74, 0x800000, v63
	v_cndmask_b32_e32 v72, 0, v72, vcc_lo
	v_cmp_eq_u32_e32 vcc_lo, 0, v9
	v_add_nc_u32_e32 v9, 0xffffff91, v9
	v_cndmask_b32_e64 v72, v72, 0x6f, vcc_lo
	v_cndmask_b32_e32 v63, v74, v63, vcc_lo
	v_cndmask_b32_e64 v9, v9, 0xffffff92, vcc_lo
	v_lshl_add_u32 v74, 0x200000, v72, -1
	v_lshrrev_b32_e32 v75, v72, v63
	v_lshlrev_b32_e64 v77, v72, 0x100000
	v_add_nc_u32_e32 v72, v72, v9
	v_and_b32_e32 v63, v74, v63
	v_bfe_u32 v76, v75, 21, 1
	v_cmp_eq_u32_e64 s17, v63, v77
	v_add_nc_u32_e32 v74, -1, v76
	v_cndmask_b32_e64 v63, 0, v74, s17
	v_lshrrev_b32_e32 v74, 23, v75
	s_mov_b32 s17, exec_lo
	v_add_nc_u32_e32 v63, v63, v75
	v_xor_b32_e32 v74, 1, v74
	v_and_b32_e32 v9, 0x1fffff, v63
	v_add_nc_u32_e32 v63, v9, v75
                                        ; implicit-def: $vgpr9
	v_cmpx_ne_u32_e64 v72, v74
	s_xor_b32 s17, exec_lo, s17
; %bb.2064:                             ;   in Loop: Header=BB2_1949 Depth=4
	v_cmp_lt_u32_e32 vcc_lo, 0xffffff, v63
	v_sub_nc_u32_e32 v9, v72, v74
	v_cndmask_b32_e64 v72, 0, 1, vcc_lo
	v_add_co_ci_u32_e64 v9, null, 0, v9, vcc_lo
	v_lshrrev_b32_e32 v63, v72, v63
; %bb.2065:                             ;   in Loop: Header=BB2_1949 Depth=4
	s_andn2_saveexec_b32 s17, s17
; %bb.2066:                             ;   in Loop: Header=BB2_1949 Depth=4
	v_bfe_u32 v9, v63, 23, 1
; %bb.2067:                             ;   in Loop: Header=BB2_1949 Depth=4
	s_or_b32 exec_lo, exec_lo, s17
	v_lshrrev_b32_e32 v63, 21, v63
	v_min_i32_e32 v72, 31, v9
	v_cmp_gt_i32_e32 vcc_lo, 32, v9
	v_and_b32_sdwa v8, v8, v98 dst_sel:DWORD dst_unused:UNUSED_PAD src0_sel:BYTE_3 src1_sel:DWORD
	v_lshlrev_b32_e32 v72, 2, v72
	v_cndmask_b32_e32 v63, 3, v63, vcc_lo
	v_and_b32_e32 v72, 0xfc, v72
	v_and_b32_e32 v74, 3, v63
	v_or_b32_e32 v9, v9, v63
	v_or3_b32 v8, v8, v72, v74
	v_cmp_ne_u32_e32 vcc_lo, 0, v9
	v_lshlrev_b32_e32 v8, 8, v8
	v_cndmask_b32_e32 v91, 0, v8, vcc_lo
.LBB2_2068:                             ;   in Loop: Header=BB2_1949 Depth=4
	s_or_b32 exec_lo, exec_lo, s76
.LBB2_2069:                             ;   in Loop: Header=BB2_1949 Depth=4
	s_or_b32 exec_lo, exec_lo, s75
	v_cmp_gt_i16_sdwa s75, v10, v97 src0_sel:BYTE_0 src1_sel:DWORD
	s_mov_b32 s17, 0
	s_and_saveexec_b32 s76, s75
	s_xor_b32 s75, exec_lo, s76
	s_cbranch_execz .LBB2_2515
; %bb.2070:                             ;   in Loop: Header=BB2_1949 Depth=4
	v_cmp_eq_u16_sdwa s77, v10, v98 src0_sel:BYTE_0 src1_sel:DWORD
	s_mov_b32 s17, -1
	s_and_saveexec_b32 s76, s77
; %bb.2071:                             ;   in Loop: Header=BB2_1949 Depth=4
	s_xor_b32 s17, exec_lo, -1
; %bb.2072:                             ;   in Loop: Header=BB2_1949 Depth=4
	s_or_b32 exec_lo, exec_lo, s76
	s_and_b32 s17, s17, exec_lo
	s_or_saveexec_b32 s75, s75
	v_mov_b32_e32 v8, 0x7f800001
	s_xor_b32 exec_lo, exec_lo, s75
	s_cbranch_execnz .LBB2_2516
.LBB2_2073:                             ;   in Loop: Header=BB2_1949 Depth=4
	s_or_b32 exec_lo, exec_lo, s75
	s_and_saveexec_b32 s75, s17
	s_cbranch_execz .LBB2_2075
.LBB2_2074:                             ;   in Loop: Header=BB2_1949 Depth=4
	v_and_b32_e32 v8, 3, v10
	v_bfe_u32 v72, v10, 2, 5
	v_lshlrev_b32_e32 v74, 24, v10
	v_ffbh_u32_e32 v9, v8
	v_cmp_eq_u32_e32 vcc_lo, 0, v72
	v_min_u32_e32 v9, 32, v9
	v_subrev_nc_u32_e32 v63, 29, v9
	v_sub_nc_u32_e32 v9, 30, v9
	v_lshlrev_b32_e32 v63, v63, v10
	v_cndmask_b32_e32 v9, v72, v9, vcc_lo
	v_and_b32_e32 v63, 3, v63
	v_lshl_add_u32 v9, v9, 23, 0x37800000
	v_cndmask_b32_e32 v8, v8, v63, vcc_lo
	v_and_b32_e32 v63, 0x80000000, v74
	v_lshlrev_b32_e32 v8, 21, v8
	v_or3_b32 v8, v63, v9, v8
.LBB2_2075:                             ;   in Loop: Header=BB2_1949 Depth=4
	s_or_b32 exec_lo, exec_lo, s75
	v_mul_f32_e32 v8, s74, v8
	v_mov_b32_e32 v77, 0x80
	s_mov_b32 s75, exec_lo
	v_and_b32_e32 v9, 0x7f800000, v8
	v_cmpx_ne_u32_e32 0x7f800000, v9
	s_cbranch_execz .LBB2_2083
; %bb.2076:                             ;   in Loop: Header=BB2_1949 Depth=4
	v_mov_b32_e32 v77, 0
	s_mov_b32 s76, exec_lo
	v_cmpx_ne_u32_e32 0, v8
	s_cbranch_execz .LBB2_2082
; %bb.2077:                             ;   in Loop: Header=BB2_1949 Depth=4
	v_bfe_u32 v9, v8, 23, 8
	v_and_b32_e32 v63, 0x7fffff, v8
	v_sub_nc_u32_e32 v72, 0x70, v9
	v_cmp_gt_u32_e32 vcc_lo, 0x71, v9
	v_or_b32_e32 v74, 0x800000, v63
	v_cndmask_b32_e32 v72, 0, v72, vcc_lo
	v_cmp_eq_u32_e32 vcc_lo, 0, v9
	v_add_nc_u32_e32 v9, 0xffffff91, v9
	v_cndmask_b32_e64 v72, v72, 0x6f, vcc_lo
	v_cndmask_b32_e32 v63, v74, v63, vcc_lo
	v_cndmask_b32_e64 v9, v9, 0xffffff92, vcc_lo
	v_lshl_add_u32 v74, 0x200000, v72, -1
	v_lshrrev_b32_e32 v75, v72, v63
	v_lshlrev_b32_e64 v77, v72, 0x100000
	v_add_nc_u32_e32 v72, v72, v9
	v_and_b32_e32 v63, v74, v63
	v_bfe_u32 v76, v75, 21, 1
	v_cmp_eq_u32_e64 s17, v63, v77
	v_add_nc_u32_e32 v74, -1, v76
	v_cndmask_b32_e64 v63, 0, v74, s17
	v_lshrrev_b32_e32 v74, 23, v75
	s_mov_b32 s17, exec_lo
	v_add_nc_u32_e32 v63, v63, v75
	v_xor_b32_e32 v74, 1, v74
	v_and_b32_e32 v9, 0x1fffff, v63
	v_add_nc_u32_e32 v63, v9, v75
                                        ; implicit-def: $vgpr9
	v_cmpx_ne_u32_e64 v72, v74
	s_xor_b32 s17, exec_lo, s17
; %bb.2078:                             ;   in Loop: Header=BB2_1949 Depth=4
	v_cmp_lt_u32_e32 vcc_lo, 0xffffff, v63
	v_sub_nc_u32_e32 v9, v72, v74
	v_cndmask_b32_e64 v72, 0, 1, vcc_lo
	v_add_co_ci_u32_e64 v9, null, 0, v9, vcc_lo
	v_lshrrev_b32_e32 v63, v72, v63
; %bb.2079:                             ;   in Loop: Header=BB2_1949 Depth=4
	s_andn2_saveexec_b32 s17, s17
; %bb.2080:                             ;   in Loop: Header=BB2_1949 Depth=4
	v_bfe_u32 v9, v63, 23, 1
; %bb.2081:                             ;   in Loop: Header=BB2_1949 Depth=4
	s_or_b32 exec_lo, exec_lo, s17
	v_lshrrev_b32_e32 v63, 21, v63
	v_min_i32_e32 v72, 31, v9
	v_cmp_gt_i32_e32 vcc_lo, 32, v9
	v_and_b32_sdwa v8, v8, v98 dst_sel:DWORD dst_unused:UNUSED_PAD src0_sel:BYTE_3 src1_sel:DWORD
	v_lshlrev_b32_e32 v72, 2, v72
	v_cndmask_b32_e32 v63, 3, v63, vcc_lo
	v_and_b32_e32 v72, 0xfc, v72
	v_and_b32_e32 v74, 3, v63
	v_or_b32_e32 v9, v9, v63
	v_or3_b32 v8, v72, v8, v74
	v_cmp_ne_u32_e32 vcc_lo, 0, v9
	v_cndmask_b32_e32 v77, 0, v8, vcc_lo
.LBB2_2082:                             ;   in Loop: Header=BB2_1949 Depth=4
	s_or_b32 exec_lo, exec_lo, s76
.LBB2_2083:                             ;   in Loop: Header=BB2_1949 Depth=4
	s_or_b32 exec_lo, exec_lo, s75
	v_cmp_gt_i16_sdwa s75, v10, v97 src0_sel:BYTE_1 src1_sel:DWORD
	s_mov_b32 s17, 0
	s_and_saveexec_b32 s76, s75
	s_xor_b32 s75, exec_lo, s76
	s_cbranch_execz .LBB2_2517
; %bb.2084:                             ;   in Loop: Header=BB2_1949 Depth=4
	v_cmp_eq_u16_sdwa s77, v10, v98 src0_sel:BYTE_1 src1_sel:DWORD
	s_mov_b32 s17, -1
	s_and_saveexec_b32 s76, s77
; %bb.2085:                             ;   in Loop: Header=BB2_1949 Depth=4
	s_xor_b32 s17, exec_lo, -1
; %bb.2086:                             ;   in Loop: Header=BB2_1949 Depth=4
	s_or_b32 exec_lo, exec_lo, s76
	s_and_b32 s17, s17, exec_lo
	s_or_saveexec_b32 s75, s75
	v_mov_b32_e32 v8, 0x7f800001
	s_xor_b32 exec_lo, exec_lo, s75
	s_cbranch_execnz .LBB2_2518
.LBB2_2087:                             ;   in Loop: Header=BB2_1949 Depth=4
	s_or_b32 exec_lo, exec_lo, s75
	s_and_saveexec_b32 s75, s17
	s_cbranch_execz .LBB2_2089
.LBB2_2088:                             ;   in Loop: Header=BB2_1949 Depth=4
	v_and_b32_sdwa v8, v99, v10 dst_sel:DWORD dst_unused:UNUSED_PAD src0_sel:DWORD src1_sel:BYTE_1
	v_and_b32_e32 v9, 3, v8
	v_bfe_u32 v74, v8, 2, 5
	v_ffbh_u32_e32 v63, v9
	v_cmp_eq_u32_e32 vcc_lo, 0, v74
	v_min_u32_e32 v63, 32, v63
	v_subrev_nc_u32_e32 v72, 29, v63
	v_sub_nc_u32_e32 v63, 30, v63
	v_lshlrev_b32_e32 v8, v72, v8
	v_lshlrev_b32_sdwa v72, v100, v10 dst_sel:DWORD dst_unused:UNUSED_PAD src0_sel:DWORD src1_sel:BYTE_1
	v_cndmask_b32_e32 v63, v74, v63, vcc_lo
	v_and_b32_e32 v8, 3, v8
	v_lshl_add_u32 v63, v63, 23, 0x37800000
	v_cndmask_b32_e32 v8, v9, v8, vcc_lo
	v_and_b32_e32 v9, 0x80000000, v72
	v_lshlrev_b32_e32 v8, 21, v8
	v_or3_b32 v8, v9, v63, v8
.LBB2_2089:                             ;   in Loop: Header=BB2_1949 Depth=4
	s_or_b32 exec_lo, exec_lo, s75
	v_mul_f32_e32 v8, s74, v8
	v_mov_b32_e32 v89, 0x8000
	s_mov_b32 s75, exec_lo
	v_and_b32_e32 v9, 0x7f800000, v8
	v_cmpx_ne_u32_e32 0x7f800000, v9
	s_cbranch_execz .LBB2_2097
; %bb.2090:                             ;   in Loop: Header=BB2_1949 Depth=4
	v_mov_b32_e32 v89, 0
	s_mov_b32 s76, exec_lo
	v_cmpx_ne_u32_e32 0, v8
	s_cbranch_execz .LBB2_2096
; %bb.2091:                             ;   in Loop: Header=BB2_1949 Depth=4
	v_bfe_u32 v9, v8, 23, 8
	v_and_b32_e32 v63, 0x7fffff, v8
	v_sub_nc_u32_e32 v72, 0x70, v9
	v_cmp_gt_u32_e32 vcc_lo, 0x71, v9
	v_or_b32_e32 v74, 0x800000, v63
	v_cndmask_b32_e32 v72, 0, v72, vcc_lo
	v_cmp_eq_u32_e32 vcc_lo, 0, v9
	v_add_nc_u32_e32 v9, 0xffffff91, v9
	v_cndmask_b32_e64 v72, v72, 0x6f, vcc_lo
	v_cndmask_b32_e32 v63, v74, v63, vcc_lo
	v_cndmask_b32_e64 v9, v9, 0xffffff92, vcc_lo
	v_lshl_add_u32 v74, 0x200000, v72, -1
	v_lshrrev_b32_e32 v75, v72, v63
	v_lshlrev_b32_e64 v79, v72, 0x100000
	v_add_nc_u32_e32 v72, v72, v9
	v_and_b32_e32 v63, v74, v63
	v_bfe_u32 v76, v75, 21, 1
	v_cmp_eq_u32_e64 s17, v63, v79
	v_add_nc_u32_e32 v74, -1, v76
	v_cndmask_b32_e64 v63, 0, v74, s17
	v_lshrrev_b32_e32 v74, 23, v75
	s_mov_b32 s17, exec_lo
	v_add_nc_u32_e32 v63, v63, v75
	v_xor_b32_e32 v74, 1, v74
	v_and_b32_e32 v9, 0x1fffff, v63
	v_add_nc_u32_e32 v63, v9, v75
                                        ; implicit-def: $vgpr9
	v_cmpx_ne_u32_e64 v72, v74
	s_xor_b32 s17, exec_lo, s17
; %bb.2092:                             ;   in Loop: Header=BB2_1949 Depth=4
	v_cmp_lt_u32_e32 vcc_lo, 0xffffff, v63
	v_sub_nc_u32_e32 v9, v72, v74
	v_cndmask_b32_e64 v72, 0, 1, vcc_lo
	v_add_co_ci_u32_e64 v9, null, 0, v9, vcc_lo
	v_lshrrev_b32_e32 v63, v72, v63
; %bb.2093:                             ;   in Loop: Header=BB2_1949 Depth=4
	s_andn2_saveexec_b32 s17, s17
; %bb.2094:                             ;   in Loop: Header=BB2_1949 Depth=4
	v_bfe_u32 v9, v63, 23, 1
; %bb.2095:                             ;   in Loop: Header=BB2_1949 Depth=4
	s_or_b32 exec_lo, exec_lo, s17
	v_lshrrev_b32_e32 v63, 21, v63
	v_min_i32_e32 v72, 31, v9
	v_cmp_gt_i32_e32 vcc_lo, 32, v9
	v_and_b32_sdwa v8, v8, v98 dst_sel:DWORD dst_unused:UNUSED_PAD src0_sel:BYTE_3 src1_sel:DWORD
	v_lshlrev_b32_e32 v72, 2, v72
	v_cndmask_b32_e32 v63, 3, v63, vcc_lo
	v_and_b32_e32 v72, 0xfc, v72
	v_and_b32_e32 v74, 3, v63
	v_or_b32_e32 v9, v9, v63
	v_or3_b32 v8, v8, v72, v74
	v_cmp_ne_u32_e32 vcc_lo, 0, v9
	v_lshlrev_b32_e32 v8, 8, v8
	v_cndmask_b32_e32 v89, 0, v8, vcc_lo
.LBB2_2096:                             ;   in Loop: Header=BB2_1949 Depth=4
	s_or_b32 exec_lo, exec_lo, s76
.LBB2_2097:                             ;   in Loop: Header=BB2_1949 Depth=4
	s_or_b32 exec_lo, exec_lo, s75
	v_and_b32_sdwa v9, v10, v101 dst_sel:DWORD dst_unused:UNUSED_PAD src0_sel:WORD_1 src1_sel:DWORD
	s_mov_b32 s17, 0
	s_mov_b32 s75, exec_lo
	v_cmpx_lt_i16_e32 0x7f, v9
	s_xor_b32 s75, exec_lo, s75
	s_cbranch_execz .LBB2_2519
; %bb.2098:                             ;   in Loop: Header=BB2_1949 Depth=4
	s_mov_b32 s17, -1
	s_mov_b32 s76, exec_lo
	v_cmpx_eq_u16_e32 0x80, v9
; %bb.2099:                             ;   in Loop: Header=BB2_1949 Depth=4
	s_xor_b32 s17, exec_lo, -1
; %bb.2100:                             ;   in Loop: Header=BB2_1949 Depth=4
	s_or_b32 exec_lo, exec_lo, s76
	s_and_b32 s17, s17, exec_lo
                                        ; implicit-def: $vgpr9
	s_or_saveexec_b32 s75, s75
	v_mov_b32_e32 v8, 0x7f800001
	s_xor_b32 exec_lo, exec_lo, s75
	s_cbranch_execnz .LBB2_2520
.LBB2_2101:                             ;   in Loop: Header=BB2_1949 Depth=4
	s_or_b32 exec_lo, exec_lo, s75
	s_and_saveexec_b32 s75, s17
	s_cbranch_execz .LBB2_2103
.LBB2_2102:                             ;   in Loop: Header=BB2_1949 Depth=4
	v_bfe_u32 v8, v10, 16, 2
	v_bfe_u32 v72, v10, 18, 5
	v_lshlrev_b32_e32 v74, 8, v10
	v_ffbh_u32_e32 v9, v8
	v_cmp_eq_u32_e32 vcc_lo, 0, v72
	v_min_u32_e32 v9, 32, v9
	v_subrev_nc_u32_e32 v63, 29, v9
	v_sub_nc_u32_e32 v9, 30, v9
	v_lshlrev_b32_sdwa v63, v63, v10 dst_sel:DWORD dst_unused:UNUSED_PAD src0_sel:DWORD src1_sel:WORD_1
	v_cndmask_b32_e32 v9, v72, v9, vcc_lo
	v_and_b32_e32 v63, 3, v63
	v_lshl_add_u32 v9, v9, 23, 0x37800000
	v_cndmask_b32_e32 v8, v8, v63, vcc_lo
	v_and_b32_e32 v63, 0x80000000, v74
	v_lshlrev_b32_e32 v8, 21, v8
	v_or3_b32 v8, v63, v9, v8
.LBB2_2103:                             ;   in Loop: Header=BB2_1949 Depth=4
	s_or_b32 exec_lo, exec_lo, s75
	v_mul_f32_e32 v8, s74, v8
	v_mov_b32_e32 v75, 0x80
	s_mov_b32 s75, exec_lo
	v_and_b32_e32 v9, 0x7f800000, v8
	v_cmpx_ne_u32_e32 0x7f800000, v9
	s_cbranch_execz .LBB2_2111
; %bb.2104:                             ;   in Loop: Header=BB2_1949 Depth=4
	v_mov_b32_e32 v75, 0
	s_mov_b32 s76, exec_lo
	v_cmpx_ne_u32_e32 0, v8
	s_cbranch_execz .LBB2_2110
; %bb.2105:                             ;   in Loop: Header=BB2_1949 Depth=4
	v_bfe_u32 v9, v8, 23, 8
	v_and_b32_e32 v63, 0x7fffff, v8
	v_sub_nc_u32_e32 v72, 0x70, v9
	v_cmp_gt_u32_e32 vcc_lo, 0x71, v9
	v_or_b32_e32 v74, 0x800000, v63
	v_cndmask_b32_e32 v72, 0, v72, vcc_lo
	v_cmp_eq_u32_e32 vcc_lo, 0, v9
	v_add_nc_u32_e32 v9, 0xffffff91, v9
	v_cndmask_b32_e64 v72, v72, 0x6f, vcc_lo
	v_cndmask_b32_e32 v63, v74, v63, vcc_lo
	v_cndmask_b32_e64 v9, v9, 0xffffff92, vcc_lo
	v_lshl_add_u32 v74, 0x200000, v72, -1
	v_lshrrev_b32_e32 v75, v72, v63
	v_lshlrev_b32_e64 v79, v72, 0x100000
	v_add_nc_u32_e32 v72, v72, v9
	v_and_b32_e32 v63, v74, v63
	v_bfe_u32 v76, v75, 21, 1
	v_cmp_eq_u32_e64 s17, v63, v79
	v_add_nc_u32_e32 v74, -1, v76
	v_cndmask_b32_e64 v63, 0, v74, s17
	v_lshrrev_b32_e32 v74, 23, v75
	s_mov_b32 s17, exec_lo
	v_add_nc_u32_e32 v63, v63, v75
	v_xor_b32_e32 v74, 1, v74
	v_and_b32_e32 v9, 0x1fffff, v63
	v_add_nc_u32_e32 v63, v9, v75
                                        ; implicit-def: $vgpr9
	v_cmpx_ne_u32_e64 v72, v74
	s_xor_b32 s17, exec_lo, s17
; %bb.2106:                             ;   in Loop: Header=BB2_1949 Depth=4
	v_cmp_lt_u32_e32 vcc_lo, 0xffffff, v63
	v_sub_nc_u32_e32 v9, v72, v74
	v_cndmask_b32_e64 v72, 0, 1, vcc_lo
	v_add_co_ci_u32_e64 v9, null, 0, v9, vcc_lo
	v_lshrrev_b32_e32 v63, v72, v63
; %bb.2107:                             ;   in Loop: Header=BB2_1949 Depth=4
	s_andn2_saveexec_b32 s17, s17
; %bb.2108:                             ;   in Loop: Header=BB2_1949 Depth=4
	v_bfe_u32 v9, v63, 23, 1
; %bb.2109:                             ;   in Loop: Header=BB2_1949 Depth=4
	s_or_b32 exec_lo, exec_lo, s17
	v_lshrrev_b32_e32 v63, 21, v63
	v_min_i32_e32 v72, 31, v9
	v_cmp_gt_i32_e32 vcc_lo, 32, v9
	v_and_b32_sdwa v8, v8, v98 dst_sel:DWORD dst_unused:UNUSED_PAD src0_sel:BYTE_3 src1_sel:DWORD
	v_lshlrev_b32_e32 v72, 2, v72
	v_cndmask_b32_e32 v63, 3, v63, vcc_lo
	v_and_b32_e32 v72, 0xfc, v72
	v_and_b32_e32 v74, 3, v63
	v_or_b32_e32 v9, v9, v63
	v_or3_b32 v8, v72, v8, v74
	v_cmp_ne_u32_e32 vcc_lo, 0, v9
	v_cndmask_b32_e32 v75, 0, v8, vcc_lo
.LBB2_2110:                             ;   in Loop: Header=BB2_1949 Depth=4
	s_or_b32 exec_lo, exec_lo, s76
.LBB2_2111:                             ;   in Loop: Header=BB2_1949 Depth=4
	s_or_b32 exec_lo, exec_lo, s75
	v_cmp_gt_i16_sdwa s75, v10, v97 src0_sel:BYTE_3 src1_sel:DWORD
	s_mov_b32 s17, 0
	s_and_saveexec_b32 s76, s75
	s_xor_b32 s75, exec_lo, s76
	s_cbranch_execz .LBB2_2521
; %bb.2112:                             ;   in Loop: Header=BB2_1949 Depth=4
	v_cmp_eq_u16_sdwa s77, v10, v98 src0_sel:BYTE_3 src1_sel:DWORD
	s_mov_b32 s17, -1
	s_and_saveexec_b32 s76, s77
; %bb.2113:                             ;   in Loop: Header=BB2_1949 Depth=4
	s_xor_b32 s17, exec_lo, -1
; %bb.2114:                             ;   in Loop: Header=BB2_1949 Depth=4
	s_or_b32 exec_lo, exec_lo, s76
	s_and_b32 s17, s17, exec_lo
	s_or_saveexec_b32 s75, s75
	v_mov_b32_e32 v8, 0x7f800001
	s_xor_b32 exec_lo, exec_lo, s75
	s_cbranch_execnz .LBB2_2522
.LBB2_2115:                             ;   in Loop: Header=BB2_1949 Depth=4
	s_or_b32 exec_lo, exec_lo, s75
	s_and_saveexec_b32 s75, s17
	s_cbranch_execz .LBB2_2117
.LBB2_2116:                             ;   in Loop: Header=BB2_1949 Depth=4
	v_bfe_u32 v8, v10, 24, 2
	v_bfe_u32 v72, v10, 26, 5
	v_ffbh_u32_e32 v9, v8
	v_cmp_eq_u32_e32 vcc_lo, 0, v72
	v_min_u32_e32 v9, 32, v9
	v_subrev_nc_u32_e32 v63, 29, v9
	v_sub_nc_u32_e32 v9, 30, v9
	v_lshlrev_b32_sdwa v63, v63, v10 dst_sel:DWORD dst_unused:UNUSED_PAD src0_sel:DWORD src1_sel:BYTE_3
	v_cndmask_b32_e32 v9, v72, v9, vcc_lo
	v_and_b32_e32 v10, 0x80000000, v10
	v_and_b32_e32 v63, 3, v63
	v_lshl_add_u32 v9, v9, 23, 0x37800000
	v_cndmask_b32_e32 v8, v8, v63, vcc_lo
	v_lshlrev_b32_e32 v8, 21, v8
	v_or3_b32 v8, v10, v9, v8
.LBB2_2117:                             ;   in Loop: Header=BB2_1949 Depth=4
	s_or_b32 exec_lo, exec_lo, s75
	v_mul_f32_e32 v8, s74, v8
	v_mov_b32_e32 v79, 0x8000
	s_mov_b32 s75, exec_lo
	v_and_b32_e32 v9, 0x7f800000, v8
	v_cmpx_ne_u32_e32 0x7f800000, v9
	s_cbranch_execz .LBB2_2125
; %bb.2118:                             ;   in Loop: Header=BB2_1949 Depth=4
	v_mov_b32_e32 v79, 0
	s_mov_b32 s76, exec_lo
	v_cmpx_ne_u32_e32 0, v8
	s_cbranch_execz .LBB2_2124
; %bb.2119:                             ;   in Loop: Header=BB2_1949 Depth=4
	v_bfe_u32 v9, v8, 23, 8
	v_and_b32_e32 v10, 0x7fffff, v8
	v_sub_nc_u32_e32 v63, 0x70, v9
	v_cmp_gt_u32_e32 vcc_lo, 0x71, v9
	v_or_b32_e32 v72, 0x800000, v10
	v_cndmask_b32_e32 v63, 0, v63, vcc_lo
	v_cmp_eq_u32_e32 vcc_lo, 0, v9
	v_add_nc_u32_e32 v9, 0xffffff91, v9
	v_cndmask_b32_e64 v63, v63, 0x6f, vcc_lo
	v_cndmask_b32_e32 v10, v72, v10, vcc_lo
	v_cndmask_b32_e64 v9, v9, 0xffffff92, vcc_lo
	v_lshl_add_u32 v72, 0x200000, v63, -1
	v_lshrrev_b32_e32 v74, v63, v10
	v_lshlrev_b32_e64 v79, v63, 0x100000
	v_add_nc_u32_e32 v63, v63, v9
	v_and_b32_e32 v10, v72, v10
	v_bfe_u32 v76, v74, 21, 1
	v_cmp_eq_u32_e64 s17, v10, v79
	v_add_nc_u32_e32 v72, -1, v76
	v_cndmask_b32_e64 v10, 0, v72, s17
	v_lshrrev_b32_e32 v72, 23, v74
	s_mov_b32 s17, exec_lo
	v_add_nc_u32_e32 v10, v10, v74
	v_xor_b32_e32 v72, 1, v72
	v_and_b32_e32 v9, 0x1fffff, v10
	v_add_nc_u32_e32 v10, v9, v74
                                        ; implicit-def: $vgpr9
	v_cmpx_ne_u32_e64 v63, v72
	s_xor_b32 s17, exec_lo, s17
; %bb.2120:                             ;   in Loop: Header=BB2_1949 Depth=4
	v_cmp_lt_u32_e32 vcc_lo, 0xffffff, v10
	v_sub_nc_u32_e32 v9, v63, v72
	v_cndmask_b32_e64 v63, 0, 1, vcc_lo
	v_add_co_ci_u32_e64 v9, null, 0, v9, vcc_lo
	v_lshrrev_b32_e32 v10, v63, v10
; %bb.2121:                             ;   in Loop: Header=BB2_1949 Depth=4
	s_andn2_saveexec_b32 s17, s17
; %bb.2122:                             ;   in Loop: Header=BB2_1949 Depth=4
	v_bfe_u32 v9, v10, 23, 1
; %bb.2123:                             ;   in Loop: Header=BB2_1949 Depth=4
	s_or_b32 exec_lo, exec_lo, s17
	v_lshrrev_b32_e32 v10, 21, v10
	v_min_i32_e32 v63, 31, v9
	v_cmp_gt_i32_e32 vcc_lo, 32, v9
	v_and_b32_sdwa v8, v8, v98 dst_sel:DWORD dst_unused:UNUSED_PAD src0_sel:BYTE_3 src1_sel:DWORD
	v_lshlrev_b32_e32 v63, 2, v63
	v_cndmask_b32_e32 v10, 3, v10, vcc_lo
	v_and_b32_e32 v63, 0xfc, v63
	v_and_b32_e32 v72, 3, v10
	v_or_b32_e32 v9, v9, v10
	v_or3_b32 v8, v8, v63, v72
	v_cmp_ne_u32_e32 vcc_lo, 0, v9
	v_lshlrev_b32_e32 v8, 8, v8
	v_cndmask_b32_e32 v79, 0, v8, vcc_lo
.LBB2_2124:                             ;   in Loop: Header=BB2_1949 Depth=4
	s_or_b32 exec_lo, exec_lo, s76
.LBB2_2125:                             ;   in Loop: Header=BB2_1949 Depth=4
	s_or_b32 exec_lo, exec_lo, s75
	v_cmp_gt_i16_sdwa s75, v11, v97 src0_sel:BYTE_0 src1_sel:DWORD
	s_mov_b32 s17, 0
	s_and_saveexec_b32 s76, s75
	s_xor_b32 s75, exec_lo, s76
	s_cbranch_execz .LBB2_2523
; %bb.2126:                             ;   in Loop: Header=BB2_1949 Depth=4
	v_cmp_eq_u16_sdwa s77, v11, v98 src0_sel:BYTE_0 src1_sel:DWORD
	s_mov_b32 s17, -1
	s_and_saveexec_b32 s76, s77
; %bb.2127:                             ;   in Loop: Header=BB2_1949 Depth=4
	s_xor_b32 s17, exec_lo, -1
; %bb.2128:                             ;   in Loop: Header=BB2_1949 Depth=4
	s_or_b32 exec_lo, exec_lo, s76
	s_and_b32 s17, s17, exec_lo
	s_or_saveexec_b32 s75, s75
	v_mov_b32_e32 v8, 0x7f800001
	s_xor_b32 exec_lo, exec_lo, s75
	s_cbranch_execnz .LBB2_2524
.LBB2_2129:                             ;   in Loop: Header=BB2_1949 Depth=4
	s_or_b32 exec_lo, exec_lo, s75
	s_and_saveexec_b32 s75, s17
	s_cbranch_execz .LBB2_2131
.LBB2_2130:                             ;   in Loop: Header=BB2_1949 Depth=4
	v_and_b32_e32 v8, 3, v11
	v_bfe_u32 v63, v11, 2, 5
	v_lshlrev_b32_e32 v72, 24, v11
	v_ffbh_u32_e32 v9, v8
	v_cmp_eq_u32_e32 vcc_lo, 0, v63
	v_min_u32_e32 v9, 32, v9
	v_subrev_nc_u32_e32 v10, 29, v9
	v_sub_nc_u32_e32 v9, 30, v9
	v_lshlrev_b32_e32 v10, v10, v11
	v_cndmask_b32_e32 v9, v63, v9, vcc_lo
	v_and_b32_e32 v10, 3, v10
	v_lshl_add_u32 v9, v9, 23, 0x37800000
	v_cndmask_b32_e32 v8, v8, v10, vcc_lo
	v_and_b32_e32 v10, 0x80000000, v72
	v_lshlrev_b32_e32 v8, 21, v8
	v_or3_b32 v8, v10, v9, v8
.LBB2_2131:                             ;   in Loop: Header=BB2_1949 Depth=4
	s_or_b32 exec_lo, exec_lo, s75
	v_mul_f32_e32 v8, s74, v8
	v_mov_b32_e32 v72, 0x80
	s_mov_b32 s75, exec_lo
	v_and_b32_e32 v9, 0x7f800000, v8
	v_cmpx_ne_u32_e32 0x7f800000, v9
	s_cbranch_execz .LBB2_2139
; %bb.2132:                             ;   in Loop: Header=BB2_1949 Depth=4
	v_mov_b32_e32 v72, 0
	s_mov_b32 s76, exec_lo
	v_cmpx_ne_u32_e32 0, v8
	s_cbranch_execz .LBB2_2138
; %bb.2133:                             ;   in Loop: Header=BB2_1949 Depth=4
	v_bfe_u32 v9, v8, 23, 8
	v_and_b32_e32 v10, 0x7fffff, v8
	v_sub_nc_u32_e32 v63, 0x70, v9
	v_cmp_gt_u32_e32 vcc_lo, 0x71, v9
	v_or_b32_e32 v72, 0x800000, v10
	v_cndmask_b32_e32 v63, 0, v63, vcc_lo
	v_cmp_eq_u32_e32 vcc_lo, 0, v9
	v_add_nc_u32_e32 v9, 0xffffff91, v9
	v_cndmask_b32_e64 v63, v63, 0x6f, vcc_lo
	v_cndmask_b32_e32 v10, v72, v10, vcc_lo
	v_cndmask_b32_e64 v9, v9, 0xffffff92, vcc_lo
	v_lshl_add_u32 v72, 0x200000, v63, -1
	v_lshrrev_b32_e32 v74, v63, v10
	v_lshlrev_b32_e64 v94, v63, 0x100000
	v_add_nc_u32_e32 v63, v63, v9
	v_and_b32_e32 v10, v72, v10
	v_bfe_u32 v76, v74, 21, 1
	v_cmp_eq_u32_e64 s17, v10, v94
	v_add_nc_u32_e32 v72, -1, v76
	v_cndmask_b32_e64 v10, 0, v72, s17
	v_lshrrev_b32_e32 v72, 23, v74
	s_mov_b32 s17, exec_lo
	v_add_nc_u32_e32 v10, v10, v74
	v_xor_b32_e32 v72, 1, v72
	v_and_b32_e32 v9, 0x1fffff, v10
	v_add_nc_u32_e32 v10, v9, v74
                                        ; implicit-def: $vgpr9
	v_cmpx_ne_u32_e64 v63, v72
	s_xor_b32 s17, exec_lo, s17
; %bb.2134:                             ;   in Loop: Header=BB2_1949 Depth=4
	v_cmp_lt_u32_e32 vcc_lo, 0xffffff, v10
	v_sub_nc_u32_e32 v9, v63, v72
	v_cndmask_b32_e64 v63, 0, 1, vcc_lo
	v_add_co_ci_u32_e64 v9, null, 0, v9, vcc_lo
	v_lshrrev_b32_e32 v10, v63, v10
; %bb.2135:                             ;   in Loop: Header=BB2_1949 Depth=4
	s_andn2_saveexec_b32 s17, s17
; %bb.2136:                             ;   in Loop: Header=BB2_1949 Depth=4
	v_bfe_u32 v9, v10, 23, 1
; %bb.2137:                             ;   in Loop: Header=BB2_1949 Depth=4
	s_or_b32 exec_lo, exec_lo, s17
	v_lshrrev_b32_e32 v10, 21, v10
	v_min_i32_e32 v63, 31, v9
	v_cmp_gt_i32_e32 vcc_lo, 32, v9
	v_and_b32_sdwa v8, v8, v98 dst_sel:DWORD dst_unused:UNUSED_PAD src0_sel:BYTE_3 src1_sel:DWORD
	v_lshlrev_b32_e32 v63, 2, v63
	v_cndmask_b32_e32 v10, 3, v10, vcc_lo
	v_and_b32_e32 v63, 0xfc, v63
	v_and_b32_e32 v72, 3, v10
	v_or_b32_e32 v9, v9, v10
	v_or3_b32 v8, v63, v8, v72
	v_cmp_ne_u32_e32 vcc_lo, 0, v9
	v_cndmask_b32_e32 v72, 0, v8, vcc_lo
.LBB2_2138:                             ;   in Loop: Header=BB2_1949 Depth=4
	s_or_b32 exec_lo, exec_lo, s76
.LBB2_2139:                             ;   in Loop: Header=BB2_1949 Depth=4
	s_or_b32 exec_lo, exec_lo, s75
	v_cmp_gt_i16_sdwa s75, v11, v97 src0_sel:BYTE_1 src1_sel:DWORD
	s_mov_b32 s17, 0
	s_and_saveexec_b32 s76, s75
	s_xor_b32 s75, exec_lo, s76
	s_cbranch_execz .LBB2_2525
; %bb.2140:                             ;   in Loop: Header=BB2_1949 Depth=4
	v_cmp_eq_u16_sdwa s77, v11, v98 src0_sel:BYTE_1 src1_sel:DWORD
	s_mov_b32 s17, -1
	s_and_saveexec_b32 s76, s77
; %bb.2141:                             ;   in Loop: Header=BB2_1949 Depth=4
	s_xor_b32 s17, exec_lo, -1
; %bb.2142:                             ;   in Loop: Header=BB2_1949 Depth=4
	s_or_b32 exec_lo, exec_lo, s76
	s_and_b32 s17, s17, exec_lo
	s_or_saveexec_b32 s75, s75
	v_mov_b32_e32 v8, 0x7f800001
	s_xor_b32 exec_lo, exec_lo, s75
	s_cbranch_execnz .LBB2_2526
.LBB2_2143:                             ;   in Loop: Header=BB2_1949 Depth=4
	s_or_b32 exec_lo, exec_lo, s75
	s_and_saveexec_b32 s75, s17
	s_cbranch_execz .LBB2_2145
.LBB2_2144:                             ;   in Loop: Header=BB2_1949 Depth=4
	v_and_b32_sdwa v8, v99, v11 dst_sel:DWORD dst_unused:UNUSED_PAD src0_sel:DWORD src1_sel:BYTE_1
	v_and_b32_e32 v9, 3, v8
	v_bfe_u32 v74, v8, 2, 5
	v_ffbh_u32_e32 v10, v9
	v_cmp_eq_u32_e32 vcc_lo, 0, v74
	v_min_u32_e32 v10, 32, v10
	v_subrev_nc_u32_e32 v63, 29, v10
	v_sub_nc_u32_e32 v10, 30, v10
	v_lshlrev_b32_e32 v8, v63, v8
	v_lshlrev_b32_sdwa v63, v100, v11 dst_sel:DWORD dst_unused:UNUSED_PAD src0_sel:DWORD src1_sel:BYTE_1
	v_cndmask_b32_e32 v10, v74, v10, vcc_lo
	v_and_b32_e32 v8, 3, v8
	v_lshl_add_u32 v10, v10, 23, 0x37800000
	v_cndmask_b32_e32 v8, v9, v8, vcc_lo
	v_and_b32_e32 v9, 0x80000000, v63
	v_lshlrev_b32_e32 v8, 21, v8
	v_or3_b32 v8, v9, v10, v8
.LBB2_2145:                             ;   in Loop: Header=BB2_1949 Depth=4
	s_or_b32 exec_lo, exec_lo, s75
	v_mul_f32_e32 v8, s74, v8
	v_mov_b32_e32 v76, 0x8000
	s_mov_b32 s75, exec_lo
	v_and_b32_e32 v9, 0x7f800000, v8
	v_cmpx_ne_u32_e32 0x7f800000, v9
	s_cbranch_execz .LBB2_2153
; %bb.2146:                             ;   in Loop: Header=BB2_1949 Depth=4
	v_mov_b32_e32 v76, 0
	s_mov_b32 s76, exec_lo
	v_cmpx_ne_u32_e32 0, v8
	s_cbranch_execz .LBB2_2152
; %bb.2147:                             ;   in Loop: Header=BB2_1949 Depth=4
	v_bfe_u32 v9, v8, 23, 8
	v_and_b32_e32 v10, 0x7fffff, v8
	v_sub_nc_u32_e32 v63, 0x70, v9
	v_cmp_gt_u32_e32 vcc_lo, 0x71, v9
	v_or_b32_e32 v74, 0x800000, v10
	v_cndmask_b32_e32 v63, 0, v63, vcc_lo
	v_cmp_eq_u32_e32 vcc_lo, 0, v9
	v_add_nc_u32_e32 v9, 0xffffff91, v9
	v_cndmask_b32_e64 v63, v63, 0x6f, vcc_lo
	v_cndmask_b32_e32 v10, v74, v10, vcc_lo
	v_cndmask_b32_e64 v9, v9, 0xffffff92, vcc_lo
	v_lshl_add_u32 v74, 0x200000, v63, -1
	v_lshrrev_b32_e32 v76, v63, v10
	v_lshlrev_b32_e64 v95, v63, 0x100000
	v_add_nc_u32_e32 v63, v63, v9
	v_and_b32_e32 v10, v74, v10
	v_bfe_u32 v94, v76, 21, 1
	v_cmp_eq_u32_e64 s17, v10, v95
	v_add_nc_u32_e32 v74, -1, v94
	v_cndmask_b32_e64 v10, 0, v74, s17
	v_lshrrev_b32_e32 v74, 23, v76
	s_mov_b32 s17, exec_lo
	v_add_nc_u32_e32 v10, v10, v76
	v_xor_b32_e32 v74, 1, v74
	v_and_b32_e32 v9, 0x1fffff, v10
	v_add_nc_u32_e32 v10, v9, v76
                                        ; implicit-def: $vgpr9
	v_cmpx_ne_u32_e64 v63, v74
	s_xor_b32 s17, exec_lo, s17
; %bb.2148:                             ;   in Loop: Header=BB2_1949 Depth=4
	v_cmp_lt_u32_e32 vcc_lo, 0xffffff, v10
	v_sub_nc_u32_e32 v9, v63, v74
	v_cndmask_b32_e64 v63, 0, 1, vcc_lo
	v_add_co_ci_u32_e64 v9, null, 0, v9, vcc_lo
	v_lshrrev_b32_e32 v10, v63, v10
; %bb.2149:                             ;   in Loop: Header=BB2_1949 Depth=4
	s_andn2_saveexec_b32 s17, s17
; %bb.2150:                             ;   in Loop: Header=BB2_1949 Depth=4
	v_bfe_u32 v9, v10, 23, 1
; %bb.2151:                             ;   in Loop: Header=BB2_1949 Depth=4
	s_or_b32 exec_lo, exec_lo, s17
	v_lshrrev_b32_e32 v10, 21, v10
	v_min_i32_e32 v63, 31, v9
	v_cmp_gt_i32_e32 vcc_lo, 32, v9
	v_and_b32_sdwa v8, v8, v98 dst_sel:DWORD dst_unused:UNUSED_PAD src0_sel:BYTE_3 src1_sel:DWORD
	v_lshlrev_b32_e32 v63, 2, v63
	v_cndmask_b32_e32 v10, 3, v10, vcc_lo
	v_and_b32_e32 v63, 0xfc, v63
	v_and_b32_e32 v74, 3, v10
	v_or_b32_e32 v9, v9, v10
	v_or3_b32 v8, v8, v63, v74
	v_cmp_ne_u32_e32 vcc_lo, 0, v9
	v_lshlrev_b32_e32 v8, 8, v8
	v_cndmask_b32_e32 v76, 0, v8, vcc_lo
.LBB2_2152:                             ;   in Loop: Header=BB2_1949 Depth=4
	s_or_b32 exec_lo, exec_lo, s76
.LBB2_2153:                             ;   in Loop: Header=BB2_1949 Depth=4
	s_or_b32 exec_lo, exec_lo, s75
	v_and_b32_sdwa v9, v11, v101 dst_sel:DWORD dst_unused:UNUSED_PAD src0_sel:WORD_1 src1_sel:DWORD
	s_mov_b32 s17, 0
	s_mov_b32 s75, exec_lo
	v_cmpx_lt_i16_e32 0x7f, v9
	s_xor_b32 s75, exec_lo, s75
	s_cbranch_execz .LBB2_2527
; %bb.2154:                             ;   in Loop: Header=BB2_1949 Depth=4
	s_mov_b32 s17, -1
	s_mov_b32 s76, exec_lo
	v_cmpx_eq_u16_e32 0x80, v9
; %bb.2155:                             ;   in Loop: Header=BB2_1949 Depth=4
	s_xor_b32 s17, exec_lo, -1
; %bb.2156:                             ;   in Loop: Header=BB2_1949 Depth=4
	s_or_b32 exec_lo, exec_lo, s76
	s_and_b32 s17, s17, exec_lo
                                        ; implicit-def: $vgpr9
	s_or_saveexec_b32 s75, s75
	v_mov_b32_e32 v8, 0x7f800001
	s_xor_b32 exec_lo, exec_lo, s75
	s_cbranch_execnz .LBB2_2528
.LBB2_2157:                             ;   in Loop: Header=BB2_1949 Depth=4
	s_or_b32 exec_lo, exec_lo, s75
	s_and_saveexec_b32 s75, s17
	s_cbranch_execz .LBB2_2159
.LBB2_2158:                             ;   in Loop: Header=BB2_1949 Depth=4
	v_bfe_u32 v8, v11, 16, 2
	v_bfe_u32 v63, v11, 18, 5
	v_lshlrev_b32_e32 v74, 8, v11
	v_ffbh_u32_e32 v9, v8
	v_cmp_eq_u32_e32 vcc_lo, 0, v63
	v_min_u32_e32 v9, 32, v9
	v_subrev_nc_u32_e32 v10, 29, v9
	v_sub_nc_u32_e32 v9, 30, v9
	v_lshlrev_b32_sdwa v10, v10, v11 dst_sel:DWORD dst_unused:UNUSED_PAD src0_sel:DWORD src1_sel:WORD_1
	v_cndmask_b32_e32 v9, v63, v9, vcc_lo
	v_and_b32_e32 v10, 3, v10
	v_lshl_add_u32 v9, v9, 23, 0x37800000
	v_cndmask_b32_e32 v8, v8, v10, vcc_lo
	v_and_b32_e32 v10, 0x80000000, v74
	v_lshlrev_b32_e32 v8, 21, v8
	v_or3_b32 v8, v10, v9, v8
.LBB2_2159:                             ;   in Loop: Header=BB2_1949 Depth=4
	s_or_b32 exec_lo, exec_lo, s75
	v_mul_f32_e32 v8, s74, v8
	v_mov_b32_e32 v63, 0x80
	s_mov_b32 s75, exec_lo
	v_and_b32_e32 v9, 0x7f800000, v8
	v_cmpx_ne_u32_e32 0x7f800000, v9
	s_cbranch_execz .LBB2_2167
; %bb.2160:                             ;   in Loop: Header=BB2_1949 Depth=4
	v_mov_b32_e32 v63, 0
	s_mov_b32 s76, exec_lo
	v_cmpx_ne_u32_e32 0, v8
	s_cbranch_execz .LBB2_2166
; %bb.2161:                             ;   in Loop: Header=BB2_1949 Depth=4
	v_bfe_u32 v9, v8, 23, 8
	v_and_b32_e32 v10, 0x7fffff, v8
	v_sub_nc_u32_e32 v63, 0x70, v9
	v_cmp_gt_u32_e32 vcc_lo, 0x71, v9
	v_or_b32_e32 v74, 0x800000, v10
	v_cndmask_b32_e32 v63, 0, v63, vcc_lo
	v_cmp_eq_u32_e32 vcc_lo, 0, v9
	v_add_nc_u32_e32 v9, 0xffffff91, v9
	v_cndmask_b32_e64 v63, v63, 0x6f, vcc_lo
	v_cndmask_b32_e32 v10, v74, v10, vcc_lo
	v_cndmask_b32_e64 v9, v9, 0xffffff92, vcc_lo
	v_lshl_add_u32 v74, 0x200000, v63, -1
	v_lshrrev_b32_e32 v94, v63, v10
	v_lshlrev_b32_e64 v104, v63, 0x100000
	v_add_nc_u32_e32 v63, v63, v9
	v_and_b32_e32 v10, v74, v10
	v_bfe_u32 v95, v94, 21, 1
	v_cmp_eq_u32_e64 s17, v10, v104
	v_add_nc_u32_e32 v74, -1, v95
	v_cndmask_b32_e64 v10, 0, v74, s17
	v_lshrrev_b32_e32 v74, 23, v94
	s_mov_b32 s17, exec_lo
	v_add_nc_u32_e32 v10, v10, v94
	v_xor_b32_e32 v74, 1, v74
	v_and_b32_e32 v9, 0x1fffff, v10
	v_add_nc_u32_e32 v10, v9, v94
                                        ; implicit-def: $vgpr9
	v_cmpx_ne_u32_e64 v63, v74
	s_xor_b32 s17, exec_lo, s17
; %bb.2162:                             ;   in Loop: Header=BB2_1949 Depth=4
	v_cmp_lt_u32_e32 vcc_lo, 0xffffff, v10
	v_sub_nc_u32_e32 v9, v63, v74
	v_cndmask_b32_e64 v63, 0, 1, vcc_lo
	v_add_co_ci_u32_e64 v9, null, 0, v9, vcc_lo
	v_lshrrev_b32_e32 v10, v63, v10
; %bb.2163:                             ;   in Loop: Header=BB2_1949 Depth=4
	s_andn2_saveexec_b32 s17, s17
; %bb.2164:                             ;   in Loop: Header=BB2_1949 Depth=4
	v_bfe_u32 v9, v10, 23, 1
; %bb.2165:                             ;   in Loop: Header=BB2_1949 Depth=4
	s_or_b32 exec_lo, exec_lo, s17
	v_lshrrev_b32_e32 v10, 21, v10
	v_min_i32_e32 v63, 31, v9
	v_cmp_gt_i32_e32 vcc_lo, 32, v9
	v_and_b32_sdwa v8, v8, v98 dst_sel:DWORD dst_unused:UNUSED_PAD src0_sel:BYTE_3 src1_sel:DWORD
	v_lshlrev_b32_e32 v63, 2, v63
	v_cndmask_b32_e32 v10, 3, v10, vcc_lo
	v_and_b32_e32 v63, 0xfc, v63
	v_and_b32_e32 v74, 3, v10
	v_or_b32_e32 v9, v9, v10
	v_or3_b32 v8, v63, v8, v74
	v_cmp_ne_u32_e32 vcc_lo, 0, v9
	v_cndmask_b32_e32 v63, 0, v8, vcc_lo
.LBB2_2166:                             ;   in Loop: Header=BB2_1949 Depth=4
	s_or_b32 exec_lo, exec_lo, s76
.LBB2_2167:                             ;   in Loop: Header=BB2_1949 Depth=4
	s_or_b32 exec_lo, exec_lo, s75
	v_cmp_gt_i16_sdwa s75, v11, v97 src0_sel:BYTE_3 src1_sel:DWORD
	s_mov_b32 s17, 0
	s_and_saveexec_b32 s76, s75
	s_xor_b32 s75, exec_lo, s76
	s_cbranch_execz .LBB2_2529
; %bb.2168:                             ;   in Loop: Header=BB2_1949 Depth=4
	v_cmp_eq_u16_sdwa s77, v11, v98 src0_sel:BYTE_3 src1_sel:DWORD
	s_mov_b32 s17, -1
	s_and_saveexec_b32 s76, s77
; %bb.2169:                             ;   in Loop: Header=BB2_1949 Depth=4
	s_xor_b32 s17, exec_lo, -1
; %bb.2170:                             ;   in Loop: Header=BB2_1949 Depth=4
	s_or_b32 exec_lo, exec_lo, s76
	s_and_b32 s17, s17, exec_lo
	s_or_saveexec_b32 s75, s75
	v_mov_b32_e32 v8, 0x7f800001
	s_xor_b32 exec_lo, exec_lo, s75
	s_cbranch_execnz .LBB2_2530
.LBB2_2171:                             ;   in Loop: Header=BB2_1949 Depth=4
	s_or_b32 exec_lo, exec_lo, s75
	s_and_saveexec_b32 s75, s17
	s_cbranch_execz .LBB2_2173
.LBB2_2172:                             ;   in Loop: Header=BB2_1949 Depth=4
	v_bfe_u32 v8, v11, 24, 2
	v_bfe_u32 v74, v11, 26, 5
	v_ffbh_u32_e32 v9, v8
	v_cmp_eq_u32_e32 vcc_lo, 0, v74
	v_min_u32_e32 v9, 32, v9
	v_subrev_nc_u32_e32 v10, 29, v9
	v_sub_nc_u32_e32 v9, 30, v9
	v_lshlrev_b32_sdwa v10, v10, v11 dst_sel:DWORD dst_unused:UNUSED_PAD src0_sel:DWORD src1_sel:BYTE_3
	v_cndmask_b32_e32 v9, v74, v9, vcc_lo
	v_and_b32_e32 v10, 3, v10
	v_lshl_add_u32 v9, v9, 23, 0x37800000
	v_cndmask_b32_e32 v8, v8, v10, vcc_lo
	v_and_b32_e32 v10, 0x80000000, v11
	v_lshlrev_b32_e32 v8, 21, v8
	v_or3_b32 v8, v10, v9, v8
.LBB2_2173:                             ;   in Loop: Header=BB2_1949 Depth=4
	s_or_b32 exec_lo, exec_lo, s75
	v_mul_f32_e32 v8, s74, v8
	v_mov_b32_e32 v74, 0x8000
	s_mov_b32 s74, exec_lo
	v_and_b32_e32 v9, 0x7f800000, v8
	v_cmpx_ne_u32_e32 0x7f800000, v9
	s_cbranch_execz .LBB2_2181
; %bb.2174:                             ;   in Loop: Header=BB2_1949 Depth=4
	v_mov_b32_e32 v74, 0
	s_mov_b32 s75, exec_lo
	v_cmpx_ne_u32_e32 0, v8
	s_cbranch_execz .LBB2_2180
; %bb.2175:                             ;   in Loop: Header=BB2_1949 Depth=4
	v_bfe_u32 v9, v8, 23, 8
	v_and_b32_e32 v10, 0x7fffff, v8
	v_sub_nc_u32_e32 v11, 0x70, v9
	v_cmp_gt_u32_e32 vcc_lo, 0x71, v9
	v_or_b32_e32 v74, 0x800000, v10
	v_cndmask_b32_e32 v11, 0, v11, vcc_lo
	v_cmp_eq_u32_e32 vcc_lo, 0, v9
	v_add_nc_u32_e32 v9, 0xffffff91, v9
	v_cndmask_b32_e64 v11, v11, 0x6f, vcc_lo
	v_cndmask_b32_e32 v10, v74, v10, vcc_lo
	v_cndmask_b32_e64 v9, v9, 0xffffff92, vcc_lo
	v_lshl_add_u32 v74, 0x200000, v11, -1
	v_lshrrev_b32_e32 v94, v11, v10
	v_lshlrev_b32_e64 v104, v11, 0x100000
	v_add_nc_u32_e32 v11, v11, v9
	v_and_b32_e32 v10, v74, v10
	v_bfe_u32 v95, v94, 21, 1
	v_cmp_eq_u32_e64 s17, v10, v104
	v_add_nc_u32_e32 v74, -1, v95
	v_cndmask_b32_e64 v10, 0, v74, s17
	v_lshrrev_b32_e32 v74, 23, v94
	s_mov_b32 s17, exec_lo
	v_add_nc_u32_e32 v10, v10, v94
	v_xor_b32_e32 v74, 1, v74
	v_and_b32_e32 v9, 0x1fffff, v10
	v_add_nc_u32_e32 v10, v9, v94
                                        ; implicit-def: $vgpr9
	v_cmpx_ne_u32_e64 v11, v74
	s_xor_b32 s17, exec_lo, s17
; %bb.2176:                             ;   in Loop: Header=BB2_1949 Depth=4
	v_cmp_lt_u32_e32 vcc_lo, 0xffffff, v10
	v_sub_nc_u32_e32 v9, v11, v74
	v_cndmask_b32_e64 v11, 0, 1, vcc_lo
	v_add_co_ci_u32_e64 v9, null, 0, v9, vcc_lo
	v_lshrrev_b32_e32 v10, v11, v10
; %bb.2177:                             ;   in Loop: Header=BB2_1949 Depth=4
	s_andn2_saveexec_b32 s17, s17
; %bb.2178:                             ;   in Loop: Header=BB2_1949 Depth=4
	v_bfe_u32 v9, v10, 23, 1
; %bb.2179:                             ;   in Loop: Header=BB2_1949 Depth=4
	s_or_b32 exec_lo, exec_lo, s17
	v_lshrrev_b32_e32 v10, 21, v10
	v_min_i32_e32 v11, 31, v9
	v_cmp_gt_i32_e32 vcc_lo, 32, v9
	v_and_b32_sdwa v8, v8, v98 dst_sel:DWORD dst_unused:UNUSED_PAD src0_sel:BYTE_3 src1_sel:DWORD
	v_lshlrev_b32_e32 v11, 2, v11
	v_cndmask_b32_e32 v10, 3, v10, vcc_lo
	v_and_b32_e32 v11, 0xfc, v11
	v_and_b32_e32 v74, 3, v10
	v_or_b32_e32 v9, v9, v10
	v_or3_b32 v8, v8, v11, v74
	v_cmp_ne_u32_e32 vcc_lo, 0, v9
	v_lshlrev_b32_e32 v8, 8, v8
	v_cndmask_b32_e32 v74, 0, v8, vcc_lo
.LBB2_2180:                             ;   in Loop: Header=BB2_1949 Depth=4
	s_or_b32 exec_lo, exec_lo, s75
.LBB2_2181:                             ;   in Loop: Header=BB2_1949 Depth=4
	s_or_b32 exec_lo, exec_lo, s74
	global_load_dwordx4 v[8:11], v[70:71], off slc
	v_or_b32_e32 v94, v73, v62
	s_mov_b32 s17, 0
	v_cmp_gt_i16_sdwa s74, v94, v97 src0_sel:BYTE_0 src1_sel:DWORD
	s_and_saveexec_b32 s75, s74
	s_xor_b32 s74, exec_lo, s75
	s_cbranch_execz .LBB2_2531
; %bb.2182:                             ;   in Loop: Header=BB2_1949 Depth=4
	v_cmp_eq_u16_sdwa s76, v94, v98 src0_sel:BYTE_0 src1_sel:DWORD
	s_mov_b32 s17, -1
	s_and_saveexec_b32 s75, s76
; %bb.2183:                             ;   in Loop: Header=BB2_1949 Depth=4
	s_xor_b32 s17, exec_lo, -1
; %bb.2184:                             ;   in Loop: Header=BB2_1949 Depth=4
	s_or_b32 exec_lo, exec_lo, s75
	s_and_b32 s17, s17, exec_lo
	s_or_saveexec_b32 s74, s74
	v_mov_b32_e32 v62, 0x7f800001
	s_xor_b32 exec_lo, exec_lo, s74
	s_cbranch_execnz .LBB2_2532
.LBB2_2185:                             ;   in Loop: Header=BB2_1949 Depth=4
	s_or_b32 exec_lo, exec_lo, s74
	s_and_saveexec_b32 s74, s17
	s_cbranch_execz .LBB2_2187
.LBB2_2186:                             ;   in Loop: Header=BB2_1949 Depth=4
	v_and_b32_e32 v62, 3, v94
	v_bfe_u32 v104, v94, 2, 5
	v_lshlrev_b32_e32 v105, 24, v94
	v_ffbh_u32_e32 v73, v62
	v_cmp_eq_u32_e32 vcc_lo, 0, v104
	v_min_u32_e32 v73, 32, v73
	v_subrev_nc_u32_e32 v95, 29, v73
	v_sub_nc_u32_e32 v73, 30, v73
	v_lshlrev_b32_e32 v95, v95, v94
	v_cndmask_b32_e32 v73, v104, v73, vcc_lo
	v_and_b32_e32 v95, 3, v95
	v_lshl_add_u32 v73, v73, 23, 0x37800000
	v_cndmask_b32_e32 v62, v62, v95, vcc_lo
	v_and_b32_e32 v95, 0x80000000, v105
	v_lshlrev_b32_e32 v62, 21, v62
	v_or3_b32 v62, v95, v73, v62
.LBB2_2187:                             ;   in Loop: Header=BB2_1949 Depth=4
	s_or_b32 exec_lo, exec_lo, s74
	s_waitcnt vmcnt(0)
	v_cmp_gt_i16_sdwa s74, v8, v97 src0_sel:BYTE_0 src1_sel:DWORD
	s_mov_b32 s17, 0
	s_and_saveexec_b32 s75, s74
	s_xor_b32 s74, exec_lo, s75
	s_cbranch_execz .LBB2_2533
; %bb.2188:                             ;   in Loop: Header=BB2_1949 Depth=4
	v_cmp_eq_u16_sdwa s76, v8, v98 src0_sel:BYTE_0 src1_sel:DWORD
	s_mov_b32 s17, -1
	s_and_saveexec_b32 s75, s76
; %bb.2189:                             ;   in Loop: Header=BB2_1949 Depth=4
	s_xor_b32 s17, exec_lo, -1
; %bb.2190:                             ;   in Loop: Header=BB2_1949 Depth=4
	s_or_b32 exec_lo, exec_lo, s75
	s_and_b32 s17, s17, exec_lo
	s_or_saveexec_b32 s74, s74
	v_mov_b32_e32 v73, 0x7f800001
	s_xor_b32 exec_lo, exec_lo, s74
	s_cbranch_execnz .LBB2_2534
.LBB2_2191:                             ;   in Loop: Header=BB2_1949 Depth=4
	s_or_b32 exec_lo, exec_lo, s74
	s_and_saveexec_b32 s74, s17
	s_cbranch_execz .LBB2_2193
.LBB2_2192:                             ;   in Loop: Header=BB2_1949 Depth=4
	v_and_b32_e32 v73, 3, v8
	v_bfe_u32 v105, v8, 2, 5
	v_lshlrev_b32_e32 v106, 24, v8
	v_ffbh_u32_e32 v95, v73
	v_cmp_eq_u32_e32 vcc_lo, 0, v105
	v_min_u32_e32 v95, 32, v95
	v_subrev_nc_u32_e32 v104, 29, v95
	v_sub_nc_u32_e32 v95, 30, v95
	v_lshlrev_b32_e32 v104, v104, v8
	v_cndmask_b32_e32 v95, v105, v95, vcc_lo
	v_and_b32_e32 v104, 3, v104
	v_lshl_add_u32 v95, v95, 23, 0x37800000
	v_cndmask_b32_e32 v73, v73, v104, vcc_lo
	v_and_b32_e32 v104, 0x80000000, v106
	v_lshlrev_b32_e32 v73, 21, v73
	v_or3_b32 v73, v104, v95, v73
.LBB2_2193:                             ;   in Loop: Header=BB2_1949 Depth=4
	s_or_b32 exec_lo, exec_lo, s74
	v_add_f32_e32 v73, v62, v73
	v_and_b32_e32 v62, 0x7f800000, v73
	v_cmp_ne_u32_e32 vcc_lo, 0x7f800000, v62
	v_mov_b32_e32 v62, 0x80
	s_and_saveexec_b32 s74, vcc_lo
	s_cbranch_execz .LBB2_2201
; %bb.2194:                             ;   in Loop: Header=BB2_1949 Depth=4
	v_mov_b32_e32 v62, 0
	s_mov_b32 s75, exec_lo
	v_cmpx_ne_u32_e32 0, v73
	s_cbranch_execz .LBB2_2200
; %bb.2195:                             ;   in Loop: Header=BB2_1949 Depth=4
	v_bfe_u32 v62, v73, 23, 8
	v_and_b32_e32 v95, 0x7fffff, v73
	v_sub_nc_u32_e32 v104, 0x70, v62
	v_cmp_gt_u32_e32 vcc_lo, 0x71, v62
	v_or_b32_e32 v105, 0x800000, v95
	v_cndmask_b32_e32 v104, 0, v104, vcc_lo
	v_cmp_eq_u32_e32 vcc_lo, 0, v62
	v_add_nc_u32_e32 v62, 0xffffff91, v62
	v_cndmask_b32_e64 v104, v104, 0x6f, vcc_lo
	v_cndmask_b32_e32 v95, v105, v95, vcc_lo
	v_cndmask_b32_e64 v62, v62, 0xffffff92, vcc_lo
	v_lshl_add_u32 v105, 0x200000, v104, -1
	v_lshrrev_b32_e32 v106, v104, v95
	v_lshlrev_b32_e64 v108, v104, 0x100000
	v_add_nc_u32_e32 v104, v104, v62
	v_and_b32_e32 v95, v105, v95
	v_bfe_u32 v107, v106, 21, 1
	v_cmp_eq_u32_e64 s17, v95, v108
	v_add_nc_u32_e32 v105, -1, v107
	v_cndmask_b32_e64 v95, 0, v105, s17
	v_lshrrev_b32_e32 v105, 23, v106
	s_mov_b32 s17, exec_lo
	v_add_nc_u32_e32 v95, v95, v106
	v_xor_b32_e32 v105, 1, v105
	v_and_b32_e32 v62, 0x1fffff, v95
	v_add_nc_u32_e32 v95, v62, v106
                                        ; implicit-def: $vgpr62
	v_cmpx_ne_u32_e64 v104, v105
	s_xor_b32 s17, exec_lo, s17
; %bb.2196:                             ;   in Loop: Header=BB2_1949 Depth=4
	v_cmp_lt_u32_e32 vcc_lo, 0xffffff, v95
	v_sub_nc_u32_e32 v62, v104, v105
	v_cndmask_b32_e64 v104, 0, 1, vcc_lo
	v_add_co_ci_u32_e64 v62, null, 0, v62, vcc_lo
	v_lshrrev_b32_e32 v95, v104, v95
; %bb.2197:                             ;   in Loop: Header=BB2_1949 Depth=4
	s_andn2_saveexec_b32 s17, s17
; %bb.2198:                             ;   in Loop: Header=BB2_1949 Depth=4
	v_bfe_u32 v62, v95, 23, 1
; %bb.2199:                             ;   in Loop: Header=BB2_1949 Depth=4
	s_or_b32 exec_lo, exec_lo, s17
	v_lshrrev_b32_e32 v95, 21, v95
	v_min_i32_e32 v104, 31, v62
	v_cmp_gt_i32_e32 vcc_lo, 32, v62
	v_and_b32_sdwa v73, v73, v98 dst_sel:DWORD dst_unused:UNUSED_PAD src0_sel:BYTE_3 src1_sel:DWORD
	v_lshlrev_b32_e32 v104, 2, v104
	v_cndmask_b32_e32 v95, 3, v95, vcc_lo
	v_and_b32_e32 v104, 0xfc, v104
	v_and_b32_e32 v105, 3, v95
	v_or_b32_e32 v62, v62, v95
	v_or3_b32 v73, v104, v73, v105
	v_cmp_ne_u32_e32 vcc_lo, 0, v62
	v_cndmask_b32_e32 v62, 0, v73, vcc_lo
.LBB2_2200:                             ;   in Loop: Header=BB2_1949 Depth=4
	s_or_b32 exec_lo, exec_lo, s75
.LBB2_2201:                             ;   in Loop: Header=BB2_1949 Depth=4
	s_or_b32 exec_lo, exec_lo, s74
	v_cmp_gt_i16_sdwa s74, v94, v97 src0_sel:BYTE_1 src1_sel:DWORD
	s_mov_b32 s17, 0
	s_and_saveexec_b32 s75, s74
	s_xor_b32 s74, exec_lo, s75
	s_cbranch_execz .LBB2_2535
; %bb.2202:                             ;   in Loop: Header=BB2_1949 Depth=4
	v_cmp_eq_u16_sdwa s76, v94, v98 src0_sel:BYTE_1 src1_sel:DWORD
	s_mov_b32 s17, -1
	s_and_saveexec_b32 s75, s76
; %bb.2203:                             ;   in Loop: Header=BB2_1949 Depth=4
	s_xor_b32 s17, exec_lo, -1
; %bb.2204:                             ;   in Loop: Header=BB2_1949 Depth=4
	s_or_b32 exec_lo, exec_lo, s75
	s_and_b32 s17, s17, exec_lo
	s_or_saveexec_b32 s74, s74
	v_mov_b32_e32 v73, 0x7f800001
	s_xor_b32 exec_lo, exec_lo, s74
	s_cbranch_execnz .LBB2_2536
.LBB2_2205:                             ;   in Loop: Header=BB2_1949 Depth=4
	s_or_b32 exec_lo, exec_lo, s74
	s_and_saveexec_b32 s74, s17
	s_cbranch_execz .LBB2_2207
.LBB2_2206:                             ;   in Loop: Header=BB2_1949 Depth=4
	v_and_b32_sdwa v73, v99, v94 dst_sel:DWORD dst_unused:UNUSED_PAD src0_sel:DWORD src1_sel:BYTE_1
	v_and_b32_e32 v95, 3, v73
	v_bfe_u32 v106, v73, 2, 5
	v_ffbh_u32_e32 v104, v95
	v_cmp_eq_u32_e32 vcc_lo, 0, v106
	v_min_u32_e32 v104, 32, v104
	v_subrev_nc_u32_e32 v105, 29, v104
	v_sub_nc_u32_e32 v104, 30, v104
	v_lshlrev_b32_e32 v73, v105, v73
	v_lshlrev_b32_sdwa v105, v100, v94 dst_sel:DWORD dst_unused:UNUSED_PAD src0_sel:DWORD src1_sel:BYTE_1
	v_cndmask_b32_e32 v104, v106, v104, vcc_lo
	v_and_b32_e32 v73, 3, v73
	v_lshl_add_u32 v104, v104, 23, 0x37800000
	v_cndmask_b32_e32 v73, v95, v73, vcc_lo
	v_and_b32_e32 v95, 0x80000000, v105
	v_lshlrev_b32_e32 v73, 21, v73
	v_or3_b32 v73, v95, v104, v73
.LBB2_2207:                             ;   in Loop: Header=BB2_1949 Depth=4
	s_or_b32 exec_lo, exec_lo, s74
	v_cmp_gt_i16_sdwa s74, v8, v97 src0_sel:BYTE_1 src1_sel:DWORD
	s_mov_b32 s17, 0
	s_and_saveexec_b32 s75, s74
	s_xor_b32 s74, exec_lo, s75
	s_cbranch_execz .LBB2_2537
; %bb.2208:                             ;   in Loop: Header=BB2_1949 Depth=4
	v_cmp_eq_u16_sdwa s76, v8, v98 src0_sel:BYTE_1 src1_sel:DWORD
	s_mov_b32 s17, -1
	s_and_saveexec_b32 s75, s76
; %bb.2209:                             ;   in Loop: Header=BB2_1949 Depth=4
	s_xor_b32 s17, exec_lo, -1
; %bb.2210:                             ;   in Loop: Header=BB2_1949 Depth=4
	s_or_b32 exec_lo, exec_lo, s75
	s_and_b32 s17, s17, exec_lo
	s_or_saveexec_b32 s74, s74
	v_mov_b32_e32 v95, 0x7f800001
	s_xor_b32 exec_lo, exec_lo, s74
	s_cbranch_execnz .LBB2_2538
.LBB2_2211:                             ;   in Loop: Header=BB2_1949 Depth=4
	s_or_b32 exec_lo, exec_lo, s74
	s_and_saveexec_b32 s74, s17
	s_cbranch_execz .LBB2_2213
.LBB2_2212:                             ;   in Loop: Header=BB2_1949 Depth=4
	v_and_b32_sdwa v95, v99, v8 dst_sel:DWORD dst_unused:UNUSED_PAD src0_sel:DWORD src1_sel:BYTE_1
	v_and_b32_e32 v104, 3, v95
	v_bfe_u32 v107, v95, 2, 5
	v_ffbh_u32_e32 v105, v104
	v_cmp_eq_u32_e32 vcc_lo, 0, v107
	v_min_u32_e32 v105, 32, v105
	v_subrev_nc_u32_e32 v106, 29, v105
	v_sub_nc_u32_e32 v105, 30, v105
	v_lshlrev_b32_e32 v95, v106, v95
	v_lshlrev_b32_sdwa v106, v100, v8 dst_sel:DWORD dst_unused:UNUSED_PAD src0_sel:DWORD src1_sel:BYTE_1
	v_cndmask_b32_e32 v105, v107, v105, vcc_lo
	v_and_b32_e32 v95, 3, v95
	v_lshl_add_u32 v105, v105, 23, 0x37800000
	v_cndmask_b32_e32 v95, v104, v95, vcc_lo
	v_and_b32_e32 v104, 0x80000000, v106
	v_lshlrev_b32_e32 v95, 21, v95
	v_or3_b32 v95, v104, v105, v95
.LBB2_2213:                             ;   in Loop: Header=BB2_1949 Depth=4
	s_or_b32 exec_lo, exec_lo, s74
	v_add_f32_e32 v95, v73, v95
	v_and_b32_e32 v73, 0x7f800000, v95
	v_cmp_ne_u32_e32 vcc_lo, 0x7f800000, v73
	v_mov_b32_e32 v73, 0x8000
	s_and_saveexec_b32 s74, vcc_lo
	s_cbranch_execz .LBB2_2221
; %bb.2214:                             ;   in Loop: Header=BB2_1949 Depth=4
	v_mov_b32_e32 v73, 0
	s_mov_b32 s75, exec_lo
	v_cmpx_ne_u32_e32 0, v95
	s_cbranch_execz .LBB2_2220
; %bb.2215:                             ;   in Loop: Header=BB2_1949 Depth=4
	v_bfe_u32 v73, v95, 23, 8
	v_and_b32_e32 v104, 0x7fffff, v95
	v_sub_nc_u32_e32 v105, 0x70, v73
	v_cmp_gt_u32_e32 vcc_lo, 0x71, v73
	v_or_b32_e32 v106, 0x800000, v104
	v_cndmask_b32_e32 v105, 0, v105, vcc_lo
	v_cmp_eq_u32_e32 vcc_lo, 0, v73
	v_add_nc_u32_e32 v73, 0xffffff91, v73
	v_cndmask_b32_e64 v105, v105, 0x6f, vcc_lo
	v_cndmask_b32_e32 v104, v106, v104, vcc_lo
	v_cndmask_b32_e64 v73, v73, 0xffffff92, vcc_lo
	v_lshl_add_u32 v106, 0x200000, v105, -1
	v_lshrrev_b32_e32 v107, v105, v104
	v_lshlrev_b32_e64 v109, v105, 0x100000
	v_add_nc_u32_e32 v105, v105, v73
	v_and_b32_e32 v104, v106, v104
	v_bfe_u32 v108, v107, 21, 1
	v_cmp_eq_u32_e64 s17, v104, v109
	v_add_nc_u32_e32 v106, -1, v108
	v_cndmask_b32_e64 v104, 0, v106, s17
	v_lshrrev_b32_e32 v106, 23, v107
	s_mov_b32 s17, exec_lo
	v_add_nc_u32_e32 v104, v104, v107
	v_xor_b32_e32 v106, 1, v106
	v_and_b32_e32 v73, 0x1fffff, v104
	v_add_nc_u32_e32 v104, v73, v107
                                        ; implicit-def: $vgpr73
	v_cmpx_ne_u32_e64 v105, v106
	s_xor_b32 s17, exec_lo, s17
; %bb.2216:                             ;   in Loop: Header=BB2_1949 Depth=4
	v_cmp_lt_u32_e32 vcc_lo, 0xffffff, v104
	v_sub_nc_u32_e32 v73, v105, v106
	v_cndmask_b32_e64 v105, 0, 1, vcc_lo
	v_add_co_ci_u32_e64 v73, null, 0, v73, vcc_lo
	v_lshrrev_b32_e32 v104, v105, v104
; %bb.2217:                             ;   in Loop: Header=BB2_1949 Depth=4
	s_andn2_saveexec_b32 s17, s17
; %bb.2218:                             ;   in Loop: Header=BB2_1949 Depth=4
	v_bfe_u32 v73, v104, 23, 1
; %bb.2219:                             ;   in Loop: Header=BB2_1949 Depth=4
	s_or_b32 exec_lo, exec_lo, s17
	v_lshrrev_b32_e32 v104, 21, v104
	v_min_i32_e32 v105, 31, v73
	v_cmp_gt_i32_e32 vcc_lo, 32, v73
	v_and_b32_sdwa v95, v95, v98 dst_sel:DWORD dst_unused:UNUSED_PAD src0_sel:BYTE_3 src1_sel:DWORD
	v_lshlrev_b32_e32 v105, 2, v105
	v_cndmask_b32_e32 v104, 3, v104, vcc_lo
	v_and_b32_e32 v105, 0xfc, v105
	v_and_b32_e32 v106, 3, v104
	v_or_b32_e32 v73, v73, v104
	v_or3_b32 v95, v95, v105, v106
	v_cmp_ne_u32_e32 vcc_lo, 0, v73
	v_lshlrev_b32_e32 v95, 8, v95
	v_cndmask_b32_e32 v73, 0, v95, vcc_lo
.LBB2_2220:                             ;   in Loop: Header=BB2_1949 Depth=4
	s_or_b32 exec_lo, exec_lo, s75
.LBB2_2221:                             ;   in Loop: Header=BB2_1949 Depth=4
	s_or_b32 exec_lo, exec_lo, s74
	v_or_b32_e32 v93, v93, v78
	s_mov_b32 s17, 0
	v_cmp_gt_i16_sdwa s74, v93, v97 src0_sel:BYTE_0 src1_sel:DWORD
	s_and_saveexec_b32 s75, s74
	s_xor_b32 s74, exec_lo, s75
	s_cbranch_execz .LBB2_2539
; %bb.2222:                             ;   in Loop: Header=BB2_1949 Depth=4
	v_cmp_eq_u16_sdwa s76, v93, v98 src0_sel:BYTE_0 src1_sel:DWORD
	s_mov_b32 s17, -1
	s_and_saveexec_b32 s75, s76
; %bb.2223:                             ;   in Loop: Header=BB2_1949 Depth=4
	s_xor_b32 s17, exec_lo, -1
; %bb.2224:                             ;   in Loop: Header=BB2_1949 Depth=4
	s_or_b32 exec_lo, exec_lo, s75
	s_and_b32 s17, s17, exec_lo
	s_or_saveexec_b32 s74, s74
	v_mov_b32_e32 v78, 0x7f800001
	s_xor_b32 exec_lo, exec_lo, s74
	s_cbranch_execnz .LBB2_2540
.LBB2_2225:                             ;   in Loop: Header=BB2_1949 Depth=4
	s_or_b32 exec_lo, exec_lo, s74
	v_lshl_or_b32 v93, v93, 16, v94
	s_and_saveexec_b32 s74, s17
	s_cbranch_execz .LBB2_2227
.LBB2_2226:                             ;   in Loop: Header=BB2_1949 Depth=4
	v_bfe_u32 v78, v93, 16, 2
	v_bfe_u32 v104, v93, 18, 5
	v_lshlrev_b32_e32 v105, 8, v93
	v_ffbh_u32_e32 v94, v78
	v_cmp_eq_u32_e32 vcc_lo, 0, v104
	v_min_u32_e32 v94, 32, v94
	v_subrev_nc_u32_e32 v95, 29, v94
	v_sub_nc_u32_e32 v94, 30, v94
	v_lshlrev_b32_sdwa v95, v95, v93 dst_sel:DWORD dst_unused:UNUSED_PAD src0_sel:DWORD src1_sel:WORD_1
	v_cndmask_b32_e32 v94, v104, v94, vcc_lo
	v_and_b32_e32 v95, 3, v95
	v_lshl_add_u32 v94, v94, 23, 0x37800000
	v_cndmask_b32_e32 v78, v78, v95, vcc_lo
	v_and_b32_e32 v95, 0x80000000, v105
	v_lshlrev_b32_e32 v78, 21, v78
	v_or3_b32 v78, v95, v94, v78
.LBB2_2227:                             ;   in Loop: Header=BB2_1949 Depth=4
	s_or_b32 exec_lo, exec_lo, s74
	v_and_b32_sdwa v95, v8, v101 dst_sel:DWORD dst_unused:UNUSED_PAD src0_sel:WORD_1 src1_sel:DWORD
	s_mov_b32 s17, 0
	s_mov_b32 s74, exec_lo
	v_cmpx_lt_i16_e32 0x7f, v95
	s_xor_b32 s74, exec_lo, s74
	s_cbranch_execz .LBB2_2541
; %bb.2228:                             ;   in Loop: Header=BB2_1949 Depth=4
	s_mov_b32 s17, -1
	s_mov_b32 s75, exec_lo
	v_cmpx_eq_u16_e32 0x80, v95
; %bb.2229:                             ;   in Loop: Header=BB2_1949 Depth=4
	s_xor_b32 s17, exec_lo, -1
; %bb.2230:                             ;   in Loop: Header=BB2_1949 Depth=4
	s_or_b32 exec_lo, exec_lo, s75
	s_and_b32 s17, s17, exec_lo
                                        ; implicit-def: $vgpr95
	s_or_saveexec_b32 s74, s74
	v_mov_b32_e32 v94, 0x7f800001
	s_xor_b32 exec_lo, exec_lo, s74
	s_cbranch_execnz .LBB2_2542
.LBB2_2231:                             ;   in Loop: Header=BB2_1949 Depth=4
	s_or_b32 exec_lo, exec_lo, s74
	s_and_saveexec_b32 s74, s17
	s_cbranch_execz .LBB2_2233
.LBB2_2232:                             ;   in Loop: Header=BB2_1949 Depth=4
	v_and_b32_sdwa v94, v8, v103 dst_sel:DWORD dst_unused:UNUSED_PAD src0_sel:WORD_1 src1_sel:DWORD
	v_bfe_u32 v105, v8, 18, 5
	v_lshlrev_b32_sdwa v106, v100, v8 dst_sel:DWORD dst_unused:UNUSED_PAD src0_sel:DWORD src1_sel:WORD_1
	v_ffbh_u32_e32 v95, v94
	v_cmp_eq_u32_e32 vcc_lo, 0, v105
	v_min_u32_e32 v95, 32, v95
	v_subrev_nc_u32_e32 v104, 29, v95
	v_sub_nc_u32_e32 v95, 30, v95
	v_lshlrev_b32_sdwa v104, v104, v8 dst_sel:DWORD dst_unused:UNUSED_PAD src0_sel:DWORD src1_sel:WORD_1
	v_cndmask_b32_e32 v95, v105, v95, vcc_lo
	v_and_b32_e32 v104, 3, v104
	v_lshl_add_u32 v95, v95, 23, 0x37800000
	v_cndmask_b32_e32 v94, v94, v104, vcc_lo
	v_and_b32_e32 v104, 0x80000000, v106
	v_lshlrev_b32_e32 v94, 21, v94
	v_or3_b32 v94, v104, v95, v94
.LBB2_2233:                             ;   in Loop: Header=BB2_1949 Depth=4
	s_or_b32 exec_lo, exec_lo, s74
	v_add_f32_e32 v94, v78, v94
	v_and_b32_e32 v78, 0x7f800000, v94
	v_cmp_ne_u32_e32 vcc_lo, 0x7f800000, v78
	v_mov_b32_e32 v78, 0x80
	s_and_saveexec_b32 s74, vcc_lo
	s_cbranch_execz .LBB2_2241
; %bb.2234:                             ;   in Loop: Header=BB2_1949 Depth=4
	v_mov_b32_e32 v78, 0
	s_mov_b32 s75, exec_lo
	v_cmpx_ne_u32_e32 0, v94
	s_cbranch_execz .LBB2_2240
; %bb.2235:                             ;   in Loop: Header=BB2_1949 Depth=4
	v_bfe_u32 v78, v94, 23, 8
	v_and_b32_e32 v95, 0x7fffff, v94
	v_sub_nc_u32_e32 v104, 0x70, v78
	v_cmp_gt_u32_e32 vcc_lo, 0x71, v78
	v_or_b32_e32 v105, 0x800000, v95
	v_cndmask_b32_e32 v104, 0, v104, vcc_lo
	v_cmp_eq_u32_e32 vcc_lo, 0, v78
	v_add_nc_u32_e32 v78, 0xffffff91, v78
	v_cndmask_b32_e64 v104, v104, 0x6f, vcc_lo
	v_cndmask_b32_e32 v95, v105, v95, vcc_lo
	v_cndmask_b32_e64 v78, v78, 0xffffff92, vcc_lo
	v_lshl_add_u32 v105, 0x200000, v104, -1
	v_lshrrev_b32_e32 v106, v104, v95
	v_lshlrev_b32_e64 v108, v104, 0x100000
	v_add_nc_u32_e32 v104, v104, v78
	v_and_b32_e32 v95, v105, v95
	v_bfe_u32 v107, v106, 21, 1
	v_cmp_eq_u32_e64 s17, v95, v108
	v_add_nc_u32_e32 v105, -1, v107
	v_cndmask_b32_e64 v95, 0, v105, s17
	v_lshrrev_b32_e32 v105, 23, v106
	s_mov_b32 s17, exec_lo
	v_add_nc_u32_e32 v95, v95, v106
	v_xor_b32_e32 v105, 1, v105
	v_and_b32_e32 v78, 0x1fffff, v95
	v_add_nc_u32_e32 v95, v78, v106
                                        ; implicit-def: $vgpr78
	v_cmpx_ne_u32_e64 v104, v105
	s_xor_b32 s17, exec_lo, s17
; %bb.2236:                             ;   in Loop: Header=BB2_1949 Depth=4
	v_cmp_lt_u32_e32 vcc_lo, 0xffffff, v95
	v_sub_nc_u32_e32 v78, v104, v105
	v_cndmask_b32_e64 v104, 0, 1, vcc_lo
	v_add_co_ci_u32_e64 v78, null, 0, v78, vcc_lo
	v_lshrrev_b32_e32 v95, v104, v95
; %bb.2237:                             ;   in Loop: Header=BB2_1949 Depth=4
	s_andn2_saveexec_b32 s17, s17
; %bb.2238:                             ;   in Loop: Header=BB2_1949 Depth=4
	v_bfe_u32 v78, v95, 23, 1
; %bb.2239:                             ;   in Loop: Header=BB2_1949 Depth=4
	s_or_b32 exec_lo, exec_lo, s17
	v_lshrrev_b32_e32 v95, 21, v95
	v_min_i32_e32 v104, 31, v78
	v_cmp_gt_i32_e32 vcc_lo, 32, v78
	v_and_b32_sdwa v94, v94, v98 dst_sel:DWORD dst_unused:UNUSED_PAD src0_sel:BYTE_3 src1_sel:DWORD
	v_lshlrev_b32_e32 v104, 2, v104
	v_cndmask_b32_e32 v95, 3, v95, vcc_lo
	v_and_b32_e32 v104, 0xfc, v104
	v_and_b32_e32 v105, 3, v95
	v_or_b32_e32 v78, v78, v95
	v_or3_b32 v94, v104, v94, v105
	v_cmp_ne_u32_e32 vcc_lo, 0, v78
	v_cndmask_b32_e32 v78, 0, v94, vcc_lo
.LBB2_2240:                             ;   in Loop: Header=BB2_1949 Depth=4
	s_or_b32 exec_lo, exec_lo, s75
.LBB2_2241:                             ;   in Loop: Header=BB2_1949 Depth=4
	s_or_b32 exec_lo, exec_lo, s74
	v_cmp_gt_i16_sdwa s74, v93, v97 src0_sel:BYTE_3 src1_sel:DWORD
	s_mov_b32 s17, 0
	s_and_saveexec_b32 s75, s74
	s_xor_b32 s74, exec_lo, s75
	s_cbranch_execz .LBB2_2543
; %bb.2242:                             ;   in Loop: Header=BB2_1949 Depth=4
	v_cmp_eq_u16_sdwa s76, v93, v98 src0_sel:BYTE_3 src1_sel:DWORD
	s_mov_b32 s17, -1
	s_and_saveexec_b32 s75, s76
; %bb.2243:                             ;   in Loop: Header=BB2_1949 Depth=4
	s_xor_b32 s17, exec_lo, -1
; %bb.2244:                             ;   in Loop: Header=BB2_1949 Depth=4
	s_or_b32 exec_lo, exec_lo, s75
	s_and_b32 s17, s17, exec_lo
	s_or_saveexec_b32 s74, s74
	v_mov_b32_e32 v94, 0x7f800001
	s_xor_b32 exec_lo, exec_lo, s74
	s_cbranch_execnz .LBB2_2544
.LBB2_2245:                             ;   in Loop: Header=BB2_1949 Depth=4
	s_or_b32 exec_lo, exec_lo, s74
	s_and_saveexec_b32 s74, s17
	s_cbranch_execz .LBB2_2247
.LBB2_2246:                             ;   in Loop: Header=BB2_1949 Depth=4
	v_bfe_u32 v94, v93, 24, 2
	v_bfe_u32 v105, v93, 26, 5
	v_ffbh_u32_e32 v95, v94
	v_cmp_eq_u32_e32 vcc_lo, 0, v105
	v_min_u32_e32 v95, 32, v95
	v_subrev_nc_u32_e32 v104, 29, v95
	v_sub_nc_u32_e32 v95, 30, v95
	v_lshlrev_b32_sdwa v104, v104, v93 dst_sel:DWORD dst_unused:UNUSED_PAD src0_sel:DWORD src1_sel:BYTE_3
	v_cndmask_b32_e32 v95, v105, v95, vcc_lo
	v_and_b32_e32 v93, 0x80000000, v93
	v_and_b32_e32 v104, 3, v104
	v_lshl_add_u32 v95, v95, 23, 0x37800000
	v_cndmask_b32_e32 v94, v94, v104, vcc_lo
	v_lshlrev_b32_e32 v94, 21, v94
	v_or3_b32 v94, v93, v95, v94
.LBB2_2247:                             ;   in Loop: Header=BB2_1949 Depth=4
	s_or_b32 exec_lo, exec_lo, s74
	v_cmp_gt_i16_sdwa s74, v8, v97 src0_sel:BYTE_3 src1_sel:DWORD
	s_mov_b32 s17, 0
	s_and_saveexec_b32 s75, s74
	s_xor_b32 s74, exec_lo, s75
	s_cbranch_execz .LBB2_2545
; %bb.2248:                             ;   in Loop: Header=BB2_1949 Depth=4
	v_cmp_eq_u16_sdwa s76, v8, v98 src0_sel:BYTE_3 src1_sel:DWORD
	s_mov_b32 s17, -1
	s_and_saveexec_b32 s75, s76
; %bb.2249:                             ;   in Loop: Header=BB2_1949 Depth=4
	s_xor_b32 s17, exec_lo, -1
; %bb.2250:                             ;   in Loop: Header=BB2_1949 Depth=4
	s_or_b32 exec_lo, exec_lo, s75
	s_and_b32 s17, s17, exec_lo
	s_or_saveexec_b32 s74, s74
	v_mov_b32_e32 v93, 0x7f800001
	s_xor_b32 exec_lo, exec_lo, s74
	s_cbranch_execnz .LBB2_2546
.LBB2_2251:                             ;   in Loop: Header=BB2_1949 Depth=4
	s_or_b32 exec_lo, exec_lo, s74
	s_and_saveexec_b32 s74, s17
	s_cbranch_execz .LBB2_2253
.LBB2_2252:                             ;   in Loop: Header=BB2_1949 Depth=4
	v_and_b32_sdwa v93, v8, v103 dst_sel:DWORD dst_unused:UNUSED_PAD src0_sel:BYTE_3 src1_sel:DWORD
	v_bfe_u32 v105, v8, 26, 5
	v_ffbh_u32_e32 v95, v93
	v_cmp_eq_u32_e32 vcc_lo, 0, v105
	v_min_u32_e32 v95, 32, v95
	v_subrev_nc_u32_e32 v104, 29, v95
	v_sub_nc_u32_e32 v95, 30, v95
	v_lshlrev_b32_sdwa v104, v104, v8 dst_sel:DWORD dst_unused:UNUSED_PAD src0_sel:DWORD src1_sel:BYTE_3
	v_cndmask_b32_e32 v95, v105, v95, vcc_lo
	v_and_b32_e32 v8, 0x80000000, v8
	v_and_b32_e32 v104, 3, v104
	v_lshl_add_u32 v95, v95, 23, 0x37800000
	v_cndmask_b32_e32 v93, v93, v104, vcc_lo
	v_lshlrev_b32_e32 v93, 21, v93
	v_or3_b32 v93, v8, v95, v93
.LBB2_2253:                             ;   in Loop: Header=BB2_1949 Depth=4
	s_or_b32 exec_lo, exec_lo, s74
	v_add_f32_e32 v93, v94, v93
	v_and_b32_e32 v8, 0x7f800000, v93
	v_cmp_ne_u32_e32 vcc_lo, 0x7f800000, v8
	v_mov_b32_e32 v8, 0x8000
	s_and_saveexec_b32 s74, vcc_lo
	s_cbranch_execz .LBB2_2261
; %bb.2254:                             ;   in Loop: Header=BB2_1949 Depth=4
	v_mov_b32_e32 v8, 0
	s_mov_b32 s75, exec_lo
	v_cmpx_ne_u32_e32 0, v93
	s_cbranch_execz .LBB2_2260
; %bb.2255:                             ;   in Loop: Header=BB2_1949 Depth=4
	v_bfe_u32 v8, v93, 23, 8
	v_and_b32_e32 v94, 0x7fffff, v93
	v_sub_nc_u32_e32 v95, 0x70, v8
	v_cmp_gt_u32_e32 vcc_lo, 0x71, v8
	v_or_b32_e32 v104, 0x800000, v94
	v_cndmask_b32_e32 v95, 0, v95, vcc_lo
	v_cmp_eq_u32_e32 vcc_lo, 0, v8
	v_add_nc_u32_e32 v8, 0xffffff91, v8
	v_cndmask_b32_e64 v95, v95, 0x6f, vcc_lo
	v_cndmask_b32_e32 v94, v104, v94, vcc_lo
	v_cndmask_b32_e64 v8, v8, 0xffffff92, vcc_lo
	v_lshl_add_u32 v104, 0x200000, v95, -1
	v_lshrrev_b32_e32 v105, v95, v94
	v_lshlrev_b32_e64 v107, v95, 0x100000
	v_add_nc_u32_e32 v95, v95, v8
	v_and_b32_e32 v94, v104, v94
	v_bfe_u32 v106, v105, 21, 1
	v_cmp_eq_u32_e64 s17, v94, v107
	v_add_nc_u32_e32 v104, -1, v106
	v_cndmask_b32_e64 v94, 0, v104, s17
	v_lshrrev_b32_e32 v104, 23, v105
	s_mov_b32 s17, exec_lo
	v_add_nc_u32_e32 v94, v94, v105
	v_xor_b32_e32 v104, 1, v104
	v_and_b32_e32 v8, 0x1fffff, v94
	v_add_nc_u32_e32 v94, v8, v105
                                        ; implicit-def: $vgpr8
	v_cmpx_ne_u32_e64 v95, v104
	s_xor_b32 s17, exec_lo, s17
; %bb.2256:                             ;   in Loop: Header=BB2_1949 Depth=4
	v_cmp_lt_u32_e32 vcc_lo, 0xffffff, v94
	v_sub_nc_u32_e32 v8, v95, v104
	v_cndmask_b32_e64 v95, 0, 1, vcc_lo
	v_add_co_ci_u32_e64 v8, null, 0, v8, vcc_lo
	v_lshrrev_b32_e32 v94, v95, v94
; %bb.2257:                             ;   in Loop: Header=BB2_1949 Depth=4
	s_andn2_saveexec_b32 s17, s17
; %bb.2258:                             ;   in Loop: Header=BB2_1949 Depth=4
	v_bfe_u32 v8, v94, 23, 1
; %bb.2259:                             ;   in Loop: Header=BB2_1949 Depth=4
	s_or_b32 exec_lo, exec_lo, s17
	v_lshrrev_b32_e32 v94, 21, v94
	v_min_i32_e32 v95, 31, v8
	v_cmp_gt_i32_e32 vcc_lo, 32, v8
	v_and_b32_sdwa v93, v93, v98 dst_sel:DWORD dst_unused:UNUSED_PAD src0_sel:BYTE_3 src1_sel:DWORD
	v_lshlrev_b32_e32 v95, 2, v95
	v_cndmask_b32_e32 v94, 3, v94, vcc_lo
	v_and_b32_e32 v95, 0xfc, v95
	v_and_b32_e32 v104, 3, v94
	v_or_b32_e32 v8, v8, v94
	v_or3_b32 v93, v93, v95, v104
	v_cmp_ne_u32_e32 vcc_lo, 0, v8
	v_lshlrev_b32_e32 v93, 8, v93
	v_cndmask_b32_e32 v8, 0, v93, vcc_lo
.LBB2_2260:                             ;   in Loop: Header=BB2_1949 Depth=4
	s_or_b32 exec_lo, exec_lo, s75
.LBB2_2261:                             ;   in Loop: Header=BB2_1949 Depth=4
	s_or_b32 exec_lo, exec_lo, s74
	v_or_b32_e32 v93, v92, v90
	s_mov_b32 s17, 0
	v_cmp_gt_i16_sdwa s74, v93, v97 src0_sel:BYTE_0 src1_sel:DWORD
	s_and_saveexec_b32 s75, s74
	s_xor_b32 s74, exec_lo, s75
	s_cbranch_execz .LBB2_2547
; %bb.2262:                             ;   in Loop: Header=BB2_1949 Depth=4
	v_cmp_eq_u16_sdwa s76, v93, v98 src0_sel:BYTE_0 src1_sel:DWORD
	s_mov_b32 s17, -1
	s_and_saveexec_b32 s75, s76
; %bb.2263:                             ;   in Loop: Header=BB2_1949 Depth=4
	s_xor_b32 s17, exec_lo, -1
; %bb.2264:                             ;   in Loop: Header=BB2_1949 Depth=4
	s_or_b32 exec_lo, exec_lo, s75
	s_and_b32 s17, s17, exec_lo
	s_or_saveexec_b32 s74, s74
	v_mov_b32_e32 v90, 0x7f800001
	s_xor_b32 exec_lo, exec_lo, s74
	s_cbranch_execnz .LBB2_2548
.LBB2_2265:                             ;   in Loop: Header=BB2_1949 Depth=4
	s_or_b32 exec_lo, exec_lo, s74
	s_and_saveexec_b32 s74, s17
	s_cbranch_execz .LBB2_2267
.LBB2_2266:                             ;   in Loop: Header=BB2_1949 Depth=4
	v_and_b32_e32 v90, 3, v93
	v_bfe_u32 v95, v93, 2, 5
	v_lshlrev_b32_e32 v104, 24, v93
	v_ffbh_u32_e32 v92, v90
	v_cmp_eq_u32_e32 vcc_lo, 0, v95
	v_min_u32_e32 v92, 32, v92
	v_subrev_nc_u32_e32 v94, 29, v92
	v_sub_nc_u32_e32 v92, 30, v92
	v_lshlrev_b32_e32 v94, v94, v93
	v_cndmask_b32_e32 v92, v95, v92, vcc_lo
	v_and_b32_e32 v94, 3, v94
	v_lshl_add_u32 v92, v92, 23, 0x37800000
	v_cndmask_b32_e32 v90, v90, v94, vcc_lo
	v_and_b32_e32 v94, 0x80000000, v104
	v_lshlrev_b32_e32 v90, 21, v90
	v_or3_b32 v90, v94, v92, v90
.LBB2_2267:                             ;   in Loop: Header=BB2_1949 Depth=4
	s_or_b32 exec_lo, exec_lo, s74
	v_cmp_gt_i16_sdwa s74, v9, v97 src0_sel:BYTE_0 src1_sel:DWORD
	s_mov_b32 s17, 0
	s_and_saveexec_b32 s75, s74
	s_xor_b32 s74, exec_lo, s75
	s_cbranch_execz .LBB2_2549
; %bb.2268:                             ;   in Loop: Header=BB2_1949 Depth=4
	v_cmp_eq_u16_sdwa s76, v9, v98 src0_sel:BYTE_0 src1_sel:DWORD
	s_mov_b32 s17, -1
	s_and_saveexec_b32 s75, s76
; %bb.2269:                             ;   in Loop: Header=BB2_1949 Depth=4
	s_xor_b32 s17, exec_lo, -1
; %bb.2270:                             ;   in Loop: Header=BB2_1949 Depth=4
	s_or_b32 exec_lo, exec_lo, s75
	s_and_b32 s17, s17, exec_lo
	s_or_saveexec_b32 s74, s74
	v_mov_b32_e32 v92, 0x7f800001
	s_xor_b32 exec_lo, exec_lo, s74
	s_cbranch_execnz .LBB2_2550
.LBB2_2271:                             ;   in Loop: Header=BB2_1949 Depth=4
	s_or_b32 exec_lo, exec_lo, s74
	s_and_saveexec_b32 s74, s17
	s_cbranch_execz .LBB2_2273
.LBB2_2272:                             ;   in Loop: Header=BB2_1949 Depth=4
	v_and_b32_e32 v92, 3, v9
	v_bfe_u32 v104, v9, 2, 5
	v_lshlrev_b32_e32 v105, 24, v9
	v_ffbh_u32_e32 v94, v92
	v_cmp_eq_u32_e32 vcc_lo, 0, v104
	v_min_u32_e32 v94, 32, v94
	v_subrev_nc_u32_e32 v95, 29, v94
	v_sub_nc_u32_e32 v94, 30, v94
	v_lshlrev_b32_e32 v95, v95, v9
	v_cndmask_b32_e32 v94, v104, v94, vcc_lo
	v_and_b32_e32 v95, 3, v95
	v_lshl_add_u32 v94, v94, 23, 0x37800000
	v_cndmask_b32_e32 v92, v92, v95, vcc_lo
	v_and_b32_e32 v95, 0x80000000, v105
	v_lshlrev_b32_e32 v92, 21, v92
	v_or3_b32 v92, v95, v94, v92
.LBB2_2273:                             ;   in Loop: Header=BB2_1949 Depth=4
	s_or_b32 exec_lo, exec_lo, s74
	v_add_f32_e32 v92, v90, v92
	v_and_b32_e32 v90, 0x7f800000, v92
	v_cmp_ne_u32_e32 vcc_lo, 0x7f800000, v90
	v_mov_b32_e32 v90, 0x80
	s_and_saveexec_b32 s74, vcc_lo
	s_cbranch_execz .LBB2_2281
; %bb.2274:                             ;   in Loop: Header=BB2_1949 Depth=4
	v_mov_b32_e32 v90, 0
	s_mov_b32 s75, exec_lo
	v_cmpx_ne_u32_e32 0, v92
	s_cbranch_execz .LBB2_2280
; %bb.2275:                             ;   in Loop: Header=BB2_1949 Depth=4
	v_bfe_u32 v90, v92, 23, 8
	v_and_b32_e32 v94, 0x7fffff, v92
	v_sub_nc_u32_e32 v95, 0x70, v90
	v_cmp_gt_u32_e32 vcc_lo, 0x71, v90
	v_or_b32_e32 v104, 0x800000, v94
	v_cndmask_b32_e32 v95, 0, v95, vcc_lo
	v_cmp_eq_u32_e32 vcc_lo, 0, v90
	v_add_nc_u32_e32 v90, 0xffffff91, v90
	v_cndmask_b32_e64 v95, v95, 0x6f, vcc_lo
	v_cndmask_b32_e32 v94, v104, v94, vcc_lo
	v_cndmask_b32_e64 v90, v90, 0xffffff92, vcc_lo
	v_lshl_add_u32 v104, 0x200000, v95, -1
	v_lshrrev_b32_e32 v105, v95, v94
	v_lshlrev_b32_e64 v107, v95, 0x100000
	v_add_nc_u32_e32 v95, v95, v90
	v_and_b32_e32 v94, v104, v94
	v_bfe_u32 v106, v105, 21, 1
	v_cmp_eq_u32_e64 s17, v94, v107
	v_add_nc_u32_e32 v104, -1, v106
	v_cndmask_b32_e64 v94, 0, v104, s17
	v_lshrrev_b32_e32 v104, 23, v105
	s_mov_b32 s17, exec_lo
	v_add_nc_u32_e32 v94, v94, v105
	v_xor_b32_e32 v104, 1, v104
	v_and_b32_e32 v90, 0x1fffff, v94
	v_add_nc_u32_e32 v94, v90, v105
                                        ; implicit-def: $vgpr90
	v_cmpx_ne_u32_e64 v95, v104
	s_xor_b32 s17, exec_lo, s17
; %bb.2276:                             ;   in Loop: Header=BB2_1949 Depth=4
	v_cmp_lt_u32_e32 vcc_lo, 0xffffff, v94
	v_sub_nc_u32_e32 v90, v95, v104
	v_cndmask_b32_e64 v95, 0, 1, vcc_lo
	v_add_co_ci_u32_e64 v90, null, 0, v90, vcc_lo
	v_lshrrev_b32_e32 v94, v95, v94
; %bb.2277:                             ;   in Loop: Header=BB2_1949 Depth=4
	s_andn2_saveexec_b32 s17, s17
; %bb.2278:                             ;   in Loop: Header=BB2_1949 Depth=4
	v_bfe_u32 v90, v94, 23, 1
; %bb.2279:                             ;   in Loop: Header=BB2_1949 Depth=4
	s_or_b32 exec_lo, exec_lo, s17
	v_lshrrev_b32_e32 v94, 21, v94
	v_min_i32_e32 v95, 31, v90
	v_cmp_gt_i32_e32 vcc_lo, 32, v90
	v_and_b32_sdwa v92, v92, v98 dst_sel:DWORD dst_unused:UNUSED_PAD src0_sel:BYTE_3 src1_sel:DWORD
	v_lshlrev_b32_e32 v95, 2, v95
	v_cndmask_b32_e32 v94, 3, v94, vcc_lo
	v_and_b32_e32 v95, 0xfc, v95
	v_and_b32_e32 v104, 3, v94
	v_or_b32_e32 v90, v90, v94
	v_or3_b32 v92, v95, v92, v104
	v_cmp_ne_u32_e32 vcc_lo, 0, v90
	v_cndmask_b32_e32 v90, 0, v92, vcc_lo
.LBB2_2280:                             ;   in Loop: Header=BB2_1949 Depth=4
	s_or_b32 exec_lo, exec_lo, s75
.LBB2_2281:                             ;   in Loop: Header=BB2_1949 Depth=4
	s_or_b32 exec_lo, exec_lo, s74
	v_cmp_gt_i16_sdwa s74, v93, v97 src0_sel:BYTE_1 src1_sel:DWORD
	s_mov_b32 s17, 0
	s_and_saveexec_b32 s75, s74
	s_xor_b32 s74, exec_lo, s75
	s_cbranch_execz .LBB2_2551
; %bb.2282:                             ;   in Loop: Header=BB2_1949 Depth=4
	v_cmp_eq_u16_sdwa s76, v93, v98 src0_sel:BYTE_1 src1_sel:DWORD
	s_mov_b32 s17, -1
	s_and_saveexec_b32 s75, s76
; %bb.2283:                             ;   in Loop: Header=BB2_1949 Depth=4
	s_xor_b32 s17, exec_lo, -1
; %bb.2284:                             ;   in Loop: Header=BB2_1949 Depth=4
	s_or_b32 exec_lo, exec_lo, s75
	s_and_b32 s17, s17, exec_lo
	s_or_saveexec_b32 s74, s74
	v_mov_b32_e32 v92, 0x7f800001
	s_xor_b32 exec_lo, exec_lo, s74
	s_cbranch_execnz .LBB2_2552
.LBB2_2285:                             ;   in Loop: Header=BB2_1949 Depth=4
	s_or_b32 exec_lo, exec_lo, s74
	s_and_saveexec_b32 s74, s17
	s_cbranch_execz .LBB2_2287
.LBB2_2286:                             ;   in Loop: Header=BB2_1949 Depth=4
	v_and_b32_sdwa v92, v99, v93 dst_sel:DWORD dst_unused:UNUSED_PAD src0_sel:DWORD src1_sel:BYTE_1
	v_and_b32_e32 v94, 3, v92
	v_bfe_u32 v105, v92, 2, 5
	v_ffbh_u32_e32 v95, v94
	v_cmp_eq_u32_e32 vcc_lo, 0, v105
	v_min_u32_e32 v95, 32, v95
	v_subrev_nc_u32_e32 v104, 29, v95
	v_sub_nc_u32_e32 v95, 30, v95
	v_lshlrev_b32_e32 v92, v104, v92
	v_lshlrev_b32_sdwa v104, v100, v93 dst_sel:DWORD dst_unused:UNUSED_PAD src0_sel:DWORD src1_sel:BYTE_1
	v_cndmask_b32_e32 v95, v105, v95, vcc_lo
	v_and_b32_e32 v92, 3, v92
	v_lshl_add_u32 v95, v95, 23, 0x37800000
	v_cndmask_b32_e32 v92, v94, v92, vcc_lo
	v_and_b32_e32 v94, 0x80000000, v104
	v_lshlrev_b32_e32 v92, 21, v92
	v_or3_b32 v92, v94, v95, v92
.LBB2_2287:                             ;   in Loop: Header=BB2_1949 Depth=4
	s_or_b32 exec_lo, exec_lo, s74
	v_cmp_gt_i16_sdwa s74, v9, v97 src0_sel:BYTE_1 src1_sel:DWORD
	s_mov_b32 s17, 0
	s_and_saveexec_b32 s75, s74
	s_xor_b32 s74, exec_lo, s75
	s_cbranch_execz .LBB2_2553
; %bb.2288:                             ;   in Loop: Header=BB2_1949 Depth=4
	v_cmp_eq_u16_sdwa s76, v9, v98 src0_sel:BYTE_1 src1_sel:DWORD
	s_mov_b32 s17, -1
	s_and_saveexec_b32 s75, s76
; %bb.2289:                             ;   in Loop: Header=BB2_1949 Depth=4
	s_xor_b32 s17, exec_lo, -1
; %bb.2290:                             ;   in Loop: Header=BB2_1949 Depth=4
	s_or_b32 exec_lo, exec_lo, s75
	s_and_b32 s17, s17, exec_lo
	s_or_saveexec_b32 s74, s74
	v_mov_b32_e32 v94, 0x7f800001
	s_xor_b32 exec_lo, exec_lo, s74
	s_cbranch_execnz .LBB2_2554
.LBB2_2291:                             ;   in Loop: Header=BB2_1949 Depth=4
	s_or_b32 exec_lo, exec_lo, s74
	s_and_saveexec_b32 s74, s17
	s_cbranch_execz .LBB2_2293
.LBB2_2292:                             ;   in Loop: Header=BB2_1949 Depth=4
	v_and_b32_sdwa v94, v99, v9 dst_sel:DWORD dst_unused:UNUSED_PAD src0_sel:DWORD src1_sel:BYTE_1
	v_and_b32_e32 v95, 3, v94
	v_bfe_u32 v106, v94, 2, 5
	v_ffbh_u32_e32 v104, v95
	v_cmp_eq_u32_e32 vcc_lo, 0, v106
	v_min_u32_e32 v104, 32, v104
	v_subrev_nc_u32_e32 v105, 29, v104
	v_sub_nc_u32_e32 v104, 30, v104
	v_lshlrev_b32_e32 v94, v105, v94
	v_lshlrev_b32_sdwa v105, v100, v9 dst_sel:DWORD dst_unused:UNUSED_PAD src0_sel:DWORD src1_sel:BYTE_1
	v_cndmask_b32_e32 v104, v106, v104, vcc_lo
	v_and_b32_e32 v94, 3, v94
	v_lshl_add_u32 v104, v104, 23, 0x37800000
	v_cndmask_b32_e32 v94, v95, v94, vcc_lo
	v_and_b32_e32 v95, 0x80000000, v105
	v_lshlrev_b32_e32 v94, 21, v94
	v_or3_b32 v94, v95, v104, v94
.LBB2_2293:                             ;   in Loop: Header=BB2_1949 Depth=4
	s_or_b32 exec_lo, exec_lo, s74
	v_add_f32_e32 v94, v92, v94
	v_and_b32_e32 v92, 0x7f800000, v94
	v_cmp_ne_u32_e32 vcc_lo, 0x7f800000, v92
	v_mov_b32_e32 v92, 0x8000
	s_and_saveexec_b32 s74, vcc_lo
	s_cbranch_execz .LBB2_2301
; %bb.2294:                             ;   in Loop: Header=BB2_1949 Depth=4
	v_mov_b32_e32 v92, 0
	s_mov_b32 s75, exec_lo
	v_cmpx_ne_u32_e32 0, v94
	s_cbranch_execz .LBB2_2300
; %bb.2295:                             ;   in Loop: Header=BB2_1949 Depth=4
	v_bfe_u32 v92, v94, 23, 8
	v_and_b32_e32 v95, 0x7fffff, v94
	v_sub_nc_u32_e32 v104, 0x70, v92
	v_cmp_gt_u32_e32 vcc_lo, 0x71, v92
	v_or_b32_e32 v105, 0x800000, v95
	v_cndmask_b32_e32 v104, 0, v104, vcc_lo
	v_cmp_eq_u32_e32 vcc_lo, 0, v92
	v_add_nc_u32_e32 v92, 0xffffff91, v92
	v_cndmask_b32_e64 v104, v104, 0x6f, vcc_lo
	v_cndmask_b32_e32 v95, v105, v95, vcc_lo
	v_cndmask_b32_e64 v92, v92, 0xffffff92, vcc_lo
	v_lshl_add_u32 v105, 0x200000, v104, -1
	v_lshrrev_b32_e32 v106, v104, v95
	v_lshlrev_b32_e64 v108, v104, 0x100000
	v_add_nc_u32_e32 v104, v104, v92
	v_and_b32_e32 v95, v105, v95
	v_bfe_u32 v107, v106, 21, 1
	v_cmp_eq_u32_e64 s17, v95, v108
	v_add_nc_u32_e32 v105, -1, v107
	v_cndmask_b32_e64 v95, 0, v105, s17
	v_lshrrev_b32_e32 v105, 23, v106
	s_mov_b32 s17, exec_lo
	v_add_nc_u32_e32 v95, v95, v106
	v_xor_b32_e32 v105, 1, v105
	v_and_b32_e32 v92, 0x1fffff, v95
	v_add_nc_u32_e32 v95, v92, v106
                                        ; implicit-def: $vgpr92
	v_cmpx_ne_u32_e64 v104, v105
	s_xor_b32 s17, exec_lo, s17
; %bb.2296:                             ;   in Loop: Header=BB2_1949 Depth=4
	v_cmp_lt_u32_e32 vcc_lo, 0xffffff, v95
	v_sub_nc_u32_e32 v92, v104, v105
	v_cndmask_b32_e64 v104, 0, 1, vcc_lo
	v_add_co_ci_u32_e64 v92, null, 0, v92, vcc_lo
	v_lshrrev_b32_e32 v95, v104, v95
; %bb.2297:                             ;   in Loop: Header=BB2_1949 Depth=4
	s_andn2_saveexec_b32 s17, s17
; %bb.2298:                             ;   in Loop: Header=BB2_1949 Depth=4
	v_bfe_u32 v92, v95, 23, 1
; %bb.2299:                             ;   in Loop: Header=BB2_1949 Depth=4
	s_or_b32 exec_lo, exec_lo, s17
	v_lshrrev_b32_e32 v95, 21, v95
	v_min_i32_e32 v104, 31, v92
	v_cmp_gt_i32_e32 vcc_lo, 32, v92
	v_and_b32_sdwa v94, v94, v98 dst_sel:DWORD dst_unused:UNUSED_PAD src0_sel:BYTE_3 src1_sel:DWORD
	v_lshlrev_b32_e32 v104, 2, v104
	v_cndmask_b32_e32 v95, 3, v95, vcc_lo
	v_and_b32_e32 v104, 0xfc, v104
	v_and_b32_e32 v105, 3, v95
	v_or_b32_e32 v92, v92, v95
	v_or3_b32 v94, v94, v104, v105
	v_cmp_ne_u32_e32 vcc_lo, 0, v92
	v_lshlrev_b32_e32 v94, 8, v94
	v_cndmask_b32_e32 v92, 0, v94, vcc_lo
.LBB2_2300:                             ;   in Loop: Header=BB2_1949 Depth=4
	s_or_b32 exec_lo, exec_lo, s75
.LBB2_2301:                             ;   in Loop: Header=BB2_1949 Depth=4
	s_or_b32 exec_lo, exec_lo, s74
	v_or_b32_e32 v91, v91, v88
	s_mov_b32 s17, 0
	v_cmp_gt_i16_sdwa s74, v91, v97 src0_sel:BYTE_0 src1_sel:DWORD
	s_and_saveexec_b32 s75, s74
	s_xor_b32 s74, exec_lo, s75
	s_cbranch_execz .LBB2_2555
; %bb.2302:                             ;   in Loop: Header=BB2_1949 Depth=4
	v_cmp_eq_u16_sdwa s76, v91, v98 src0_sel:BYTE_0 src1_sel:DWORD
	s_mov_b32 s17, -1
	s_and_saveexec_b32 s75, s76
; %bb.2303:                             ;   in Loop: Header=BB2_1949 Depth=4
	s_xor_b32 s17, exec_lo, -1
; %bb.2304:                             ;   in Loop: Header=BB2_1949 Depth=4
	s_or_b32 exec_lo, exec_lo, s75
	s_and_b32 s17, s17, exec_lo
	s_or_saveexec_b32 s74, s74
	v_mov_b32_e32 v88, 0x7f800001
	s_xor_b32 exec_lo, exec_lo, s74
	s_cbranch_execnz .LBB2_2556
.LBB2_2305:                             ;   in Loop: Header=BB2_1949 Depth=4
	s_or_b32 exec_lo, exec_lo, s74
	v_lshl_or_b32 v91, v91, 16, v93
	s_and_saveexec_b32 s74, s17
	s_cbranch_execz .LBB2_2307
.LBB2_2306:                             ;   in Loop: Header=BB2_1949 Depth=4
	v_bfe_u32 v88, v91, 16, 2
	v_bfe_u32 v95, v91, 18, 5
	v_lshlrev_b32_e32 v104, 8, v91
	v_ffbh_u32_e32 v93, v88
	v_cmp_eq_u32_e32 vcc_lo, 0, v95
	v_min_u32_e32 v93, 32, v93
	v_subrev_nc_u32_e32 v94, 29, v93
	v_sub_nc_u32_e32 v93, 30, v93
	v_lshlrev_b32_sdwa v94, v94, v91 dst_sel:DWORD dst_unused:UNUSED_PAD src0_sel:DWORD src1_sel:WORD_1
	v_cndmask_b32_e32 v93, v95, v93, vcc_lo
	v_and_b32_e32 v94, 3, v94
	v_lshl_add_u32 v93, v93, 23, 0x37800000
	v_cndmask_b32_e32 v88, v88, v94, vcc_lo
	v_and_b32_e32 v94, 0x80000000, v104
	v_lshlrev_b32_e32 v88, 21, v88
	v_or3_b32 v88, v94, v93, v88
.LBB2_2307:                             ;   in Loop: Header=BB2_1949 Depth=4
	s_or_b32 exec_lo, exec_lo, s74
	v_and_b32_sdwa v94, v9, v101 dst_sel:DWORD dst_unused:UNUSED_PAD src0_sel:WORD_1 src1_sel:DWORD
	s_mov_b32 s17, 0
	s_mov_b32 s74, exec_lo
	v_cmpx_lt_i16_e32 0x7f, v94
	s_xor_b32 s74, exec_lo, s74
	s_cbranch_execz .LBB2_2557
; %bb.2308:                             ;   in Loop: Header=BB2_1949 Depth=4
	s_mov_b32 s17, -1
	s_mov_b32 s75, exec_lo
	v_cmpx_eq_u16_e32 0x80, v94
; %bb.2309:                             ;   in Loop: Header=BB2_1949 Depth=4
	s_xor_b32 s17, exec_lo, -1
; %bb.2310:                             ;   in Loop: Header=BB2_1949 Depth=4
	s_or_b32 exec_lo, exec_lo, s75
	s_and_b32 s17, s17, exec_lo
                                        ; implicit-def: $vgpr94
	s_or_saveexec_b32 s74, s74
	v_mov_b32_e32 v93, 0x7f800001
	s_xor_b32 exec_lo, exec_lo, s74
	s_cbranch_execnz .LBB2_2558
.LBB2_2311:                             ;   in Loop: Header=BB2_1949 Depth=4
	s_or_b32 exec_lo, exec_lo, s74
	s_and_saveexec_b32 s74, s17
	s_cbranch_execz .LBB2_2313
.LBB2_2312:                             ;   in Loop: Header=BB2_1949 Depth=4
	v_and_b32_sdwa v93, v9, v103 dst_sel:DWORD dst_unused:UNUSED_PAD src0_sel:WORD_1 src1_sel:DWORD
	v_bfe_u32 v104, v9, 18, 5
	v_lshlrev_b32_sdwa v105, v100, v9 dst_sel:DWORD dst_unused:UNUSED_PAD src0_sel:DWORD src1_sel:WORD_1
	v_ffbh_u32_e32 v94, v93
	v_cmp_eq_u32_e32 vcc_lo, 0, v104
	v_min_u32_e32 v94, 32, v94
	v_subrev_nc_u32_e32 v95, 29, v94
	v_sub_nc_u32_e32 v94, 30, v94
	v_lshlrev_b32_sdwa v95, v95, v9 dst_sel:DWORD dst_unused:UNUSED_PAD src0_sel:DWORD src1_sel:WORD_1
	v_cndmask_b32_e32 v94, v104, v94, vcc_lo
	v_and_b32_e32 v95, 3, v95
	v_lshl_add_u32 v94, v94, 23, 0x37800000
	v_cndmask_b32_e32 v93, v93, v95, vcc_lo
	v_and_b32_e32 v95, 0x80000000, v105
	v_lshlrev_b32_e32 v93, 21, v93
	v_or3_b32 v93, v95, v94, v93
.LBB2_2313:                             ;   in Loop: Header=BB2_1949 Depth=4
	s_or_b32 exec_lo, exec_lo, s74
	v_add_f32_e32 v93, v88, v93
	v_and_b32_e32 v88, 0x7f800000, v93
	v_cmp_ne_u32_e32 vcc_lo, 0x7f800000, v88
	v_mov_b32_e32 v88, 0x80
	s_and_saveexec_b32 s74, vcc_lo
	s_cbranch_execz .LBB2_2321
; %bb.2314:                             ;   in Loop: Header=BB2_1949 Depth=4
	v_mov_b32_e32 v88, 0
	s_mov_b32 s75, exec_lo
	v_cmpx_ne_u32_e32 0, v93
	s_cbranch_execz .LBB2_2320
; %bb.2315:                             ;   in Loop: Header=BB2_1949 Depth=4
	v_bfe_u32 v88, v93, 23, 8
	v_and_b32_e32 v94, 0x7fffff, v93
	v_sub_nc_u32_e32 v95, 0x70, v88
	v_cmp_gt_u32_e32 vcc_lo, 0x71, v88
	v_or_b32_e32 v104, 0x800000, v94
	v_cndmask_b32_e32 v95, 0, v95, vcc_lo
	v_cmp_eq_u32_e32 vcc_lo, 0, v88
	v_add_nc_u32_e32 v88, 0xffffff91, v88
	v_cndmask_b32_e64 v95, v95, 0x6f, vcc_lo
	v_cndmask_b32_e32 v94, v104, v94, vcc_lo
	v_cndmask_b32_e64 v88, v88, 0xffffff92, vcc_lo
	v_lshl_add_u32 v104, 0x200000, v95, -1
	v_lshrrev_b32_e32 v105, v95, v94
	v_lshlrev_b32_e64 v107, v95, 0x100000
	v_add_nc_u32_e32 v95, v95, v88
	v_and_b32_e32 v94, v104, v94
	v_bfe_u32 v106, v105, 21, 1
	v_cmp_eq_u32_e64 s17, v94, v107
	v_add_nc_u32_e32 v104, -1, v106
	v_cndmask_b32_e64 v94, 0, v104, s17
	v_lshrrev_b32_e32 v104, 23, v105
	s_mov_b32 s17, exec_lo
	v_add_nc_u32_e32 v94, v94, v105
	v_xor_b32_e32 v104, 1, v104
	v_and_b32_e32 v88, 0x1fffff, v94
	v_add_nc_u32_e32 v94, v88, v105
                                        ; implicit-def: $vgpr88
	v_cmpx_ne_u32_e64 v95, v104
	s_xor_b32 s17, exec_lo, s17
; %bb.2316:                             ;   in Loop: Header=BB2_1949 Depth=4
	v_cmp_lt_u32_e32 vcc_lo, 0xffffff, v94
	v_sub_nc_u32_e32 v88, v95, v104
	v_cndmask_b32_e64 v95, 0, 1, vcc_lo
	v_add_co_ci_u32_e64 v88, null, 0, v88, vcc_lo
	v_lshrrev_b32_e32 v94, v95, v94
; %bb.2317:                             ;   in Loop: Header=BB2_1949 Depth=4
	s_andn2_saveexec_b32 s17, s17
; %bb.2318:                             ;   in Loop: Header=BB2_1949 Depth=4
	v_bfe_u32 v88, v94, 23, 1
; %bb.2319:                             ;   in Loop: Header=BB2_1949 Depth=4
	s_or_b32 exec_lo, exec_lo, s17
	v_lshrrev_b32_e32 v94, 21, v94
	v_min_i32_e32 v95, 31, v88
	v_cmp_gt_i32_e32 vcc_lo, 32, v88
	v_and_b32_sdwa v93, v93, v98 dst_sel:DWORD dst_unused:UNUSED_PAD src0_sel:BYTE_3 src1_sel:DWORD
	v_lshlrev_b32_e32 v95, 2, v95
	v_cndmask_b32_e32 v94, 3, v94, vcc_lo
	v_and_b32_e32 v95, 0xfc, v95
	v_and_b32_e32 v104, 3, v94
	v_or_b32_e32 v88, v88, v94
	v_or3_b32 v93, v95, v93, v104
	v_cmp_ne_u32_e32 vcc_lo, 0, v88
	v_cndmask_b32_e32 v88, 0, v93, vcc_lo
.LBB2_2320:                             ;   in Loop: Header=BB2_1949 Depth=4
	s_or_b32 exec_lo, exec_lo, s75
.LBB2_2321:                             ;   in Loop: Header=BB2_1949 Depth=4
	s_or_b32 exec_lo, exec_lo, s74
	v_cmp_gt_i16_sdwa s74, v91, v97 src0_sel:BYTE_3 src1_sel:DWORD
	s_mov_b32 s17, 0
	s_and_saveexec_b32 s75, s74
	s_xor_b32 s74, exec_lo, s75
	s_cbranch_execz .LBB2_2559
; %bb.2322:                             ;   in Loop: Header=BB2_1949 Depth=4
	v_cmp_eq_u16_sdwa s76, v91, v98 src0_sel:BYTE_3 src1_sel:DWORD
	s_mov_b32 s17, -1
	s_and_saveexec_b32 s75, s76
; %bb.2323:                             ;   in Loop: Header=BB2_1949 Depth=4
	s_xor_b32 s17, exec_lo, -1
; %bb.2324:                             ;   in Loop: Header=BB2_1949 Depth=4
	s_or_b32 exec_lo, exec_lo, s75
	s_and_b32 s17, s17, exec_lo
	s_or_saveexec_b32 s74, s74
	v_mov_b32_e32 v93, 0x7f800001
	s_xor_b32 exec_lo, exec_lo, s74
	s_cbranch_execnz .LBB2_2560
.LBB2_2325:                             ;   in Loop: Header=BB2_1949 Depth=4
	s_or_b32 exec_lo, exec_lo, s74
	s_and_saveexec_b32 s74, s17
	s_cbranch_execz .LBB2_2327
.LBB2_2326:                             ;   in Loop: Header=BB2_1949 Depth=4
	v_bfe_u32 v93, v91, 24, 2
	v_bfe_u32 v104, v91, 26, 5
	v_ffbh_u32_e32 v94, v93
	v_cmp_eq_u32_e32 vcc_lo, 0, v104
	v_min_u32_e32 v94, 32, v94
	v_subrev_nc_u32_e32 v95, 29, v94
	v_sub_nc_u32_e32 v94, 30, v94
	v_lshlrev_b32_sdwa v95, v95, v91 dst_sel:DWORD dst_unused:UNUSED_PAD src0_sel:DWORD src1_sel:BYTE_3
	v_cndmask_b32_e32 v94, v104, v94, vcc_lo
	v_and_b32_e32 v91, 0x80000000, v91
	v_and_b32_e32 v95, 3, v95
	v_lshl_add_u32 v94, v94, 23, 0x37800000
	v_cndmask_b32_e32 v93, v93, v95, vcc_lo
	v_lshlrev_b32_e32 v93, 21, v93
	v_or3_b32 v93, v91, v94, v93
.LBB2_2327:                             ;   in Loop: Header=BB2_1949 Depth=4
	s_or_b32 exec_lo, exec_lo, s74
	v_cmp_gt_i16_sdwa s74, v9, v97 src0_sel:BYTE_3 src1_sel:DWORD
	s_mov_b32 s17, 0
	s_and_saveexec_b32 s75, s74
	s_xor_b32 s74, exec_lo, s75
	s_cbranch_execz .LBB2_2561
; %bb.2328:                             ;   in Loop: Header=BB2_1949 Depth=4
	v_cmp_eq_u16_sdwa s76, v9, v98 src0_sel:BYTE_3 src1_sel:DWORD
	s_mov_b32 s17, -1
	s_and_saveexec_b32 s75, s76
; %bb.2329:                             ;   in Loop: Header=BB2_1949 Depth=4
	s_xor_b32 s17, exec_lo, -1
; %bb.2330:                             ;   in Loop: Header=BB2_1949 Depth=4
	s_or_b32 exec_lo, exec_lo, s75
	s_and_b32 s17, s17, exec_lo
	s_or_saveexec_b32 s74, s74
	v_mov_b32_e32 v91, 0x7f800001
	s_xor_b32 exec_lo, exec_lo, s74
	s_cbranch_execnz .LBB2_2562
.LBB2_2331:                             ;   in Loop: Header=BB2_1949 Depth=4
	s_or_b32 exec_lo, exec_lo, s74
	s_and_saveexec_b32 s74, s17
	s_cbranch_execz .LBB2_2333
.LBB2_2332:                             ;   in Loop: Header=BB2_1949 Depth=4
	v_and_b32_sdwa v91, v9, v103 dst_sel:DWORD dst_unused:UNUSED_PAD src0_sel:BYTE_3 src1_sel:DWORD
	v_bfe_u32 v104, v9, 26, 5
	v_ffbh_u32_e32 v94, v91
	v_cmp_eq_u32_e32 vcc_lo, 0, v104
	v_min_u32_e32 v94, 32, v94
	v_subrev_nc_u32_e32 v95, 29, v94
	v_sub_nc_u32_e32 v94, 30, v94
	v_lshlrev_b32_sdwa v95, v95, v9 dst_sel:DWORD dst_unused:UNUSED_PAD src0_sel:DWORD src1_sel:BYTE_3
	v_cndmask_b32_e32 v94, v104, v94, vcc_lo
	v_and_b32_e32 v9, 0x80000000, v9
	v_and_b32_e32 v95, 3, v95
	v_lshl_add_u32 v94, v94, 23, 0x37800000
	v_cndmask_b32_e32 v91, v91, v95, vcc_lo
	v_lshlrev_b32_e32 v91, 21, v91
	v_or3_b32 v91, v9, v94, v91
.LBB2_2333:                             ;   in Loop: Header=BB2_1949 Depth=4
	s_or_b32 exec_lo, exec_lo, s74
	v_add_f32_e32 v91, v93, v91
	v_and_b32_e32 v9, 0x7f800000, v91
	v_cmp_ne_u32_e32 vcc_lo, 0x7f800000, v9
	v_mov_b32_e32 v9, 0x8000
	s_and_saveexec_b32 s74, vcc_lo
	s_cbranch_execz .LBB2_2341
; %bb.2334:                             ;   in Loop: Header=BB2_1949 Depth=4
	v_mov_b32_e32 v9, 0
	s_mov_b32 s75, exec_lo
	v_cmpx_ne_u32_e32 0, v91
	s_cbranch_execz .LBB2_2340
; %bb.2335:                             ;   in Loop: Header=BB2_1949 Depth=4
	v_bfe_u32 v9, v91, 23, 8
	v_and_b32_e32 v93, 0x7fffff, v91
	v_sub_nc_u32_e32 v94, 0x70, v9
	v_cmp_gt_u32_e32 vcc_lo, 0x71, v9
	v_or_b32_e32 v95, 0x800000, v93
	v_cndmask_b32_e32 v94, 0, v94, vcc_lo
	v_cmp_eq_u32_e32 vcc_lo, 0, v9
	v_add_nc_u32_e32 v9, 0xffffff91, v9
	v_cndmask_b32_e64 v94, v94, 0x6f, vcc_lo
	v_cndmask_b32_e32 v93, v95, v93, vcc_lo
	v_cndmask_b32_e64 v9, v9, 0xffffff92, vcc_lo
	v_lshl_add_u32 v95, 0x200000, v94, -1
	v_lshrrev_b32_e32 v104, v94, v93
	v_lshlrev_b32_e64 v106, v94, 0x100000
	v_add_nc_u32_e32 v94, v94, v9
	v_and_b32_e32 v93, v95, v93
	v_bfe_u32 v105, v104, 21, 1
	v_cmp_eq_u32_e64 s17, v93, v106
	v_add_nc_u32_e32 v95, -1, v105
	v_cndmask_b32_e64 v93, 0, v95, s17
	v_lshrrev_b32_e32 v95, 23, v104
	s_mov_b32 s17, exec_lo
	v_add_nc_u32_e32 v93, v93, v104
	v_xor_b32_e32 v95, 1, v95
	v_and_b32_e32 v9, 0x1fffff, v93
	v_add_nc_u32_e32 v93, v9, v104
                                        ; implicit-def: $vgpr9
	v_cmpx_ne_u32_e64 v94, v95
	s_xor_b32 s17, exec_lo, s17
; %bb.2336:                             ;   in Loop: Header=BB2_1949 Depth=4
	v_cmp_lt_u32_e32 vcc_lo, 0xffffff, v93
	v_sub_nc_u32_e32 v9, v94, v95
	v_cndmask_b32_e64 v94, 0, 1, vcc_lo
	v_add_co_ci_u32_e64 v9, null, 0, v9, vcc_lo
	v_lshrrev_b32_e32 v93, v94, v93
; %bb.2337:                             ;   in Loop: Header=BB2_1949 Depth=4
	s_andn2_saveexec_b32 s17, s17
; %bb.2338:                             ;   in Loop: Header=BB2_1949 Depth=4
	v_bfe_u32 v9, v93, 23, 1
; %bb.2339:                             ;   in Loop: Header=BB2_1949 Depth=4
	s_or_b32 exec_lo, exec_lo, s17
	v_lshrrev_b32_e32 v93, 21, v93
	v_min_i32_e32 v94, 31, v9
	v_cmp_gt_i32_e32 vcc_lo, 32, v9
	v_and_b32_sdwa v91, v91, v98 dst_sel:DWORD dst_unused:UNUSED_PAD src0_sel:BYTE_3 src1_sel:DWORD
	v_lshlrev_b32_e32 v94, 2, v94
	v_cndmask_b32_e32 v93, 3, v93, vcc_lo
	v_and_b32_e32 v94, 0xfc, v94
	v_and_b32_e32 v95, 3, v93
	v_or_b32_e32 v9, v9, v93
	v_or3_b32 v91, v91, v94, v95
	v_cmp_ne_u32_e32 vcc_lo, 0, v9
	v_lshlrev_b32_e32 v91, 8, v91
	v_cndmask_b32_e32 v9, 0, v91, vcc_lo
.LBB2_2340:                             ;   in Loop: Header=BB2_1949 Depth=4
	s_or_b32 exec_lo, exec_lo, s75
.LBB2_2341:                             ;   in Loop: Header=BB2_1949 Depth=4
	s_or_b32 exec_lo, exec_lo, s74
	v_or_b32_e32 v91, v89, v77
	s_mov_b32 s17, 0
	v_cmp_gt_i16_sdwa s74, v91, v97 src0_sel:BYTE_0 src1_sel:DWORD
	s_and_saveexec_b32 s75, s74
	s_xor_b32 s74, exec_lo, s75
	s_cbranch_execz .LBB2_2563
; %bb.2342:                             ;   in Loop: Header=BB2_1949 Depth=4
	v_cmp_eq_u16_sdwa s76, v91, v98 src0_sel:BYTE_0 src1_sel:DWORD
	s_mov_b32 s17, -1
	s_and_saveexec_b32 s75, s76
; %bb.2343:                             ;   in Loop: Header=BB2_1949 Depth=4
	s_xor_b32 s17, exec_lo, -1
; %bb.2344:                             ;   in Loop: Header=BB2_1949 Depth=4
	s_or_b32 exec_lo, exec_lo, s75
	s_and_b32 s17, s17, exec_lo
	s_or_saveexec_b32 s74, s74
	v_mov_b32_e32 v77, 0x7f800001
	s_xor_b32 exec_lo, exec_lo, s74
	s_cbranch_execnz .LBB2_2564
.LBB2_2345:                             ;   in Loop: Header=BB2_1949 Depth=4
	s_or_b32 exec_lo, exec_lo, s74
	s_and_saveexec_b32 s74, s17
	s_cbranch_execz .LBB2_2347
.LBB2_2346:                             ;   in Loop: Header=BB2_1949 Depth=4
	v_and_b32_e32 v77, 3, v91
	v_bfe_u32 v94, v91, 2, 5
	v_lshlrev_b32_e32 v95, 24, v91
	v_ffbh_u32_e32 v89, v77
	v_cmp_eq_u32_e32 vcc_lo, 0, v94
	v_min_u32_e32 v89, 32, v89
	v_subrev_nc_u32_e32 v93, 29, v89
	v_sub_nc_u32_e32 v89, 30, v89
	v_lshlrev_b32_e32 v93, v93, v91
	v_cndmask_b32_e32 v89, v94, v89, vcc_lo
	v_and_b32_e32 v93, 3, v93
	v_lshl_add_u32 v89, v89, 23, 0x37800000
	v_cndmask_b32_e32 v77, v77, v93, vcc_lo
	v_and_b32_e32 v93, 0x80000000, v95
	v_lshlrev_b32_e32 v77, 21, v77
	v_or3_b32 v77, v93, v89, v77
.LBB2_2347:                             ;   in Loop: Header=BB2_1949 Depth=4
	s_or_b32 exec_lo, exec_lo, s74
	v_cmp_gt_i16_sdwa s74, v10, v97 src0_sel:BYTE_0 src1_sel:DWORD
	s_mov_b32 s17, 0
	s_and_saveexec_b32 s75, s74
	s_xor_b32 s74, exec_lo, s75
	s_cbranch_execz .LBB2_2565
; %bb.2348:                             ;   in Loop: Header=BB2_1949 Depth=4
	v_cmp_eq_u16_sdwa s76, v10, v98 src0_sel:BYTE_0 src1_sel:DWORD
	s_mov_b32 s17, -1
	s_and_saveexec_b32 s75, s76
; %bb.2349:                             ;   in Loop: Header=BB2_1949 Depth=4
	s_xor_b32 s17, exec_lo, -1
; %bb.2350:                             ;   in Loop: Header=BB2_1949 Depth=4
	s_or_b32 exec_lo, exec_lo, s75
	s_and_b32 s17, s17, exec_lo
	s_or_saveexec_b32 s74, s74
	v_mov_b32_e32 v89, 0x7f800001
	s_xor_b32 exec_lo, exec_lo, s74
	s_cbranch_execnz .LBB2_2566
.LBB2_2351:                             ;   in Loop: Header=BB2_1949 Depth=4
	s_or_b32 exec_lo, exec_lo, s74
	s_and_saveexec_b32 s74, s17
	s_cbranch_execz .LBB2_2353
.LBB2_2352:                             ;   in Loop: Header=BB2_1949 Depth=4
	v_and_b32_e32 v89, 3, v10
	v_bfe_u32 v95, v10, 2, 5
	v_lshlrev_b32_e32 v104, 24, v10
	v_ffbh_u32_e32 v93, v89
	v_cmp_eq_u32_e32 vcc_lo, 0, v95
	v_min_u32_e32 v93, 32, v93
	v_subrev_nc_u32_e32 v94, 29, v93
	v_sub_nc_u32_e32 v93, 30, v93
	v_lshlrev_b32_e32 v94, v94, v10
	v_cndmask_b32_e32 v93, v95, v93, vcc_lo
	v_and_b32_e32 v94, 3, v94
	v_lshl_add_u32 v93, v93, 23, 0x37800000
	v_cndmask_b32_e32 v89, v89, v94, vcc_lo
	v_and_b32_e32 v94, 0x80000000, v104
	v_lshlrev_b32_e32 v89, 21, v89
	v_or3_b32 v89, v94, v93, v89
.LBB2_2353:                             ;   in Loop: Header=BB2_1949 Depth=4
	s_or_b32 exec_lo, exec_lo, s74
	v_add_f32_e32 v89, v77, v89
	v_and_b32_e32 v77, 0x7f800000, v89
	v_cmp_ne_u32_e32 vcc_lo, 0x7f800000, v77
	v_mov_b32_e32 v77, 0x80
	s_and_saveexec_b32 s74, vcc_lo
	s_cbranch_execz .LBB2_2361
; %bb.2354:                             ;   in Loop: Header=BB2_1949 Depth=4
	v_mov_b32_e32 v77, 0
	s_mov_b32 s75, exec_lo
	v_cmpx_ne_u32_e32 0, v89
	s_cbranch_execz .LBB2_2360
; %bb.2355:                             ;   in Loop: Header=BB2_1949 Depth=4
	v_bfe_u32 v77, v89, 23, 8
	v_and_b32_e32 v93, 0x7fffff, v89
	v_sub_nc_u32_e32 v94, 0x70, v77
	v_cmp_gt_u32_e32 vcc_lo, 0x71, v77
	v_or_b32_e32 v95, 0x800000, v93
	v_cndmask_b32_e32 v94, 0, v94, vcc_lo
	v_cmp_eq_u32_e32 vcc_lo, 0, v77
	v_add_nc_u32_e32 v77, 0xffffff91, v77
	v_cndmask_b32_e64 v94, v94, 0x6f, vcc_lo
	v_cndmask_b32_e32 v93, v95, v93, vcc_lo
	v_cndmask_b32_e64 v77, v77, 0xffffff92, vcc_lo
	v_lshl_add_u32 v95, 0x200000, v94, -1
	v_lshrrev_b32_e32 v104, v94, v93
	v_lshlrev_b32_e64 v106, v94, 0x100000
	v_add_nc_u32_e32 v94, v94, v77
	v_and_b32_e32 v93, v95, v93
	v_bfe_u32 v105, v104, 21, 1
	v_cmp_eq_u32_e64 s17, v93, v106
	v_add_nc_u32_e32 v95, -1, v105
	v_cndmask_b32_e64 v93, 0, v95, s17
	v_lshrrev_b32_e32 v95, 23, v104
	s_mov_b32 s17, exec_lo
	v_add_nc_u32_e32 v93, v93, v104
	v_xor_b32_e32 v95, 1, v95
	v_and_b32_e32 v77, 0x1fffff, v93
	v_add_nc_u32_e32 v93, v77, v104
                                        ; implicit-def: $vgpr77
	v_cmpx_ne_u32_e64 v94, v95
	s_xor_b32 s17, exec_lo, s17
; %bb.2356:                             ;   in Loop: Header=BB2_1949 Depth=4
	v_cmp_lt_u32_e32 vcc_lo, 0xffffff, v93
	v_sub_nc_u32_e32 v77, v94, v95
	v_cndmask_b32_e64 v94, 0, 1, vcc_lo
	v_add_co_ci_u32_e64 v77, null, 0, v77, vcc_lo
	v_lshrrev_b32_e32 v93, v94, v93
; %bb.2357:                             ;   in Loop: Header=BB2_1949 Depth=4
	s_andn2_saveexec_b32 s17, s17
; %bb.2358:                             ;   in Loop: Header=BB2_1949 Depth=4
	v_bfe_u32 v77, v93, 23, 1
; %bb.2359:                             ;   in Loop: Header=BB2_1949 Depth=4
	s_or_b32 exec_lo, exec_lo, s17
	v_lshrrev_b32_e32 v93, 21, v93
	v_min_i32_e32 v94, 31, v77
	v_cmp_gt_i32_e32 vcc_lo, 32, v77
	v_and_b32_sdwa v89, v89, v98 dst_sel:DWORD dst_unused:UNUSED_PAD src0_sel:BYTE_3 src1_sel:DWORD
	v_lshlrev_b32_e32 v94, 2, v94
	v_cndmask_b32_e32 v93, 3, v93, vcc_lo
	v_and_b32_e32 v94, 0xfc, v94
	v_and_b32_e32 v95, 3, v93
	v_or_b32_e32 v77, v77, v93
	v_or3_b32 v89, v94, v89, v95
	v_cmp_ne_u32_e32 vcc_lo, 0, v77
	v_cndmask_b32_e32 v77, 0, v89, vcc_lo
.LBB2_2360:                             ;   in Loop: Header=BB2_1949 Depth=4
	s_or_b32 exec_lo, exec_lo, s75
.LBB2_2361:                             ;   in Loop: Header=BB2_1949 Depth=4
	s_or_b32 exec_lo, exec_lo, s74
	v_cmp_gt_i16_sdwa s74, v91, v97 src0_sel:BYTE_1 src1_sel:DWORD
	s_mov_b32 s17, 0
	s_and_saveexec_b32 s75, s74
	s_xor_b32 s74, exec_lo, s75
	s_cbranch_execz .LBB2_2567
; %bb.2362:                             ;   in Loop: Header=BB2_1949 Depth=4
	v_cmp_eq_u16_sdwa s76, v91, v98 src0_sel:BYTE_1 src1_sel:DWORD
	s_mov_b32 s17, -1
	s_and_saveexec_b32 s75, s76
; %bb.2363:                             ;   in Loop: Header=BB2_1949 Depth=4
	s_xor_b32 s17, exec_lo, -1
; %bb.2364:                             ;   in Loop: Header=BB2_1949 Depth=4
	s_or_b32 exec_lo, exec_lo, s75
	s_and_b32 s17, s17, exec_lo
	s_or_saveexec_b32 s74, s74
	v_mov_b32_e32 v89, 0x7f800001
	s_xor_b32 exec_lo, exec_lo, s74
	s_cbranch_execnz .LBB2_2568
.LBB2_2365:                             ;   in Loop: Header=BB2_1949 Depth=4
	s_or_b32 exec_lo, exec_lo, s74
	s_and_saveexec_b32 s74, s17
	s_cbranch_execz .LBB2_2367
.LBB2_2366:                             ;   in Loop: Header=BB2_1949 Depth=4
	v_and_b32_sdwa v89, v99, v91 dst_sel:DWORD dst_unused:UNUSED_PAD src0_sel:DWORD src1_sel:BYTE_1
	v_and_b32_e32 v93, 3, v89
	v_bfe_u32 v104, v89, 2, 5
	v_ffbh_u32_e32 v94, v93
	v_cmp_eq_u32_e32 vcc_lo, 0, v104
	v_min_u32_e32 v94, 32, v94
	v_subrev_nc_u32_e32 v95, 29, v94
	v_sub_nc_u32_e32 v94, 30, v94
	v_lshlrev_b32_e32 v89, v95, v89
	v_lshlrev_b32_sdwa v95, v100, v91 dst_sel:DWORD dst_unused:UNUSED_PAD src0_sel:DWORD src1_sel:BYTE_1
	v_cndmask_b32_e32 v94, v104, v94, vcc_lo
	v_and_b32_e32 v89, 3, v89
	v_lshl_add_u32 v94, v94, 23, 0x37800000
	v_cndmask_b32_e32 v89, v93, v89, vcc_lo
	v_and_b32_e32 v93, 0x80000000, v95
	v_lshlrev_b32_e32 v89, 21, v89
	v_or3_b32 v89, v93, v94, v89
.LBB2_2367:                             ;   in Loop: Header=BB2_1949 Depth=4
	s_or_b32 exec_lo, exec_lo, s74
	v_cmp_gt_i16_sdwa s74, v10, v97 src0_sel:BYTE_1 src1_sel:DWORD
	s_mov_b32 s17, 0
	s_and_saveexec_b32 s75, s74
	s_xor_b32 s74, exec_lo, s75
	s_cbranch_execz .LBB2_2569
; %bb.2368:                             ;   in Loop: Header=BB2_1949 Depth=4
	v_cmp_eq_u16_sdwa s76, v10, v98 src0_sel:BYTE_1 src1_sel:DWORD
	s_mov_b32 s17, -1
	s_and_saveexec_b32 s75, s76
; %bb.2369:                             ;   in Loop: Header=BB2_1949 Depth=4
	s_xor_b32 s17, exec_lo, -1
; %bb.2370:                             ;   in Loop: Header=BB2_1949 Depth=4
	s_or_b32 exec_lo, exec_lo, s75
	s_and_b32 s17, s17, exec_lo
	s_or_saveexec_b32 s74, s74
	v_mov_b32_e32 v93, 0x7f800001
	s_xor_b32 exec_lo, exec_lo, s74
	s_cbranch_execnz .LBB2_2570
.LBB2_2371:                             ;   in Loop: Header=BB2_1949 Depth=4
	s_or_b32 exec_lo, exec_lo, s74
	s_and_saveexec_b32 s74, s17
	s_cbranch_execz .LBB2_2373
.LBB2_2372:                             ;   in Loop: Header=BB2_1949 Depth=4
	v_and_b32_sdwa v93, v99, v10 dst_sel:DWORD dst_unused:UNUSED_PAD src0_sel:DWORD src1_sel:BYTE_1
	v_and_b32_e32 v94, 3, v93
	v_bfe_u32 v105, v93, 2, 5
	v_ffbh_u32_e32 v95, v94
	v_cmp_eq_u32_e32 vcc_lo, 0, v105
	v_min_u32_e32 v95, 32, v95
	v_subrev_nc_u32_e32 v104, 29, v95
	v_sub_nc_u32_e32 v95, 30, v95
	v_lshlrev_b32_e32 v93, v104, v93
	v_lshlrev_b32_sdwa v104, v100, v10 dst_sel:DWORD dst_unused:UNUSED_PAD src0_sel:DWORD src1_sel:BYTE_1
	v_cndmask_b32_e32 v95, v105, v95, vcc_lo
	v_and_b32_e32 v93, 3, v93
	v_lshl_add_u32 v95, v95, 23, 0x37800000
	v_cndmask_b32_e32 v93, v94, v93, vcc_lo
	v_and_b32_e32 v94, 0x80000000, v104
	v_lshlrev_b32_e32 v93, 21, v93
	v_or3_b32 v93, v94, v95, v93
.LBB2_2373:                             ;   in Loop: Header=BB2_1949 Depth=4
	s_or_b32 exec_lo, exec_lo, s74
	v_add_f32_e32 v93, v89, v93
	v_and_b32_e32 v89, 0x7f800000, v93
	v_cmp_ne_u32_e32 vcc_lo, 0x7f800000, v89
	v_mov_b32_e32 v89, 0x8000
	s_and_saveexec_b32 s74, vcc_lo
	s_cbranch_execz .LBB2_2381
; %bb.2374:                             ;   in Loop: Header=BB2_1949 Depth=4
	v_mov_b32_e32 v89, 0
	s_mov_b32 s75, exec_lo
	v_cmpx_ne_u32_e32 0, v93
	s_cbranch_execz .LBB2_2380
; %bb.2375:                             ;   in Loop: Header=BB2_1949 Depth=4
	v_bfe_u32 v89, v93, 23, 8
	v_and_b32_e32 v94, 0x7fffff, v93
	v_sub_nc_u32_e32 v95, 0x70, v89
	v_cmp_gt_u32_e32 vcc_lo, 0x71, v89
	v_or_b32_e32 v104, 0x800000, v94
	v_cndmask_b32_e32 v95, 0, v95, vcc_lo
	v_cmp_eq_u32_e32 vcc_lo, 0, v89
	v_add_nc_u32_e32 v89, 0xffffff91, v89
	v_cndmask_b32_e64 v95, v95, 0x6f, vcc_lo
	v_cndmask_b32_e32 v94, v104, v94, vcc_lo
	v_cndmask_b32_e64 v89, v89, 0xffffff92, vcc_lo
	v_lshl_add_u32 v104, 0x200000, v95, -1
	v_lshrrev_b32_e32 v105, v95, v94
	v_lshlrev_b32_e64 v107, v95, 0x100000
	v_add_nc_u32_e32 v95, v95, v89
	v_and_b32_e32 v94, v104, v94
	v_bfe_u32 v106, v105, 21, 1
	v_cmp_eq_u32_e64 s17, v94, v107
	v_add_nc_u32_e32 v104, -1, v106
	v_cndmask_b32_e64 v94, 0, v104, s17
	v_lshrrev_b32_e32 v104, 23, v105
	s_mov_b32 s17, exec_lo
	v_add_nc_u32_e32 v94, v94, v105
	v_xor_b32_e32 v104, 1, v104
	v_and_b32_e32 v89, 0x1fffff, v94
	v_add_nc_u32_e32 v94, v89, v105
                                        ; implicit-def: $vgpr89
	v_cmpx_ne_u32_e64 v95, v104
	s_xor_b32 s17, exec_lo, s17
; %bb.2376:                             ;   in Loop: Header=BB2_1949 Depth=4
	v_cmp_lt_u32_e32 vcc_lo, 0xffffff, v94
	v_sub_nc_u32_e32 v89, v95, v104
	v_cndmask_b32_e64 v95, 0, 1, vcc_lo
	v_add_co_ci_u32_e64 v89, null, 0, v89, vcc_lo
	v_lshrrev_b32_e32 v94, v95, v94
; %bb.2377:                             ;   in Loop: Header=BB2_1949 Depth=4
	s_andn2_saveexec_b32 s17, s17
; %bb.2378:                             ;   in Loop: Header=BB2_1949 Depth=4
	v_bfe_u32 v89, v94, 23, 1
; %bb.2379:                             ;   in Loop: Header=BB2_1949 Depth=4
	s_or_b32 exec_lo, exec_lo, s17
	v_lshrrev_b32_e32 v94, 21, v94
	v_min_i32_e32 v95, 31, v89
	v_cmp_gt_i32_e32 vcc_lo, 32, v89
	v_and_b32_sdwa v93, v93, v98 dst_sel:DWORD dst_unused:UNUSED_PAD src0_sel:BYTE_3 src1_sel:DWORD
	v_lshlrev_b32_e32 v95, 2, v95
	v_cndmask_b32_e32 v94, 3, v94, vcc_lo
	v_and_b32_e32 v95, 0xfc, v95
	v_and_b32_e32 v104, 3, v94
	v_or_b32_e32 v89, v89, v94
	v_or3_b32 v93, v93, v95, v104
	v_cmp_ne_u32_e32 vcc_lo, 0, v89
	v_lshlrev_b32_e32 v93, 8, v93
	v_cndmask_b32_e32 v89, 0, v93, vcc_lo
.LBB2_2380:                             ;   in Loop: Header=BB2_1949 Depth=4
	s_or_b32 exec_lo, exec_lo, s75
.LBB2_2381:                             ;   in Loop: Header=BB2_1949 Depth=4
	s_or_b32 exec_lo, exec_lo, s74
	v_or_b32_e32 v79, v79, v75
	s_mov_b32 s17, 0
	v_cmp_gt_i16_sdwa s74, v79, v97 src0_sel:BYTE_0 src1_sel:DWORD
	s_and_saveexec_b32 s75, s74
	s_xor_b32 s74, exec_lo, s75
	s_cbranch_execz .LBB2_2571
; %bb.2382:                             ;   in Loop: Header=BB2_1949 Depth=4
	v_cmp_eq_u16_sdwa s76, v79, v98 src0_sel:BYTE_0 src1_sel:DWORD
	s_mov_b32 s17, -1
	s_and_saveexec_b32 s75, s76
; %bb.2383:                             ;   in Loop: Header=BB2_1949 Depth=4
	s_xor_b32 s17, exec_lo, -1
; %bb.2384:                             ;   in Loop: Header=BB2_1949 Depth=4
	s_or_b32 exec_lo, exec_lo, s75
	s_and_b32 s17, s17, exec_lo
	s_or_saveexec_b32 s74, s74
	v_mov_b32_e32 v75, 0x7f800001
	s_xor_b32 exec_lo, exec_lo, s74
	s_cbranch_execnz .LBB2_2572
.LBB2_2385:                             ;   in Loop: Header=BB2_1949 Depth=4
	s_or_b32 exec_lo, exec_lo, s74
	v_lshl_or_b32 v79, v79, 16, v91
	s_and_saveexec_b32 s74, s17
	s_cbranch_execz .LBB2_2387
.LBB2_2386:                             ;   in Loop: Header=BB2_1949 Depth=4
	v_bfe_u32 v75, v79, 16, 2
	v_bfe_u32 v94, v79, 18, 5
	v_lshlrev_b32_e32 v95, 8, v79
	v_ffbh_u32_e32 v91, v75
	v_cmp_eq_u32_e32 vcc_lo, 0, v94
	v_min_u32_e32 v91, 32, v91
	v_subrev_nc_u32_e32 v93, 29, v91
	v_sub_nc_u32_e32 v91, 30, v91
	v_lshlrev_b32_sdwa v93, v93, v79 dst_sel:DWORD dst_unused:UNUSED_PAD src0_sel:DWORD src1_sel:WORD_1
	v_cndmask_b32_e32 v91, v94, v91, vcc_lo
	v_and_b32_e32 v93, 3, v93
	v_lshl_add_u32 v91, v91, 23, 0x37800000
	v_cndmask_b32_e32 v75, v75, v93, vcc_lo
	v_and_b32_e32 v93, 0x80000000, v95
	v_lshlrev_b32_e32 v75, 21, v75
	v_or3_b32 v75, v93, v91, v75
.LBB2_2387:                             ;   in Loop: Header=BB2_1949 Depth=4
	s_or_b32 exec_lo, exec_lo, s74
	v_and_b32_sdwa v93, v10, v101 dst_sel:DWORD dst_unused:UNUSED_PAD src0_sel:WORD_1 src1_sel:DWORD
	s_mov_b32 s17, 0
	s_mov_b32 s74, exec_lo
	v_cmpx_lt_i16_e32 0x7f, v93
	s_xor_b32 s74, exec_lo, s74
	s_cbranch_execz .LBB2_2573
; %bb.2388:                             ;   in Loop: Header=BB2_1949 Depth=4
	s_mov_b32 s17, -1
	s_mov_b32 s75, exec_lo
	v_cmpx_eq_u16_e32 0x80, v93
; %bb.2389:                             ;   in Loop: Header=BB2_1949 Depth=4
	s_xor_b32 s17, exec_lo, -1
; %bb.2390:                             ;   in Loop: Header=BB2_1949 Depth=4
	s_or_b32 exec_lo, exec_lo, s75
	s_and_b32 s17, s17, exec_lo
                                        ; implicit-def: $vgpr93
	s_or_saveexec_b32 s74, s74
	v_mov_b32_e32 v91, 0x7f800001
	s_xor_b32 exec_lo, exec_lo, s74
	s_cbranch_execnz .LBB2_2574
.LBB2_2391:                             ;   in Loop: Header=BB2_1949 Depth=4
	s_or_b32 exec_lo, exec_lo, s74
	s_and_saveexec_b32 s74, s17
	s_cbranch_execz .LBB2_2393
.LBB2_2392:                             ;   in Loop: Header=BB2_1949 Depth=4
	v_and_b32_sdwa v91, v10, v103 dst_sel:DWORD dst_unused:UNUSED_PAD src0_sel:WORD_1 src1_sel:DWORD
	v_bfe_u32 v95, v10, 18, 5
	v_lshlrev_b32_sdwa v104, v100, v10 dst_sel:DWORD dst_unused:UNUSED_PAD src0_sel:DWORD src1_sel:WORD_1
	v_ffbh_u32_e32 v93, v91
	v_cmp_eq_u32_e32 vcc_lo, 0, v95
	v_min_u32_e32 v93, 32, v93
	v_subrev_nc_u32_e32 v94, 29, v93
	v_sub_nc_u32_e32 v93, 30, v93
	v_lshlrev_b32_sdwa v94, v94, v10 dst_sel:DWORD dst_unused:UNUSED_PAD src0_sel:DWORD src1_sel:WORD_1
	v_cndmask_b32_e32 v93, v95, v93, vcc_lo
	v_and_b32_e32 v94, 3, v94
	v_lshl_add_u32 v93, v93, 23, 0x37800000
	v_cndmask_b32_e32 v91, v91, v94, vcc_lo
	v_and_b32_e32 v94, 0x80000000, v104
	v_lshlrev_b32_e32 v91, 21, v91
	v_or3_b32 v91, v94, v93, v91
.LBB2_2393:                             ;   in Loop: Header=BB2_1949 Depth=4
	s_or_b32 exec_lo, exec_lo, s74
	v_add_f32_e32 v91, v75, v91
	v_and_b32_e32 v75, 0x7f800000, v91
	v_cmp_ne_u32_e32 vcc_lo, 0x7f800000, v75
	v_mov_b32_e32 v75, 0x80
	s_and_saveexec_b32 s74, vcc_lo
	s_cbranch_execz .LBB2_2401
; %bb.2394:                             ;   in Loop: Header=BB2_1949 Depth=4
	v_mov_b32_e32 v75, 0
	s_mov_b32 s75, exec_lo
	v_cmpx_ne_u32_e32 0, v91
	s_cbranch_execz .LBB2_2400
; %bb.2395:                             ;   in Loop: Header=BB2_1949 Depth=4
	v_bfe_u32 v75, v91, 23, 8
	v_and_b32_e32 v93, 0x7fffff, v91
	v_sub_nc_u32_e32 v94, 0x70, v75
	v_cmp_gt_u32_e32 vcc_lo, 0x71, v75
	v_or_b32_e32 v95, 0x800000, v93
	v_cndmask_b32_e32 v94, 0, v94, vcc_lo
	v_cmp_eq_u32_e32 vcc_lo, 0, v75
	v_add_nc_u32_e32 v75, 0xffffff91, v75
	v_cndmask_b32_e64 v94, v94, 0x6f, vcc_lo
	v_cndmask_b32_e32 v93, v95, v93, vcc_lo
	v_cndmask_b32_e64 v75, v75, 0xffffff92, vcc_lo
	v_lshl_add_u32 v95, 0x200000, v94, -1
	v_lshrrev_b32_e32 v104, v94, v93
	v_lshlrev_b32_e64 v106, v94, 0x100000
	v_add_nc_u32_e32 v94, v94, v75
	v_and_b32_e32 v93, v95, v93
	v_bfe_u32 v105, v104, 21, 1
	v_cmp_eq_u32_e64 s17, v93, v106
	v_add_nc_u32_e32 v95, -1, v105
	v_cndmask_b32_e64 v93, 0, v95, s17
	v_lshrrev_b32_e32 v95, 23, v104
	s_mov_b32 s17, exec_lo
	v_add_nc_u32_e32 v93, v93, v104
	v_xor_b32_e32 v95, 1, v95
	v_and_b32_e32 v75, 0x1fffff, v93
	v_add_nc_u32_e32 v93, v75, v104
                                        ; implicit-def: $vgpr75
	v_cmpx_ne_u32_e64 v94, v95
	s_xor_b32 s17, exec_lo, s17
; %bb.2396:                             ;   in Loop: Header=BB2_1949 Depth=4
	v_cmp_lt_u32_e32 vcc_lo, 0xffffff, v93
	v_sub_nc_u32_e32 v75, v94, v95
	v_cndmask_b32_e64 v94, 0, 1, vcc_lo
	v_add_co_ci_u32_e64 v75, null, 0, v75, vcc_lo
	v_lshrrev_b32_e32 v93, v94, v93
; %bb.2397:                             ;   in Loop: Header=BB2_1949 Depth=4
	s_andn2_saveexec_b32 s17, s17
; %bb.2398:                             ;   in Loop: Header=BB2_1949 Depth=4
	v_bfe_u32 v75, v93, 23, 1
; %bb.2399:                             ;   in Loop: Header=BB2_1949 Depth=4
	s_or_b32 exec_lo, exec_lo, s17
	v_lshrrev_b32_e32 v93, 21, v93
	v_min_i32_e32 v94, 31, v75
	v_cmp_gt_i32_e32 vcc_lo, 32, v75
	v_and_b32_sdwa v91, v91, v98 dst_sel:DWORD dst_unused:UNUSED_PAD src0_sel:BYTE_3 src1_sel:DWORD
	v_lshlrev_b32_e32 v94, 2, v94
	v_cndmask_b32_e32 v93, 3, v93, vcc_lo
	v_and_b32_e32 v94, 0xfc, v94
	v_and_b32_e32 v95, 3, v93
	v_or_b32_e32 v75, v75, v93
	v_or3_b32 v91, v94, v91, v95
	v_cmp_ne_u32_e32 vcc_lo, 0, v75
	v_cndmask_b32_e32 v75, 0, v91, vcc_lo
.LBB2_2400:                             ;   in Loop: Header=BB2_1949 Depth=4
	s_or_b32 exec_lo, exec_lo, s75
.LBB2_2401:                             ;   in Loop: Header=BB2_1949 Depth=4
	s_or_b32 exec_lo, exec_lo, s74
	v_cmp_gt_i16_sdwa s74, v79, v97 src0_sel:BYTE_3 src1_sel:DWORD
	s_mov_b32 s17, 0
	s_and_saveexec_b32 s75, s74
	s_xor_b32 s74, exec_lo, s75
	s_cbranch_execz .LBB2_2575
; %bb.2402:                             ;   in Loop: Header=BB2_1949 Depth=4
	v_cmp_eq_u16_sdwa s76, v79, v98 src0_sel:BYTE_3 src1_sel:DWORD
	s_mov_b32 s17, -1
	s_and_saveexec_b32 s75, s76
; %bb.2403:                             ;   in Loop: Header=BB2_1949 Depth=4
	s_xor_b32 s17, exec_lo, -1
; %bb.2404:                             ;   in Loop: Header=BB2_1949 Depth=4
	s_or_b32 exec_lo, exec_lo, s75
	s_and_b32 s17, s17, exec_lo
	s_or_saveexec_b32 s74, s74
	v_mov_b32_e32 v91, 0x7f800001
	s_xor_b32 exec_lo, exec_lo, s74
	s_cbranch_execnz .LBB2_2576
.LBB2_2405:                             ;   in Loop: Header=BB2_1949 Depth=4
	s_or_b32 exec_lo, exec_lo, s74
	s_and_saveexec_b32 s74, s17
	s_cbranch_execz .LBB2_2407
.LBB2_2406:                             ;   in Loop: Header=BB2_1949 Depth=4
	v_bfe_u32 v91, v79, 24, 2
	v_bfe_u32 v95, v79, 26, 5
	v_ffbh_u32_e32 v93, v91
	v_cmp_eq_u32_e32 vcc_lo, 0, v95
	v_min_u32_e32 v93, 32, v93
	v_subrev_nc_u32_e32 v94, 29, v93
	v_sub_nc_u32_e32 v93, 30, v93
	v_lshlrev_b32_sdwa v94, v94, v79 dst_sel:DWORD dst_unused:UNUSED_PAD src0_sel:DWORD src1_sel:BYTE_3
	v_cndmask_b32_e32 v93, v95, v93, vcc_lo
	v_and_b32_e32 v79, 0x80000000, v79
	v_and_b32_e32 v94, 3, v94
	v_lshl_add_u32 v93, v93, 23, 0x37800000
	v_cndmask_b32_e32 v91, v91, v94, vcc_lo
	v_lshlrev_b32_e32 v91, 21, v91
	v_or3_b32 v91, v79, v93, v91
.LBB2_2407:                             ;   in Loop: Header=BB2_1949 Depth=4
	s_or_b32 exec_lo, exec_lo, s74
	v_cmp_gt_i16_sdwa s74, v10, v97 src0_sel:BYTE_3 src1_sel:DWORD
	s_mov_b32 s17, 0
	s_and_saveexec_b32 s75, s74
	s_xor_b32 s74, exec_lo, s75
	s_cbranch_execz .LBB2_2577
; %bb.2408:                             ;   in Loop: Header=BB2_1949 Depth=4
	v_cmp_eq_u16_sdwa s76, v10, v98 src0_sel:BYTE_3 src1_sel:DWORD
	s_mov_b32 s17, -1
	s_and_saveexec_b32 s75, s76
; %bb.2409:                             ;   in Loop: Header=BB2_1949 Depth=4
	s_xor_b32 s17, exec_lo, -1
; %bb.2410:                             ;   in Loop: Header=BB2_1949 Depth=4
	s_or_b32 exec_lo, exec_lo, s75
	s_and_b32 s17, s17, exec_lo
	s_or_saveexec_b32 s74, s74
	v_mov_b32_e32 v79, 0x7f800001
	s_xor_b32 exec_lo, exec_lo, s74
	s_cbranch_execnz .LBB2_2578
.LBB2_2411:                             ;   in Loop: Header=BB2_1949 Depth=4
	s_or_b32 exec_lo, exec_lo, s74
	s_and_saveexec_b32 s74, s17
	s_cbranch_execz .LBB2_2413
.LBB2_2412:                             ;   in Loop: Header=BB2_1949 Depth=4
	v_and_b32_sdwa v79, v10, v103 dst_sel:DWORD dst_unused:UNUSED_PAD src0_sel:BYTE_3 src1_sel:DWORD
	v_bfe_u32 v95, v10, 26, 5
	v_ffbh_u32_e32 v93, v79
	v_cmp_eq_u32_e32 vcc_lo, 0, v95
	v_min_u32_e32 v93, 32, v93
	v_subrev_nc_u32_e32 v94, 29, v93
	v_sub_nc_u32_e32 v93, 30, v93
	v_lshlrev_b32_sdwa v94, v94, v10 dst_sel:DWORD dst_unused:UNUSED_PAD src0_sel:DWORD src1_sel:BYTE_3
	v_cndmask_b32_e32 v93, v95, v93, vcc_lo
	v_and_b32_e32 v10, 0x80000000, v10
	v_and_b32_e32 v94, 3, v94
	v_lshl_add_u32 v93, v93, 23, 0x37800000
	v_cndmask_b32_e32 v79, v79, v94, vcc_lo
	v_lshlrev_b32_e32 v79, 21, v79
	v_or3_b32 v79, v10, v93, v79
.LBB2_2413:                             ;   in Loop: Header=BB2_1949 Depth=4
	s_or_b32 exec_lo, exec_lo, s74
	v_add_f32_e32 v79, v91, v79
	v_and_b32_e32 v10, 0x7f800000, v79
	v_cmp_ne_u32_e32 vcc_lo, 0x7f800000, v10
	v_mov_b32_e32 v10, 0x8000
	s_and_saveexec_b32 s74, vcc_lo
	s_cbranch_execz .LBB2_2421
; %bb.2414:                             ;   in Loop: Header=BB2_1949 Depth=4
	v_mov_b32_e32 v10, 0
	s_mov_b32 s75, exec_lo
	v_cmpx_ne_u32_e32 0, v79
	s_cbranch_execz .LBB2_2420
; %bb.2415:                             ;   in Loop: Header=BB2_1949 Depth=4
	v_bfe_u32 v10, v79, 23, 8
	v_and_b32_e32 v91, 0x7fffff, v79
	v_sub_nc_u32_e32 v93, 0x70, v10
	v_cmp_gt_u32_e32 vcc_lo, 0x71, v10
	v_or_b32_e32 v94, 0x800000, v91
	v_cndmask_b32_e32 v93, 0, v93, vcc_lo
	v_cmp_eq_u32_e32 vcc_lo, 0, v10
	v_add_nc_u32_e32 v10, 0xffffff91, v10
	v_cndmask_b32_e64 v93, v93, 0x6f, vcc_lo
	v_cndmask_b32_e32 v91, v94, v91, vcc_lo
	v_cndmask_b32_e64 v10, v10, 0xffffff92, vcc_lo
	v_lshl_add_u32 v94, 0x200000, v93, -1
	v_lshrrev_b32_e32 v95, v93, v91
	v_lshlrev_b32_e64 v105, v93, 0x100000
	v_add_nc_u32_e32 v93, v93, v10
	v_and_b32_e32 v91, v94, v91
	v_bfe_u32 v104, v95, 21, 1
	v_cmp_eq_u32_e64 s17, v91, v105
	v_add_nc_u32_e32 v94, -1, v104
	v_cndmask_b32_e64 v91, 0, v94, s17
	v_lshrrev_b32_e32 v94, 23, v95
	s_mov_b32 s17, exec_lo
	v_add_nc_u32_e32 v91, v91, v95
	v_xor_b32_e32 v94, 1, v94
	v_and_b32_e32 v10, 0x1fffff, v91
	v_add_nc_u32_e32 v91, v10, v95
                                        ; implicit-def: $vgpr10
	v_cmpx_ne_u32_e64 v93, v94
	s_xor_b32 s17, exec_lo, s17
; %bb.2416:                             ;   in Loop: Header=BB2_1949 Depth=4
	v_cmp_lt_u32_e32 vcc_lo, 0xffffff, v91
	v_sub_nc_u32_e32 v10, v93, v94
	v_cndmask_b32_e64 v93, 0, 1, vcc_lo
	v_add_co_ci_u32_e64 v10, null, 0, v10, vcc_lo
	v_lshrrev_b32_e32 v91, v93, v91
; %bb.2417:                             ;   in Loop: Header=BB2_1949 Depth=4
	s_andn2_saveexec_b32 s17, s17
; %bb.2418:                             ;   in Loop: Header=BB2_1949 Depth=4
	v_bfe_u32 v10, v91, 23, 1
; %bb.2419:                             ;   in Loop: Header=BB2_1949 Depth=4
	s_or_b32 exec_lo, exec_lo, s17
	v_lshrrev_b32_e32 v91, 21, v91
	v_min_i32_e32 v93, 31, v10
	v_cmp_gt_i32_e32 vcc_lo, 32, v10
	v_and_b32_sdwa v79, v79, v98 dst_sel:DWORD dst_unused:UNUSED_PAD src0_sel:BYTE_3 src1_sel:DWORD
	v_lshlrev_b32_e32 v93, 2, v93
	v_cndmask_b32_e32 v91, 3, v91, vcc_lo
	v_and_b32_e32 v93, 0xfc, v93
	v_and_b32_e32 v94, 3, v91
	v_or_b32_e32 v10, v10, v91
	v_or3_b32 v79, v79, v93, v94
	v_cmp_ne_u32_e32 vcc_lo, 0, v10
	v_lshlrev_b32_e32 v79, 8, v79
	v_cndmask_b32_e32 v10, 0, v79, vcc_lo
.LBB2_2420:                             ;   in Loop: Header=BB2_1949 Depth=4
	s_or_b32 exec_lo, exec_lo, s75
.LBB2_2421:                             ;   in Loop: Header=BB2_1949 Depth=4
	s_or_b32 exec_lo, exec_lo, s74
	v_or_b32_e32 v76, v76, v72
	s_mov_b32 s17, 0
	v_cmp_gt_i16_sdwa s74, v76, v97 src0_sel:BYTE_0 src1_sel:DWORD
	s_and_saveexec_b32 s75, s74
	s_xor_b32 s74, exec_lo, s75
	s_cbranch_execz .LBB2_2579
; %bb.2422:                             ;   in Loop: Header=BB2_1949 Depth=4
	v_cmp_eq_u16_sdwa s76, v76, v98 src0_sel:BYTE_0 src1_sel:DWORD
	s_mov_b32 s17, -1
	s_and_saveexec_b32 s75, s76
; %bb.2423:                             ;   in Loop: Header=BB2_1949 Depth=4
	s_xor_b32 s17, exec_lo, -1
; %bb.2424:                             ;   in Loop: Header=BB2_1949 Depth=4
	s_or_b32 exec_lo, exec_lo, s75
	s_and_b32 s17, s17, exec_lo
	s_or_saveexec_b32 s74, s74
	v_mov_b32_e32 v72, 0x7f800001
	s_xor_b32 exec_lo, exec_lo, s74
	s_cbranch_execnz .LBB2_2580
.LBB2_2425:                             ;   in Loop: Header=BB2_1949 Depth=4
	s_or_b32 exec_lo, exec_lo, s74
	s_and_saveexec_b32 s74, s17
	s_cbranch_execz .LBB2_2427
.LBB2_2426:                             ;   in Loop: Header=BB2_1949 Depth=4
	v_and_b32_e32 v72, 3, v76
	v_bfe_u32 v93, v76, 2, 5
	v_lshlrev_b32_e32 v94, 24, v76
	v_ffbh_u32_e32 v79, v72
	v_cmp_eq_u32_e32 vcc_lo, 0, v93
	v_min_u32_e32 v79, 32, v79
	v_subrev_nc_u32_e32 v91, 29, v79
	v_sub_nc_u32_e32 v79, 30, v79
	v_lshlrev_b32_e32 v91, v91, v76
	v_cndmask_b32_e32 v79, v93, v79, vcc_lo
	v_and_b32_e32 v91, 3, v91
	v_lshl_add_u32 v79, v79, 23, 0x37800000
	v_cndmask_b32_e32 v72, v72, v91, vcc_lo
	v_and_b32_e32 v91, 0x80000000, v94
	v_lshlrev_b32_e32 v72, 21, v72
	v_or3_b32 v72, v91, v79, v72
.LBB2_2427:                             ;   in Loop: Header=BB2_1949 Depth=4
	s_or_b32 exec_lo, exec_lo, s74
	v_cmp_gt_i16_sdwa s74, v11, v97 src0_sel:BYTE_0 src1_sel:DWORD
	s_mov_b32 s17, 0
	s_and_saveexec_b32 s75, s74
	s_xor_b32 s74, exec_lo, s75
	s_cbranch_execz .LBB2_2581
; %bb.2428:                             ;   in Loop: Header=BB2_1949 Depth=4
	v_cmp_eq_u16_sdwa s76, v11, v98 src0_sel:BYTE_0 src1_sel:DWORD
	s_mov_b32 s17, -1
	s_and_saveexec_b32 s75, s76
; %bb.2429:                             ;   in Loop: Header=BB2_1949 Depth=4
	s_xor_b32 s17, exec_lo, -1
; %bb.2430:                             ;   in Loop: Header=BB2_1949 Depth=4
	s_or_b32 exec_lo, exec_lo, s75
	s_and_b32 s17, s17, exec_lo
	s_or_saveexec_b32 s74, s74
	v_mov_b32_e32 v79, 0x7f800001
	s_xor_b32 exec_lo, exec_lo, s74
	s_cbranch_execnz .LBB2_2582
.LBB2_2431:                             ;   in Loop: Header=BB2_1949 Depth=4
	s_or_b32 exec_lo, exec_lo, s74
	s_and_saveexec_b32 s74, s17
	s_cbranch_execz .LBB2_2433
.LBB2_2432:                             ;   in Loop: Header=BB2_1949 Depth=4
	v_and_b32_e32 v79, 3, v11
	v_bfe_u32 v94, v11, 2, 5
	v_lshlrev_b32_e32 v95, 24, v11
	v_ffbh_u32_e32 v91, v79
	v_cmp_eq_u32_e32 vcc_lo, 0, v94
	v_min_u32_e32 v91, 32, v91
	v_subrev_nc_u32_e32 v93, 29, v91
	v_sub_nc_u32_e32 v91, 30, v91
	v_lshlrev_b32_e32 v93, v93, v11
	v_cndmask_b32_e32 v91, v94, v91, vcc_lo
	v_and_b32_e32 v93, 3, v93
	v_lshl_add_u32 v91, v91, 23, 0x37800000
	v_cndmask_b32_e32 v79, v79, v93, vcc_lo
	v_and_b32_e32 v93, 0x80000000, v95
	v_lshlrev_b32_e32 v79, 21, v79
	v_or3_b32 v79, v93, v91, v79
.LBB2_2433:                             ;   in Loop: Header=BB2_1949 Depth=4
	s_or_b32 exec_lo, exec_lo, s74
	v_add_f32_e32 v79, v72, v79
	v_and_b32_e32 v72, 0x7f800000, v79
	v_cmp_ne_u32_e32 vcc_lo, 0x7f800000, v72
	v_mov_b32_e32 v72, 0x80
	s_and_saveexec_b32 s74, vcc_lo
	s_cbranch_execz .LBB2_2441
; %bb.2434:                             ;   in Loop: Header=BB2_1949 Depth=4
	v_mov_b32_e32 v72, 0
	s_mov_b32 s75, exec_lo
	v_cmpx_ne_u32_e32 0, v79
	s_cbranch_execz .LBB2_2440
; %bb.2435:                             ;   in Loop: Header=BB2_1949 Depth=4
	v_bfe_u32 v72, v79, 23, 8
	v_and_b32_e32 v91, 0x7fffff, v79
	v_sub_nc_u32_e32 v93, 0x70, v72
	v_cmp_gt_u32_e32 vcc_lo, 0x71, v72
	v_or_b32_e32 v94, 0x800000, v91
	v_cndmask_b32_e32 v93, 0, v93, vcc_lo
	v_cmp_eq_u32_e32 vcc_lo, 0, v72
	v_add_nc_u32_e32 v72, 0xffffff91, v72
	v_cndmask_b32_e64 v93, v93, 0x6f, vcc_lo
	v_cndmask_b32_e32 v91, v94, v91, vcc_lo
	v_cndmask_b32_e64 v72, v72, 0xffffff92, vcc_lo
	v_lshl_add_u32 v94, 0x200000, v93, -1
	v_lshrrev_b32_e32 v95, v93, v91
	v_lshlrev_b32_e64 v105, v93, 0x100000
	v_add_nc_u32_e32 v93, v93, v72
	v_and_b32_e32 v91, v94, v91
	v_bfe_u32 v104, v95, 21, 1
	v_cmp_eq_u32_e64 s17, v91, v105
	v_add_nc_u32_e32 v94, -1, v104
	v_cndmask_b32_e64 v91, 0, v94, s17
	v_lshrrev_b32_e32 v94, 23, v95
	s_mov_b32 s17, exec_lo
	v_add_nc_u32_e32 v91, v91, v95
	v_xor_b32_e32 v94, 1, v94
	v_and_b32_e32 v72, 0x1fffff, v91
	v_add_nc_u32_e32 v91, v72, v95
                                        ; implicit-def: $vgpr72
	v_cmpx_ne_u32_e64 v93, v94
	s_xor_b32 s17, exec_lo, s17
; %bb.2436:                             ;   in Loop: Header=BB2_1949 Depth=4
	v_cmp_lt_u32_e32 vcc_lo, 0xffffff, v91
	v_sub_nc_u32_e32 v72, v93, v94
	v_cndmask_b32_e64 v93, 0, 1, vcc_lo
	v_add_co_ci_u32_e64 v72, null, 0, v72, vcc_lo
	v_lshrrev_b32_e32 v91, v93, v91
; %bb.2437:                             ;   in Loop: Header=BB2_1949 Depth=4
	s_andn2_saveexec_b32 s17, s17
; %bb.2438:                             ;   in Loop: Header=BB2_1949 Depth=4
	v_bfe_u32 v72, v91, 23, 1
; %bb.2439:                             ;   in Loop: Header=BB2_1949 Depth=4
	s_or_b32 exec_lo, exec_lo, s17
	v_lshrrev_b32_e32 v91, 21, v91
	v_min_i32_e32 v93, 31, v72
	v_cmp_gt_i32_e32 vcc_lo, 32, v72
	v_and_b32_sdwa v79, v79, v98 dst_sel:DWORD dst_unused:UNUSED_PAD src0_sel:BYTE_3 src1_sel:DWORD
	v_lshlrev_b32_e32 v93, 2, v93
	v_cndmask_b32_e32 v91, 3, v91, vcc_lo
	v_and_b32_e32 v93, 0xfc, v93
	v_and_b32_e32 v94, 3, v91
	v_or_b32_e32 v72, v72, v91
	v_or3_b32 v79, v93, v79, v94
	v_cmp_ne_u32_e32 vcc_lo, 0, v72
	v_cndmask_b32_e32 v72, 0, v79, vcc_lo
.LBB2_2440:                             ;   in Loop: Header=BB2_1949 Depth=4
	s_or_b32 exec_lo, exec_lo, s75
.LBB2_2441:                             ;   in Loop: Header=BB2_1949 Depth=4
	s_or_b32 exec_lo, exec_lo, s74
	v_cmp_gt_i16_sdwa s74, v76, v97 src0_sel:BYTE_1 src1_sel:DWORD
	s_mov_b32 s17, 0
	s_and_saveexec_b32 s75, s74
	s_xor_b32 s74, exec_lo, s75
	s_cbranch_execz .LBB2_2583
; %bb.2442:                             ;   in Loop: Header=BB2_1949 Depth=4
	v_cmp_eq_u16_sdwa s76, v76, v98 src0_sel:BYTE_1 src1_sel:DWORD
	s_mov_b32 s17, -1
	s_and_saveexec_b32 s75, s76
; %bb.2443:                             ;   in Loop: Header=BB2_1949 Depth=4
	s_xor_b32 s17, exec_lo, -1
; %bb.2444:                             ;   in Loop: Header=BB2_1949 Depth=4
	s_or_b32 exec_lo, exec_lo, s75
	s_and_b32 s17, s17, exec_lo
	s_or_saveexec_b32 s74, s74
	v_mov_b32_e32 v79, 0x7f800001
	s_xor_b32 exec_lo, exec_lo, s74
	s_cbranch_execnz .LBB2_2584
.LBB2_2445:                             ;   in Loop: Header=BB2_1949 Depth=4
	s_or_b32 exec_lo, exec_lo, s74
	s_and_saveexec_b32 s74, s17
	s_cbranch_execz .LBB2_2447
.LBB2_2446:                             ;   in Loop: Header=BB2_1949 Depth=4
	v_and_b32_sdwa v79, v99, v76 dst_sel:DWORD dst_unused:UNUSED_PAD src0_sel:DWORD src1_sel:BYTE_1
	v_and_b32_e32 v91, 3, v79
	v_bfe_u32 v95, v79, 2, 5
	v_ffbh_u32_e32 v93, v91
	v_cmp_eq_u32_e32 vcc_lo, 0, v95
	v_min_u32_e32 v93, 32, v93
	v_subrev_nc_u32_e32 v94, 29, v93
	v_sub_nc_u32_e32 v93, 30, v93
	v_lshlrev_b32_e32 v79, v94, v79
	v_lshlrev_b32_sdwa v94, v100, v76 dst_sel:DWORD dst_unused:UNUSED_PAD src0_sel:DWORD src1_sel:BYTE_1
	v_cndmask_b32_e32 v93, v95, v93, vcc_lo
	v_and_b32_e32 v79, 3, v79
	v_lshl_add_u32 v93, v93, 23, 0x37800000
	v_cndmask_b32_e32 v79, v91, v79, vcc_lo
	v_and_b32_e32 v91, 0x80000000, v94
	v_lshlrev_b32_e32 v79, 21, v79
	v_or3_b32 v79, v91, v93, v79
.LBB2_2447:                             ;   in Loop: Header=BB2_1949 Depth=4
	s_or_b32 exec_lo, exec_lo, s74
	v_cmp_gt_i16_sdwa s74, v11, v97 src0_sel:BYTE_1 src1_sel:DWORD
	s_mov_b32 s17, 0
	s_and_saveexec_b32 s75, s74
	s_xor_b32 s74, exec_lo, s75
	s_cbranch_execz .LBB2_2585
; %bb.2448:                             ;   in Loop: Header=BB2_1949 Depth=4
	v_cmp_eq_u16_sdwa s76, v11, v98 src0_sel:BYTE_1 src1_sel:DWORD
	s_mov_b32 s17, -1
	s_and_saveexec_b32 s75, s76
; %bb.2449:                             ;   in Loop: Header=BB2_1949 Depth=4
	s_xor_b32 s17, exec_lo, -1
; %bb.2450:                             ;   in Loop: Header=BB2_1949 Depth=4
	s_or_b32 exec_lo, exec_lo, s75
	s_and_b32 s17, s17, exec_lo
	s_or_saveexec_b32 s74, s74
	v_mov_b32_e32 v91, 0x7f800001
	s_xor_b32 exec_lo, exec_lo, s74
	s_cbranch_execnz .LBB2_2586
.LBB2_2451:                             ;   in Loop: Header=BB2_1949 Depth=4
	s_or_b32 exec_lo, exec_lo, s74
	s_and_saveexec_b32 s74, s17
	s_cbranch_execz .LBB2_2453
.LBB2_2452:                             ;   in Loop: Header=BB2_1949 Depth=4
	v_and_b32_sdwa v91, v99, v11 dst_sel:DWORD dst_unused:UNUSED_PAD src0_sel:DWORD src1_sel:BYTE_1
	v_and_b32_e32 v93, 3, v91
	v_bfe_u32 v104, v91, 2, 5
	v_ffbh_u32_e32 v94, v93
	v_cmp_eq_u32_e32 vcc_lo, 0, v104
	v_min_u32_e32 v94, 32, v94
	v_subrev_nc_u32_e32 v95, 29, v94
	v_sub_nc_u32_e32 v94, 30, v94
	v_lshlrev_b32_e32 v91, v95, v91
	v_lshlrev_b32_sdwa v95, v100, v11 dst_sel:DWORD dst_unused:UNUSED_PAD src0_sel:DWORD src1_sel:BYTE_1
	v_cndmask_b32_e32 v94, v104, v94, vcc_lo
	v_and_b32_e32 v91, 3, v91
	v_lshl_add_u32 v94, v94, 23, 0x37800000
	v_cndmask_b32_e32 v91, v93, v91, vcc_lo
	v_and_b32_e32 v93, 0x80000000, v95
	v_lshlrev_b32_e32 v91, 21, v91
	v_or3_b32 v91, v93, v94, v91
.LBB2_2453:                             ;   in Loop: Header=BB2_1949 Depth=4
	s_or_b32 exec_lo, exec_lo, s74
	v_add_f32_e32 v91, v79, v91
	v_and_b32_e32 v79, 0x7f800000, v91
	v_cmp_ne_u32_e32 vcc_lo, 0x7f800000, v79
	v_mov_b32_e32 v79, 0x8000
	s_and_saveexec_b32 s74, vcc_lo
	s_cbranch_execz .LBB2_2461
; %bb.2454:                             ;   in Loop: Header=BB2_1949 Depth=4
	v_mov_b32_e32 v79, 0
	s_mov_b32 s75, exec_lo
	v_cmpx_ne_u32_e32 0, v91
	s_cbranch_execz .LBB2_2460
; %bb.2455:                             ;   in Loop: Header=BB2_1949 Depth=4
	v_bfe_u32 v79, v91, 23, 8
	v_and_b32_e32 v93, 0x7fffff, v91
	v_sub_nc_u32_e32 v94, 0x70, v79
	v_cmp_gt_u32_e32 vcc_lo, 0x71, v79
	v_or_b32_e32 v95, 0x800000, v93
	v_cndmask_b32_e32 v94, 0, v94, vcc_lo
	v_cmp_eq_u32_e32 vcc_lo, 0, v79
	v_add_nc_u32_e32 v79, 0xffffff91, v79
	v_cndmask_b32_e64 v94, v94, 0x6f, vcc_lo
	v_cndmask_b32_e32 v93, v95, v93, vcc_lo
	v_cndmask_b32_e64 v79, v79, 0xffffff92, vcc_lo
	v_lshl_add_u32 v95, 0x200000, v94, -1
	v_lshrrev_b32_e32 v104, v94, v93
	v_lshlrev_b32_e64 v106, v94, 0x100000
	v_add_nc_u32_e32 v94, v94, v79
	v_and_b32_e32 v93, v95, v93
	v_bfe_u32 v105, v104, 21, 1
	v_cmp_eq_u32_e64 s17, v93, v106
	v_add_nc_u32_e32 v95, -1, v105
	v_cndmask_b32_e64 v93, 0, v95, s17
	v_lshrrev_b32_e32 v95, 23, v104
	s_mov_b32 s17, exec_lo
	v_add_nc_u32_e32 v93, v93, v104
	v_xor_b32_e32 v95, 1, v95
	v_and_b32_e32 v79, 0x1fffff, v93
	v_add_nc_u32_e32 v93, v79, v104
                                        ; implicit-def: $vgpr79
	v_cmpx_ne_u32_e64 v94, v95
	s_xor_b32 s17, exec_lo, s17
; %bb.2456:                             ;   in Loop: Header=BB2_1949 Depth=4
	v_cmp_lt_u32_e32 vcc_lo, 0xffffff, v93
	v_sub_nc_u32_e32 v79, v94, v95
	v_cndmask_b32_e64 v94, 0, 1, vcc_lo
	v_add_co_ci_u32_e64 v79, null, 0, v79, vcc_lo
	v_lshrrev_b32_e32 v93, v94, v93
; %bb.2457:                             ;   in Loop: Header=BB2_1949 Depth=4
	s_andn2_saveexec_b32 s17, s17
; %bb.2458:                             ;   in Loop: Header=BB2_1949 Depth=4
	v_bfe_u32 v79, v93, 23, 1
; %bb.2459:                             ;   in Loop: Header=BB2_1949 Depth=4
	s_or_b32 exec_lo, exec_lo, s17
	v_lshrrev_b32_e32 v93, 21, v93
	v_min_i32_e32 v94, 31, v79
	v_cmp_gt_i32_e32 vcc_lo, 32, v79
	v_and_b32_sdwa v91, v91, v98 dst_sel:DWORD dst_unused:UNUSED_PAD src0_sel:BYTE_3 src1_sel:DWORD
	v_lshlrev_b32_e32 v94, 2, v94
	v_cndmask_b32_e32 v93, 3, v93, vcc_lo
	v_and_b32_e32 v94, 0xfc, v94
	v_and_b32_e32 v95, 3, v93
	v_or_b32_e32 v79, v79, v93
	v_or3_b32 v91, v91, v94, v95
	v_cmp_ne_u32_e32 vcc_lo, 0, v79
	v_lshlrev_b32_e32 v91, 8, v91
	v_cndmask_b32_e32 v79, 0, v91, vcc_lo
.LBB2_2460:                             ;   in Loop: Header=BB2_1949 Depth=4
	s_or_b32 exec_lo, exec_lo, s75
.LBB2_2461:                             ;   in Loop: Header=BB2_1949 Depth=4
	s_or_b32 exec_lo, exec_lo, s74
	v_or_b32_e32 v74, v74, v63
	s_mov_b32 s17, 0
	v_cmp_gt_i16_sdwa s74, v74, v97 src0_sel:BYTE_0 src1_sel:DWORD
	s_and_saveexec_b32 s75, s74
	s_xor_b32 s74, exec_lo, s75
	s_cbranch_execz .LBB2_2587
; %bb.2462:                             ;   in Loop: Header=BB2_1949 Depth=4
	v_cmp_eq_u16_sdwa s76, v74, v98 src0_sel:BYTE_0 src1_sel:DWORD
	s_mov_b32 s17, -1
	s_and_saveexec_b32 s75, s76
; %bb.2463:                             ;   in Loop: Header=BB2_1949 Depth=4
	s_xor_b32 s17, exec_lo, -1
; %bb.2464:                             ;   in Loop: Header=BB2_1949 Depth=4
	s_or_b32 exec_lo, exec_lo, s75
	s_and_b32 s17, s17, exec_lo
	s_or_saveexec_b32 s74, s74
	v_mov_b32_e32 v63, 0x7f800001
	s_xor_b32 exec_lo, exec_lo, s74
	s_cbranch_execnz .LBB2_2588
.LBB2_2465:                             ;   in Loop: Header=BB2_1949 Depth=4
	s_or_b32 exec_lo, exec_lo, s74
	v_lshl_or_b32 v74, v74, 16, v76
	s_and_saveexec_b32 s74, s17
	s_cbranch_execz .LBB2_2467
.LBB2_2466:                             ;   in Loop: Header=BB2_1949 Depth=4
	v_bfe_u32 v63, v74, 16, 2
	v_bfe_u32 v93, v74, 18, 5
	v_lshlrev_b32_e32 v94, 8, v74
	v_ffbh_u32_e32 v76, v63
	v_cmp_eq_u32_e32 vcc_lo, 0, v93
	v_min_u32_e32 v76, 32, v76
	v_subrev_nc_u32_e32 v91, 29, v76
	v_sub_nc_u32_e32 v76, 30, v76
	v_lshlrev_b32_sdwa v91, v91, v74 dst_sel:DWORD dst_unused:UNUSED_PAD src0_sel:DWORD src1_sel:WORD_1
	v_cndmask_b32_e32 v76, v93, v76, vcc_lo
	v_and_b32_e32 v91, 3, v91
	v_lshl_add_u32 v76, v76, 23, 0x37800000
	v_cndmask_b32_e32 v63, v63, v91, vcc_lo
	v_and_b32_e32 v91, 0x80000000, v94
	v_lshlrev_b32_e32 v63, 21, v63
	v_or3_b32 v63, v91, v76, v63
.LBB2_2467:                             ;   in Loop: Header=BB2_1949 Depth=4
	s_or_b32 exec_lo, exec_lo, s74
	v_and_b32_sdwa v91, v11, v101 dst_sel:DWORD dst_unused:UNUSED_PAD src0_sel:WORD_1 src1_sel:DWORD
	s_mov_b32 s17, 0
	s_mov_b32 s74, exec_lo
	v_cmpx_lt_i16_e32 0x7f, v91
	s_xor_b32 s74, exec_lo, s74
	s_cbranch_execz .LBB2_2589
; %bb.2468:                             ;   in Loop: Header=BB2_1949 Depth=4
	s_mov_b32 s17, -1
	s_mov_b32 s75, exec_lo
	v_cmpx_eq_u16_e32 0x80, v91
; %bb.2469:                             ;   in Loop: Header=BB2_1949 Depth=4
	s_xor_b32 s17, exec_lo, -1
; %bb.2470:                             ;   in Loop: Header=BB2_1949 Depth=4
	s_or_b32 exec_lo, exec_lo, s75
	s_and_b32 s17, s17, exec_lo
                                        ; implicit-def: $vgpr91
	s_or_saveexec_b32 s74, s74
	v_mov_b32_e32 v76, 0x7f800001
	s_xor_b32 exec_lo, exec_lo, s74
	s_cbranch_execnz .LBB2_2590
.LBB2_2471:                             ;   in Loop: Header=BB2_1949 Depth=4
	s_or_b32 exec_lo, exec_lo, s74
	s_and_saveexec_b32 s74, s17
	s_cbranch_execz .LBB2_2473
.LBB2_2472:                             ;   in Loop: Header=BB2_1949 Depth=4
	v_and_b32_sdwa v76, v11, v103 dst_sel:DWORD dst_unused:UNUSED_PAD src0_sel:WORD_1 src1_sel:DWORD
	v_bfe_u32 v94, v11, 18, 5
	v_lshlrev_b32_sdwa v95, v100, v11 dst_sel:DWORD dst_unused:UNUSED_PAD src0_sel:DWORD src1_sel:WORD_1
	v_ffbh_u32_e32 v91, v76
	v_cmp_eq_u32_e32 vcc_lo, 0, v94
	v_min_u32_e32 v91, 32, v91
	v_subrev_nc_u32_e32 v93, 29, v91
	v_sub_nc_u32_e32 v91, 30, v91
	v_lshlrev_b32_sdwa v93, v93, v11 dst_sel:DWORD dst_unused:UNUSED_PAD src0_sel:DWORD src1_sel:WORD_1
	v_cndmask_b32_e32 v91, v94, v91, vcc_lo
	v_and_b32_e32 v93, 3, v93
	v_lshl_add_u32 v91, v91, 23, 0x37800000
	v_cndmask_b32_e32 v76, v76, v93, vcc_lo
	v_and_b32_e32 v93, 0x80000000, v95
	v_lshlrev_b32_e32 v76, 21, v76
	v_or3_b32 v76, v93, v91, v76
.LBB2_2473:                             ;   in Loop: Header=BB2_1949 Depth=4
	s_or_b32 exec_lo, exec_lo, s74
	v_add_f32_e32 v76, v63, v76
	v_and_b32_e32 v63, 0x7f800000, v76
	v_cmp_ne_u32_e32 vcc_lo, 0x7f800000, v63
	v_mov_b32_e32 v63, 0x80
	s_and_saveexec_b32 s74, vcc_lo
	s_cbranch_execz .LBB2_2481
; %bb.2474:                             ;   in Loop: Header=BB2_1949 Depth=4
	v_mov_b32_e32 v63, 0
	s_mov_b32 s75, exec_lo
	v_cmpx_ne_u32_e32 0, v76
	s_cbranch_execz .LBB2_2480
; %bb.2475:                             ;   in Loop: Header=BB2_1949 Depth=4
	v_bfe_u32 v63, v76, 23, 8
	v_and_b32_e32 v91, 0x7fffff, v76
	v_sub_nc_u32_e32 v93, 0x70, v63
	v_cmp_gt_u32_e32 vcc_lo, 0x71, v63
	v_or_b32_e32 v94, 0x800000, v91
	v_cndmask_b32_e32 v93, 0, v93, vcc_lo
	v_cmp_eq_u32_e32 vcc_lo, 0, v63
	v_add_nc_u32_e32 v63, 0xffffff91, v63
	v_cndmask_b32_e64 v93, v93, 0x6f, vcc_lo
	v_cndmask_b32_e32 v91, v94, v91, vcc_lo
	v_cndmask_b32_e64 v63, v63, 0xffffff92, vcc_lo
	v_lshl_add_u32 v94, 0x200000, v93, -1
	v_lshrrev_b32_e32 v95, v93, v91
	v_lshlrev_b32_e64 v105, v93, 0x100000
	v_add_nc_u32_e32 v93, v93, v63
	v_and_b32_e32 v91, v94, v91
	v_bfe_u32 v104, v95, 21, 1
	v_cmp_eq_u32_e64 s17, v91, v105
	v_add_nc_u32_e32 v94, -1, v104
	v_cndmask_b32_e64 v91, 0, v94, s17
	v_lshrrev_b32_e32 v94, 23, v95
	s_mov_b32 s17, exec_lo
	v_add_nc_u32_e32 v91, v91, v95
	v_xor_b32_e32 v94, 1, v94
	v_and_b32_e32 v63, 0x1fffff, v91
	v_add_nc_u32_e32 v91, v63, v95
                                        ; implicit-def: $vgpr63
	v_cmpx_ne_u32_e64 v93, v94
	s_xor_b32 s17, exec_lo, s17
; %bb.2476:                             ;   in Loop: Header=BB2_1949 Depth=4
	v_cmp_lt_u32_e32 vcc_lo, 0xffffff, v91
	v_sub_nc_u32_e32 v63, v93, v94
	v_cndmask_b32_e64 v93, 0, 1, vcc_lo
	v_add_co_ci_u32_e64 v63, null, 0, v63, vcc_lo
	v_lshrrev_b32_e32 v91, v93, v91
; %bb.2477:                             ;   in Loop: Header=BB2_1949 Depth=4
	s_andn2_saveexec_b32 s17, s17
; %bb.2478:                             ;   in Loop: Header=BB2_1949 Depth=4
	v_bfe_u32 v63, v91, 23, 1
; %bb.2479:                             ;   in Loop: Header=BB2_1949 Depth=4
	s_or_b32 exec_lo, exec_lo, s17
	v_lshrrev_b32_e32 v91, 21, v91
	v_min_i32_e32 v93, 31, v63
	v_cmp_gt_i32_e32 vcc_lo, 32, v63
	v_and_b32_sdwa v76, v76, v98 dst_sel:DWORD dst_unused:UNUSED_PAD src0_sel:BYTE_3 src1_sel:DWORD
	v_lshlrev_b32_e32 v93, 2, v93
	v_cndmask_b32_e32 v91, 3, v91, vcc_lo
	v_and_b32_e32 v93, 0xfc, v93
	v_and_b32_e32 v94, 3, v91
	v_or_b32_e32 v63, v63, v91
	v_or3_b32 v76, v93, v76, v94
	v_cmp_ne_u32_e32 vcc_lo, 0, v63
	v_cndmask_b32_e32 v63, 0, v76, vcc_lo
.LBB2_2480:                             ;   in Loop: Header=BB2_1949 Depth=4
	s_or_b32 exec_lo, exec_lo, s75
.LBB2_2481:                             ;   in Loop: Header=BB2_1949 Depth=4
	s_or_b32 exec_lo, exec_lo, s74
	v_cmp_gt_i16_sdwa s74, v74, v97 src0_sel:BYTE_3 src1_sel:DWORD
	s_mov_b32 s17, 0
	s_and_saveexec_b32 s75, s74
	s_xor_b32 s74, exec_lo, s75
	s_cbranch_execz .LBB2_2591
; %bb.2482:                             ;   in Loop: Header=BB2_1949 Depth=4
	v_cmp_eq_u16_sdwa s76, v74, v98 src0_sel:BYTE_3 src1_sel:DWORD
	s_mov_b32 s17, -1
	s_and_saveexec_b32 s75, s76
; %bb.2483:                             ;   in Loop: Header=BB2_1949 Depth=4
	s_xor_b32 s17, exec_lo, -1
; %bb.2484:                             ;   in Loop: Header=BB2_1949 Depth=4
	s_or_b32 exec_lo, exec_lo, s75
	s_and_b32 s17, s17, exec_lo
	s_or_saveexec_b32 s74, s74
	v_mov_b32_e32 v76, 0x7f800001
	s_xor_b32 exec_lo, exec_lo, s74
	s_cbranch_execnz .LBB2_2592
.LBB2_2485:                             ;   in Loop: Header=BB2_1949 Depth=4
	s_or_b32 exec_lo, exec_lo, s74
	s_and_saveexec_b32 s74, s17
	s_cbranch_execz .LBB2_2487
.LBB2_2486:                             ;   in Loop: Header=BB2_1949 Depth=4
	v_bfe_u32 v76, v74, 24, 2
	v_bfe_u32 v94, v74, 26, 5
	v_ffbh_u32_e32 v91, v76
	v_cmp_eq_u32_e32 vcc_lo, 0, v94
	v_min_u32_e32 v91, 32, v91
	v_subrev_nc_u32_e32 v93, 29, v91
	v_sub_nc_u32_e32 v91, 30, v91
	v_lshlrev_b32_sdwa v93, v93, v74 dst_sel:DWORD dst_unused:UNUSED_PAD src0_sel:DWORD src1_sel:BYTE_3
	v_cndmask_b32_e32 v91, v94, v91, vcc_lo
	v_and_b32_e32 v74, 0x80000000, v74
	v_and_b32_e32 v93, 3, v93
	v_lshl_add_u32 v91, v91, 23, 0x37800000
	v_cndmask_b32_e32 v76, v76, v93, vcc_lo
	v_lshlrev_b32_e32 v76, 21, v76
	v_or3_b32 v76, v74, v91, v76
.LBB2_2487:                             ;   in Loop: Header=BB2_1949 Depth=4
	s_or_b32 exec_lo, exec_lo, s74
	v_cmp_gt_i16_sdwa s74, v11, v97 src0_sel:BYTE_3 src1_sel:DWORD
	s_mov_b32 s17, 0
	s_and_saveexec_b32 s75, s74
	s_xor_b32 s74, exec_lo, s75
	s_cbranch_execz .LBB2_2593
; %bb.2488:                             ;   in Loop: Header=BB2_1949 Depth=4
	v_cmp_eq_u16_sdwa s76, v11, v98 src0_sel:BYTE_3 src1_sel:DWORD
	s_mov_b32 s17, -1
	s_and_saveexec_b32 s75, s76
; %bb.2489:                             ;   in Loop: Header=BB2_1949 Depth=4
	s_xor_b32 s17, exec_lo, -1
; %bb.2490:                             ;   in Loop: Header=BB2_1949 Depth=4
	s_or_b32 exec_lo, exec_lo, s75
	s_and_b32 s17, s17, exec_lo
	s_or_saveexec_b32 s74, s74
	v_mov_b32_e32 v74, 0x7f800001
	s_xor_b32 exec_lo, exec_lo, s74
	s_cbranch_execnz .LBB2_2594
.LBB2_2491:                             ;   in Loop: Header=BB2_1949 Depth=4
	s_or_b32 exec_lo, exec_lo, s74
	s_and_saveexec_b32 s74, s17
	s_cbranch_execz .LBB2_2493
.LBB2_2492:                             ;   in Loop: Header=BB2_1949 Depth=4
	v_and_b32_sdwa v74, v11, v103 dst_sel:DWORD dst_unused:UNUSED_PAD src0_sel:BYTE_3 src1_sel:DWORD
	v_bfe_u32 v94, v11, 26, 5
	v_ffbh_u32_e32 v91, v74
	v_cmp_eq_u32_e32 vcc_lo, 0, v94
	v_min_u32_e32 v91, 32, v91
	v_subrev_nc_u32_e32 v93, 29, v91
	v_sub_nc_u32_e32 v91, 30, v91
	v_lshlrev_b32_sdwa v93, v93, v11 dst_sel:DWORD dst_unused:UNUSED_PAD src0_sel:DWORD src1_sel:BYTE_3
	v_cndmask_b32_e32 v91, v94, v91, vcc_lo
	v_and_b32_e32 v11, 0x80000000, v11
	v_and_b32_e32 v93, 3, v93
	v_lshl_add_u32 v91, v91, 23, 0x37800000
	v_cndmask_b32_e32 v74, v74, v93, vcc_lo
	v_lshlrev_b32_e32 v74, 21, v74
	v_or3_b32 v74, v11, v91, v74
.LBB2_2493:                             ;   in Loop: Header=BB2_1949 Depth=4
	s_or_b32 exec_lo, exec_lo, s74
	v_add_f32_e32 v11, v76, v74
	v_and_b32_e32 v74, 0x7f800000, v11
	v_cmp_ne_u32_e32 vcc_lo, 0x7f800000, v74
	v_mov_b32_e32 v74, 0x8000
	s_and_saveexec_b32 s74, vcc_lo
	s_cbranch_execz .LBB2_1948
; %bb.2494:                             ;   in Loop: Header=BB2_1949 Depth=4
	v_mov_b32_e32 v74, 0
	s_mov_b32 s75, exec_lo
	v_cmpx_ne_u32_e32 0, v11
	s_cbranch_execz .LBB2_1947
; %bb.2495:                             ;   in Loop: Header=BB2_1949 Depth=4
	v_bfe_u32 v74, v11, 23, 8
	v_and_b32_e32 v76, 0x7fffff, v11
	v_sub_nc_u32_e32 v91, 0x70, v74
	v_cmp_gt_u32_e32 vcc_lo, 0x71, v74
	v_or_b32_e32 v93, 0x800000, v76
	v_cndmask_b32_e32 v91, 0, v91, vcc_lo
	v_cmp_eq_u32_e32 vcc_lo, 0, v74
	v_add_nc_u32_e32 v74, 0xffffff91, v74
	v_cndmask_b32_e64 v91, v91, 0x6f, vcc_lo
	v_cndmask_b32_e32 v76, v93, v76, vcc_lo
	v_cndmask_b32_e64 v74, v74, 0xffffff92, vcc_lo
	v_lshl_add_u32 v93, 0x200000, v91, -1
	v_lshrrev_b32_e32 v94, v91, v76
	v_lshlrev_b32_e64 v104, v91, 0x100000
	v_add_nc_u32_e32 v91, v91, v74
	v_and_b32_e32 v76, v93, v76
	v_bfe_u32 v95, v94, 21, 1
	v_cmp_eq_u32_e64 s17, v76, v104
	v_add_nc_u32_e32 v93, -1, v95
	v_cndmask_b32_e64 v76, 0, v93, s17
	v_lshrrev_b32_e32 v93, 23, v94
	s_mov_b32 s17, exec_lo
	v_add_nc_u32_e32 v76, v76, v94
	v_xor_b32_e32 v93, 1, v93
	v_and_b32_e32 v74, 0x1fffff, v76
	v_add_nc_u32_e32 v76, v74, v94
                                        ; implicit-def: $vgpr74
	v_cmpx_ne_u32_e64 v91, v93
	s_xor_b32 s17, exec_lo, s17
; %bb.2496:                             ;   in Loop: Header=BB2_1949 Depth=4
	v_cmp_lt_u32_e32 vcc_lo, 0xffffff, v76
	v_sub_nc_u32_e32 v74, v91, v93
	v_cndmask_b32_e64 v91, 0, 1, vcc_lo
	v_add_co_ci_u32_e64 v74, null, 0, v74, vcc_lo
	v_lshrrev_b32_e32 v76, v91, v76
; %bb.2497:                             ;   in Loop: Header=BB2_1949 Depth=4
	s_andn2_saveexec_b32 s17, s17
	s_cbranch_execz .LBB2_1946
; %bb.2498:                             ;   in Loop: Header=BB2_1949 Depth=4
	v_bfe_u32 v74, v76, 23, 1
	s_branch .LBB2_1946
.LBB2_2499:                             ;   in Loop: Header=BB2_1949 Depth=4
	s_or_saveexec_b32 s75, s75
	v_mov_b32_e32 v62, 0x7f800001
	s_xor_b32 exec_lo, exec_lo, s75
	s_cbranch_execz .LBB2_1961
.LBB2_2500:                             ;   in Loop: Header=BB2_1949 Depth=4
	v_cmp_ne_u16_sdwa s76, v8, v2 src0_sel:BYTE_0 src1_sel:DWORD
	v_mov_b32_e32 v62, 0
	s_andn2_b32 s17, s17, exec_lo
	s_and_b32 s76, s76, exec_lo
	s_or_b32 s17, s17, s76
	s_or_b32 exec_lo, exec_lo, s75
	s_and_saveexec_b32 s75, s17
	s_cbranch_execnz .LBB2_1962
	s_branch .LBB2_1963
.LBB2_2501:                             ;   in Loop: Header=BB2_1949 Depth=4
	s_or_saveexec_b32 s75, s75
	v_mov_b32_e32 v63, 0x7f800001
	s_xor_b32 exec_lo, exec_lo, s75
	s_cbranch_execz .LBB2_1975
.LBB2_2502:                             ;   in Loop: Header=BB2_1949 Depth=4
	v_cmp_ne_u16_sdwa s76, v8, v2 src0_sel:BYTE_1 src1_sel:DWORD
	v_mov_b32_e32 v63, 0
	s_andn2_b32 s17, s17, exec_lo
	s_and_b32 s76, s76, exec_lo
	s_or_b32 s17, s17, s76
	s_or_b32 exec_lo, exec_lo, s75
	s_and_saveexec_b32 s75, s17
	s_cbranch_execnz .LBB2_1976
	s_branch .LBB2_1977
.LBB2_2503:                             ;   in Loop: Header=BB2_1949 Depth=4
	s_or_saveexec_b32 s75, s75
	v_mov_b32_e32 v63, 0x7f800001
	s_xor_b32 exec_lo, exec_lo, s75
	s_cbranch_execz .LBB2_1989
.LBB2_2504:                             ;   in Loop: Header=BB2_1949 Depth=4
	v_cmp_ne_u16_e32 vcc_lo, 0, v72
	v_mov_b32_e32 v63, 0
	s_andn2_b32 s17, s17, exec_lo
	s_and_b32 s76, vcc_lo, exec_lo
	s_or_b32 s17, s17, s76
	s_or_b32 exec_lo, exec_lo, s75
	s_and_saveexec_b32 s75, s17
	s_cbranch_execnz .LBB2_1990
	s_branch .LBB2_1991
.LBB2_2505:                             ;   in Loop: Header=BB2_1949 Depth=4
	s_or_saveexec_b32 s75, s75
	v_mov_b32_e32 v63, 0x7f800001
	s_xor_b32 exec_lo, exec_lo, s75
	s_cbranch_execz .LBB2_2003
.LBB2_2506:                             ;   in Loop: Header=BB2_1949 Depth=4
	v_cmp_ne_u16_sdwa s76, v8, v2 src0_sel:BYTE_3 src1_sel:DWORD
	v_mov_b32_e32 v63, 0
	s_andn2_b32 s17, s17, exec_lo
	s_and_b32 s76, s76, exec_lo
	s_or_b32 s17, s17, s76
	s_or_b32 exec_lo, exec_lo, s75
	s_and_saveexec_b32 s75, s17
	s_cbranch_execnz .LBB2_2004
	s_branch .LBB2_2005
.LBB2_2507:                             ;   in Loop: Header=BB2_1949 Depth=4
	s_or_saveexec_b32 s75, s75
	v_mov_b32_e32 v8, 0x7f800001
	s_xor_b32 exec_lo, exec_lo, s75
	s_cbranch_execz .LBB2_2017
.LBB2_2508:                             ;   in Loop: Header=BB2_1949 Depth=4
	v_cmp_ne_u16_sdwa s76, v9, v2 src0_sel:BYTE_0 src1_sel:DWORD
	v_mov_b32_e32 v8, 0
	s_andn2_b32 s17, s17, exec_lo
	s_and_b32 s76, s76, exec_lo
	s_or_b32 s17, s17, s76
	s_or_b32 exec_lo, exec_lo, s75
	s_and_saveexec_b32 s75, s17
	s_cbranch_execnz .LBB2_2018
	s_branch .LBB2_2019
.LBB2_2509:                             ;   in Loop: Header=BB2_1949 Depth=4
	s_or_saveexec_b32 s75, s75
	v_mov_b32_e32 v8, 0x7f800001
	s_xor_b32 exec_lo, exec_lo, s75
	s_cbranch_execz .LBB2_2031
.LBB2_2510:                             ;   in Loop: Header=BB2_1949 Depth=4
	v_cmp_ne_u16_sdwa s76, v9, v2 src0_sel:BYTE_1 src1_sel:DWORD
	v_mov_b32_e32 v8, 0
	s_andn2_b32 s17, s17, exec_lo
	s_and_b32 s76, s76, exec_lo
	s_or_b32 s17, s17, s76
	s_or_b32 exec_lo, exec_lo, s75
	s_and_saveexec_b32 s75, s17
	s_cbranch_execnz .LBB2_2032
	s_branch .LBB2_2033
.LBB2_2511:                             ;   in Loop: Header=BB2_1949 Depth=4
	s_or_saveexec_b32 s75, s75
	v_mov_b32_e32 v8, 0x7f800001
	s_xor_b32 exec_lo, exec_lo, s75
	s_cbranch_execz .LBB2_2045
.LBB2_2512:                             ;   in Loop: Header=BB2_1949 Depth=4
	v_cmp_ne_u16_e32 vcc_lo, 0, v63
	v_mov_b32_e32 v8, 0
	s_andn2_b32 s17, s17, exec_lo
	s_and_b32 s76, vcc_lo, exec_lo
	s_or_b32 s17, s17, s76
	s_or_b32 exec_lo, exec_lo, s75
	s_and_saveexec_b32 s75, s17
	s_cbranch_execnz .LBB2_2046
	s_branch .LBB2_2047
.LBB2_2513:                             ;   in Loop: Header=BB2_1949 Depth=4
	s_or_saveexec_b32 s75, s75
	v_mov_b32_e32 v8, 0x7f800001
	s_xor_b32 exec_lo, exec_lo, s75
	s_cbranch_execz .LBB2_2059
.LBB2_2514:                             ;   in Loop: Header=BB2_1949 Depth=4
	v_cmp_ne_u16_sdwa s76, v9, v2 src0_sel:BYTE_3 src1_sel:DWORD
	v_mov_b32_e32 v8, 0
	s_andn2_b32 s17, s17, exec_lo
	s_and_b32 s76, s76, exec_lo
	s_or_b32 s17, s17, s76
	s_or_b32 exec_lo, exec_lo, s75
	s_and_saveexec_b32 s75, s17
	s_cbranch_execnz .LBB2_2060
	s_branch .LBB2_2061
.LBB2_2515:                             ;   in Loop: Header=BB2_1949 Depth=4
	s_or_saveexec_b32 s75, s75
	v_mov_b32_e32 v8, 0x7f800001
	s_xor_b32 exec_lo, exec_lo, s75
	s_cbranch_execz .LBB2_2073
.LBB2_2516:                             ;   in Loop: Header=BB2_1949 Depth=4
	v_cmp_ne_u16_sdwa s76, v10, v2 src0_sel:BYTE_0 src1_sel:DWORD
	v_mov_b32_e32 v8, 0
	s_andn2_b32 s17, s17, exec_lo
	s_and_b32 s76, s76, exec_lo
	s_or_b32 s17, s17, s76
	s_or_b32 exec_lo, exec_lo, s75
	s_and_saveexec_b32 s75, s17
	s_cbranch_execnz .LBB2_2074
	s_branch .LBB2_2075
.LBB2_2517:                             ;   in Loop: Header=BB2_1949 Depth=4
	s_or_saveexec_b32 s75, s75
	v_mov_b32_e32 v8, 0x7f800001
	s_xor_b32 exec_lo, exec_lo, s75
	s_cbranch_execz .LBB2_2087
.LBB2_2518:                             ;   in Loop: Header=BB2_1949 Depth=4
	v_cmp_ne_u16_sdwa s76, v10, v2 src0_sel:BYTE_1 src1_sel:DWORD
	v_mov_b32_e32 v8, 0
	s_andn2_b32 s17, s17, exec_lo
	s_and_b32 s76, s76, exec_lo
	s_or_b32 s17, s17, s76
	s_or_b32 exec_lo, exec_lo, s75
	s_and_saveexec_b32 s75, s17
	s_cbranch_execnz .LBB2_2088
	s_branch .LBB2_2089
.LBB2_2519:                             ;   in Loop: Header=BB2_1949 Depth=4
	s_or_saveexec_b32 s75, s75
	v_mov_b32_e32 v8, 0x7f800001
	s_xor_b32 exec_lo, exec_lo, s75
	s_cbranch_execz .LBB2_2101
.LBB2_2520:                             ;   in Loop: Header=BB2_1949 Depth=4
	v_cmp_ne_u16_e32 vcc_lo, 0, v9
	v_mov_b32_e32 v8, 0
	s_andn2_b32 s17, s17, exec_lo
	s_and_b32 s76, vcc_lo, exec_lo
	s_or_b32 s17, s17, s76
	s_or_b32 exec_lo, exec_lo, s75
	s_and_saveexec_b32 s75, s17
	s_cbranch_execnz .LBB2_2102
	s_branch .LBB2_2103
.LBB2_2521:                             ;   in Loop: Header=BB2_1949 Depth=4
	s_or_saveexec_b32 s75, s75
	v_mov_b32_e32 v8, 0x7f800001
	s_xor_b32 exec_lo, exec_lo, s75
	s_cbranch_execz .LBB2_2115
.LBB2_2522:                             ;   in Loop: Header=BB2_1949 Depth=4
	v_cmp_ne_u16_sdwa s76, v10, v2 src0_sel:BYTE_3 src1_sel:DWORD
	v_mov_b32_e32 v8, 0
	s_andn2_b32 s17, s17, exec_lo
	s_and_b32 s76, s76, exec_lo
	s_or_b32 s17, s17, s76
	s_or_b32 exec_lo, exec_lo, s75
	s_and_saveexec_b32 s75, s17
	s_cbranch_execnz .LBB2_2116
	s_branch .LBB2_2117
.LBB2_2523:                             ;   in Loop: Header=BB2_1949 Depth=4
	s_or_saveexec_b32 s75, s75
	v_mov_b32_e32 v8, 0x7f800001
	s_xor_b32 exec_lo, exec_lo, s75
	s_cbranch_execz .LBB2_2129
.LBB2_2524:                             ;   in Loop: Header=BB2_1949 Depth=4
	v_cmp_ne_u16_sdwa s76, v11, v2 src0_sel:BYTE_0 src1_sel:DWORD
	v_mov_b32_e32 v8, 0
	s_andn2_b32 s17, s17, exec_lo
	s_and_b32 s76, s76, exec_lo
	s_or_b32 s17, s17, s76
	s_or_b32 exec_lo, exec_lo, s75
	s_and_saveexec_b32 s75, s17
	s_cbranch_execnz .LBB2_2130
	s_branch .LBB2_2131
.LBB2_2525:                             ;   in Loop: Header=BB2_1949 Depth=4
	s_or_saveexec_b32 s75, s75
	v_mov_b32_e32 v8, 0x7f800001
	s_xor_b32 exec_lo, exec_lo, s75
	s_cbranch_execz .LBB2_2143
.LBB2_2526:                             ;   in Loop: Header=BB2_1949 Depth=4
	v_cmp_ne_u16_sdwa s76, v11, v2 src0_sel:BYTE_1 src1_sel:DWORD
	v_mov_b32_e32 v8, 0
	s_andn2_b32 s17, s17, exec_lo
	s_and_b32 s76, s76, exec_lo
	s_or_b32 s17, s17, s76
	s_or_b32 exec_lo, exec_lo, s75
	s_and_saveexec_b32 s75, s17
	s_cbranch_execnz .LBB2_2144
	s_branch .LBB2_2145
.LBB2_2527:                             ;   in Loop: Header=BB2_1949 Depth=4
	s_or_saveexec_b32 s75, s75
	v_mov_b32_e32 v8, 0x7f800001
	s_xor_b32 exec_lo, exec_lo, s75
	s_cbranch_execz .LBB2_2157
.LBB2_2528:                             ;   in Loop: Header=BB2_1949 Depth=4
	v_cmp_ne_u16_e32 vcc_lo, 0, v9
	v_mov_b32_e32 v8, 0
	s_andn2_b32 s17, s17, exec_lo
	s_and_b32 s76, vcc_lo, exec_lo
	s_or_b32 s17, s17, s76
	s_or_b32 exec_lo, exec_lo, s75
	s_and_saveexec_b32 s75, s17
	s_cbranch_execnz .LBB2_2158
	s_branch .LBB2_2159
.LBB2_2529:                             ;   in Loop: Header=BB2_1949 Depth=4
	s_or_saveexec_b32 s75, s75
	v_mov_b32_e32 v8, 0x7f800001
	s_xor_b32 exec_lo, exec_lo, s75
	s_cbranch_execz .LBB2_2171
.LBB2_2530:                             ;   in Loop: Header=BB2_1949 Depth=4
	v_cmp_ne_u16_sdwa s76, v11, v2 src0_sel:BYTE_3 src1_sel:DWORD
	v_mov_b32_e32 v8, 0
	s_andn2_b32 s17, s17, exec_lo
	s_and_b32 s76, s76, exec_lo
	s_or_b32 s17, s17, s76
	s_or_b32 exec_lo, exec_lo, s75
	s_and_saveexec_b32 s75, s17
	s_cbranch_execnz .LBB2_2172
	s_branch .LBB2_2173
.LBB2_2531:                             ;   in Loop: Header=BB2_1949 Depth=4
	s_or_saveexec_b32 s74, s74
	v_mov_b32_e32 v62, 0x7f800001
	s_xor_b32 exec_lo, exec_lo, s74
	s_cbranch_execz .LBB2_2185
.LBB2_2532:                             ;   in Loop: Header=BB2_1949 Depth=4
	v_cmp_ne_u16_sdwa s75, v94, v2 src0_sel:BYTE_0 src1_sel:DWORD
	v_mov_b32_e32 v62, 0
	s_andn2_b32 s17, s17, exec_lo
	s_and_b32 s75, s75, exec_lo
	s_or_b32 s17, s17, s75
	s_or_b32 exec_lo, exec_lo, s74
	s_and_saveexec_b32 s74, s17
	s_cbranch_execnz .LBB2_2186
	s_branch .LBB2_2187
.LBB2_2533:                             ;   in Loop: Header=BB2_1949 Depth=4
	s_or_saveexec_b32 s74, s74
	v_mov_b32_e32 v73, 0x7f800001
	s_xor_b32 exec_lo, exec_lo, s74
	s_cbranch_execz .LBB2_2191
.LBB2_2534:                             ;   in Loop: Header=BB2_1949 Depth=4
	v_cmp_ne_u16_sdwa s75, v8, v2 src0_sel:BYTE_0 src1_sel:DWORD
	v_mov_b32_e32 v73, 0
	s_andn2_b32 s17, s17, exec_lo
	s_and_b32 s75, s75, exec_lo
	s_or_b32 s17, s17, s75
	s_or_b32 exec_lo, exec_lo, s74
	s_and_saveexec_b32 s74, s17
	s_cbranch_execnz .LBB2_2192
	s_branch .LBB2_2193
.LBB2_2535:                             ;   in Loop: Header=BB2_1949 Depth=4
	s_or_saveexec_b32 s74, s74
	v_mov_b32_e32 v73, 0x7f800001
	s_xor_b32 exec_lo, exec_lo, s74
	s_cbranch_execz .LBB2_2205
.LBB2_2536:                             ;   in Loop: Header=BB2_1949 Depth=4
	v_cmp_ne_u16_sdwa s75, v94, v2 src0_sel:BYTE_1 src1_sel:DWORD
	v_mov_b32_e32 v73, 0
	s_andn2_b32 s17, s17, exec_lo
	s_and_b32 s75, s75, exec_lo
	s_or_b32 s17, s17, s75
	s_or_b32 exec_lo, exec_lo, s74
	s_and_saveexec_b32 s74, s17
	s_cbranch_execnz .LBB2_2206
	s_branch .LBB2_2207
.LBB2_2537:                             ;   in Loop: Header=BB2_1949 Depth=4
	s_or_saveexec_b32 s74, s74
	v_mov_b32_e32 v95, 0x7f800001
	s_xor_b32 exec_lo, exec_lo, s74
	s_cbranch_execz .LBB2_2211
.LBB2_2538:                             ;   in Loop: Header=BB2_1949 Depth=4
	v_cmp_ne_u16_sdwa s75, v8, v2 src0_sel:BYTE_1 src1_sel:DWORD
	v_mov_b32_e32 v95, 0
	s_andn2_b32 s17, s17, exec_lo
	s_and_b32 s75, s75, exec_lo
	s_or_b32 s17, s17, s75
	s_or_b32 exec_lo, exec_lo, s74
	s_and_saveexec_b32 s74, s17
	s_cbranch_execnz .LBB2_2212
	s_branch .LBB2_2213
.LBB2_2539:                             ;   in Loop: Header=BB2_1949 Depth=4
	s_or_saveexec_b32 s74, s74
	v_mov_b32_e32 v78, 0x7f800001
	s_xor_b32 exec_lo, exec_lo, s74
	s_cbranch_execz .LBB2_2225
.LBB2_2540:                             ;   in Loop: Header=BB2_1949 Depth=4
	v_cmp_ne_u16_sdwa s75, v93, v2 src0_sel:BYTE_0 src1_sel:DWORD
	v_mov_b32_e32 v78, 0
	s_andn2_b32 s17, s17, exec_lo
	s_and_b32 s75, s75, exec_lo
	s_or_b32 s17, s17, s75
	s_or_b32 exec_lo, exec_lo, s74
	v_lshl_or_b32 v93, v93, 16, v94
	s_and_saveexec_b32 s74, s17
	s_cbranch_execnz .LBB2_2226
	s_branch .LBB2_2227
.LBB2_2541:                             ;   in Loop: Header=BB2_1949 Depth=4
	s_or_saveexec_b32 s74, s74
	v_mov_b32_e32 v94, 0x7f800001
	s_xor_b32 exec_lo, exec_lo, s74
	s_cbranch_execz .LBB2_2231
.LBB2_2542:                             ;   in Loop: Header=BB2_1949 Depth=4
	v_cmp_ne_u16_e32 vcc_lo, 0, v95
	v_mov_b32_e32 v94, 0
	s_andn2_b32 s17, s17, exec_lo
	s_and_b32 s75, vcc_lo, exec_lo
	s_or_b32 s17, s17, s75
	s_or_b32 exec_lo, exec_lo, s74
	s_and_saveexec_b32 s74, s17
	s_cbranch_execnz .LBB2_2232
	s_branch .LBB2_2233
.LBB2_2543:                             ;   in Loop: Header=BB2_1949 Depth=4
	s_or_saveexec_b32 s74, s74
	v_mov_b32_e32 v94, 0x7f800001
	s_xor_b32 exec_lo, exec_lo, s74
	s_cbranch_execz .LBB2_2245
.LBB2_2544:                             ;   in Loop: Header=BB2_1949 Depth=4
	v_cmp_ne_u16_sdwa s75, v93, v2 src0_sel:BYTE_3 src1_sel:DWORD
	v_mov_b32_e32 v94, 0
	s_andn2_b32 s17, s17, exec_lo
	s_and_b32 s75, s75, exec_lo
	s_or_b32 s17, s17, s75
	s_or_b32 exec_lo, exec_lo, s74
	s_and_saveexec_b32 s74, s17
	s_cbranch_execnz .LBB2_2246
	s_branch .LBB2_2247
.LBB2_2545:                             ;   in Loop: Header=BB2_1949 Depth=4
	s_or_saveexec_b32 s74, s74
	v_mov_b32_e32 v93, 0x7f800001
	s_xor_b32 exec_lo, exec_lo, s74
	s_cbranch_execz .LBB2_2251
.LBB2_2546:                             ;   in Loop: Header=BB2_1949 Depth=4
	v_cmp_ne_u16_sdwa s75, v8, v2 src0_sel:BYTE_3 src1_sel:DWORD
	v_mov_b32_e32 v93, 0
	s_andn2_b32 s17, s17, exec_lo
	s_and_b32 s75, s75, exec_lo
	s_or_b32 s17, s17, s75
	s_or_b32 exec_lo, exec_lo, s74
	s_and_saveexec_b32 s74, s17
	s_cbranch_execnz .LBB2_2252
	s_branch .LBB2_2253
.LBB2_2547:                             ;   in Loop: Header=BB2_1949 Depth=4
	s_or_saveexec_b32 s74, s74
	v_mov_b32_e32 v90, 0x7f800001
	s_xor_b32 exec_lo, exec_lo, s74
	s_cbranch_execz .LBB2_2265
.LBB2_2548:                             ;   in Loop: Header=BB2_1949 Depth=4
	v_cmp_ne_u16_sdwa s75, v93, v2 src0_sel:BYTE_0 src1_sel:DWORD
	v_mov_b32_e32 v90, 0
	s_andn2_b32 s17, s17, exec_lo
	s_and_b32 s75, s75, exec_lo
	s_or_b32 s17, s17, s75
	s_or_b32 exec_lo, exec_lo, s74
	s_and_saveexec_b32 s74, s17
	s_cbranch_execnz .LBB2_2266
	s_branch .LBB2_2267
.LBB2_2549:                             ;   in Loop: Header=BB2_1949 Depth=4
	s_or_saveexec_b32 s74, s74
	v_mov_b32_e32 v92, 0x7f800001
	s_xor_b32 exec_lo, exec_lo, s74
	s_cbranch_execz .LBB2_2271
.LBB2_2550:                             ;   in Loop: Header=BB2_1949 Depth=4
	v_cmp_ne_u16_sdwa s75, v9, v2 src0_sel:BYTE_0 src1_sel:DWORD
	v_mov_b32_e32 v92, 0
	s_andn2_b32 s17, s17, exec_lo
	s_and_b32 s75, s75, exec_lo
	s_or_b32 s17, s17, s75
	s_or_b32 exec_lo, exec_lo, s74
	s_and_saveexec_b32 s74, s17
	s_cbranch_execnz .LBB2_2272
	s_branch .LBB2_2273
.LBB2_2551:                             ;   in Loop: Header=BB2_1949 Depth=4
	s_or_saveexec_b32 s74, s74
	v_mov_b32_e32 v92, 0x7f800001
	s_xor_b32 exec_lo, exec_lo, s74
	s_cbranch_execz .LBB2_2285
.LBB2_2552:                             ;   in Loop: Header=BB2_1949 Depth=4
	v_cmp_ne_u16_sdwa s75, v93, v2 src0_sel:BYTE_1 src1_sel:DWORD
	v_mov_b32_e32 v92, 0
	s_andn2_b32 s17, s17, exec_lo
	s_and_b32 s75, s75, exec_lo
	s_or_b32 s17, s17, s75
	s_or_b32 exec_lo, exec_lo, s74
	s_and_saveexec_b32 s74, s17
	s_cbranch_execnz .LBB2_2286
	s_branch .LBB2_2287
.LBB2_2553:                             ;   in Loop: Header=BB2_1949 Depth=4
	s_or_saveexec_b32 s74, s74
	v_mov_b32_e32 v94, 0x7f800001
	s_xor_b32 exec_lo, exec_lo, s74
	s_cbranch_execz .LBB2_2291
.LBB2_2554:                             ;   in Loop: Header=BB2_1949 Depth=4
	v_cmp_ne_u16_sdwa s75, v9, v2 src0_sel:BYTE_1 src1_sel:DWORD
	v_mov_b32_e32 v94, 0
	s_andn2_b32 s17, s17, exec_lo
	s_and_b32 s75, s75, exec_lo
	s_or_b32 s17, s17, s75
	s_or_b32 exec_lo, exec_lo, s74
	s_and_saveexec_b32 s74, s17
	s_cbranch_execnz .LBB2_2292
	s_branch .LBB2_2293
.LBB2_2555:                             ;   in Loop: Header=BB2_1949 Depth=4
	s_or_saveexec_b32 s74, s74
	v_mov_b32_e32 v88, 0x7f800001
	s_xor_b32 exec_lo, exec_lo, s74
	s_cbranch_execz .LBB2_2305
.LBB2_2556:                             ;   in Loop: Header=BB2_1949 Depth=4
	v_cmp_ne_u16_sdwa s75, v91, v2 src0_sel:BYTE_0 src1_sel:DWORD
	v_mov_b32_e32 v88, 0
	s_andn2_b32 s17, s17, exec_lo
	s_and_b32 s75, s75, exec_lo
	s_or_b32 s17, s17, s75
	s_or_b32 exec_lo, exec_lo, s74
	v_lshl_or_b32 v91, v91, 16, v93
	s_and_saveexec_b32 s74, s17
	s_cbranch_execnz .LBB2_2306
	s_branch .LBB2_2307
.LBB2_2557:                             ;   in Loop: Header=BB2_1949 Depth=4
	s_or_saveexec_b32 s74, s74
	v_mov_b32_e32 v93, 0x7f800001
	s_xor_b32 exec_lo, exec_lo, s74
	s_cbranch_execz .LBB2_2311
.LBB2_2558:                             ;   in Loop: Header=BB2_1949 Depth=4
	v_cmp_ne_u16_e32 vcc_lo, 0, v94
	v_mov_b32_e32 v93, 0
	s_andn2_b32 s17, s17, exec_lo
	s_and_b32 s75, vcc_lo, exec_lo
	s_or_b32 s17, s17, s75
	s_or_b32 exec_lo, exec_lo, s74
	s_and_saveexec_b32 s74, s17
	s_cbranch_execnz .LBB2_2312
	s_branch .LBB2_2313
.LBB2_2559:                             ;   in Loop: Header=BB2_1949 Depth=4
	s_or_saveexec_b32 s74, s74
	v_mov_b32_e32 v93, 0x7f800001
	s_xor_b32 exec_lo, exec_lo, s74
	s_cbranch_execz .LBB2_2325
.LBB2_2560:                             ;   in Loop: Header=BB2_1949 Depth=4
	v_cmp_ne_u16_sdwa s75, v91, v2 src0_sel:BYTE_3 src1_sel:DWORD
	v_mov_b32_e32 v93, 0
	s_andn2_b32 s17, s17, exec_lo
	s_and_b32 s75, s75, exec_lo
	s_or_b32 s17, s17, s75
	s_or_b32 exec_lo, exec_lo, s74
	s_and_saveexec_b32 s74, s17
	s_cbranch_execnz .LBB2_2326
	s_branch .LBB2_2327
.LBB2_2561:                             ;   in Loop: Header=BB2_1949 Depth=4
	s_or_saveexec_b32 s74, s74
	v_mov_b32_e32 v91, 0x7f800001
	s_xor_b32 exec_lo, exec_lo, s74
	s_cbranch_execz .LBB2_2331
.LBB2_2562:                             ;   in Loop: Header=BB2_1949 Depth=4
	v_cmp_ne_u16_sdwa s75, v9, v2 src0_sel:BYTE_3 src1_sel:DWORD
	v_mov_b32_e32 v91, 0
	s_andn2_b32 s17, s17, exec_lo
	s_and_b32 s75, s75, exec_lo
	s_or_b32 s17, s17, s75
	s_or_b32 exec_lo, exec_lo, s74
	s_and_saveexec_b32 s74, s17
	s_cbranch_execnz .LBB2_2332
	s_branch .LBB2_2333
.LBB2_2563:                             ;   in Loop: Header=BB2_1949 Depth=4
	s_or_saveexec_b32 s74, s74
	v_mov_b32_e32 v77, 0x7f800001
	s_xor_b32 exec_lo, exec_lo, s74
	s_cbranch_execz .LBB2_2345
.LBB2_2564:                             ;   in Loop: Header=BB2_1949 Depth=4
	v_cmp_ne_u16_sdwa s75, v91, v2 src0_sel:BYTE_0 src1_sel:DWORD
	v_mov_b32_e32 v77, 0
	s_andn2_b32 s17, s17, exec_lo
	s_and_b32 s75, s75, exec_lo
	s_or_b32 s17, s17, s75
	s_or_b32 exec_lo, exec_lo, s74
	s_and_saveexec_b32 s74, s17
	s_cbranch_execnz .LBB2_2346
	s_branch .LBB2_2347
.LBB2_2565:                             ;   in Loop: Header=BB2_1949 Depth=4
	s_or_saveexec_b32 s74, s74
	v_mov_b32_e32 v89, 0x7f800001
	s_xor_b32 exec_lo, exec_lo, s74
	s_cbranch_execz .LBB2_2351
.LBB2_2566:                             ;   in Loop: Header=BB2_1949 Depth=4
	v_cmp_ne_u16_sdwa s75, v10, v2 src0_sel:BYTE_0 src1_sel:DWORD
	v_mov_b32_e32 v89, 0
	s_andn2_b32 s17, s17, exec_lo
	s_and_b32 s75, s75, exec_lo
	s_or_b32 s17, s17, s75
	s_or_b32 exec_lo, exec_lo, s74
	s_and_saveexec_b32 s74, s17
	s_cbranch_execnz .LBB2_2352
	s_branch .LBB2_2353
.LBB2_2567:                             ;   in Loop: Header=BB2_1949 Depth=4
	s_or_saveexec_b32 s74, s74
	v_mov_b32_e32 v89, 0x7f800001
	s_xor_b32 exec_lo, exec_lo, s74
	s_cbranch_execz .LBB2_2365
.LBB2_2568:                             ;   in Loop: Header=BB2_1949 Depth=4
	v_cmp_ne_u16_sdwa s75, v91, v2 src0_sel:BYTE_1 src1_sel:DWORD
	v_mov_b32_e32 v89, 0
	s_andn2_b32 s17, s17, exec_lo
	s_and_b32 s75, s75, exec_lo
	s_or_b32 s17, s17, s75
	s_or_b32 exec_lo, exec_lo, s74
	s_and_saveexec_b32 s74, s17
	s_cbranch_execnz .LBB2_2366
	s_branch .LBB2_2367
.LBB2_2569:                             ;   in Loop: Header=BB2_1949 Depth=4
	s_or_saveexec_b32 s74, s74
	v_mov_b32_e32 v93, 0x7f800001
	s_xor_b32 exec_lo, exec_lo, s74
	s_cbranch_execz .LBB2_2371
.LBB2_2570:                             ;   in Loop: Header=BB2_1949 Depth=4
	v_cmp_ne_u16_sdwa s75, v10, v2 src0_sel:BYTE_1 src1_sel:DWORD
	v_mov_b32_e32 v93, 0
	s_andn2_b32 s17, s17, exec_lo
	s_and_b32 s75, s75, exec_lo
	s_or_b32 s17, s17, s75
	s_or_b32 exec_lo, exec_lo, s74
	s_and_saveexec_b32 s74, s17
	s_cbranch_execnz .LBB2_2372
	s_branch .LBB2_2373
.LBB2_2571:                             ;   in Loop: Header=BB2_1949 Depth=4
	s_or_saveexec_b32 s74, s74
	v_mov_b32_e32 v75, 0x7f800001
	s_xor_b32 exec_lo, exec_lo, s74
	s_cbranch_execz .LBB2_2385
.LBB2_2572:                             ;   in Loop: Header=BB2_1949 Depth=4
	v_cmp_ne_u16_sdwa s75, v79, v2 src0_sel:BYTE_0 src1_sel:DWORD
	v_mov_b32_e32 v75, 0
	s_andn2_b32 s17, s17, exec_lo
	s_and_b32 s75, s75, exec_lo
	s_or_b32 s17, s17, s75
	s_or_b32 exec_lo, exec_lo, s74
	v_lshl_or_b32 v79, v79, 16, v91
	s_and_saveexec_b32 s74, s17
	s_cbranch_execnz .LBB2_2386
	s_branch .LBB2_2387
.LBB2_2573:                             ;   in Loop: Header=BB2_1949 Depth=4
	s_or_saveexec_b32 s74, s74
	v_mov_b32_e32 v91, 0x7f800001
	s_xor_b32 exec_lo, exec_lo, s74
	s_cbranch_execz .LBB2_2391
.LBB2_2574:                             ;   in Loop: Header=BB2_1949 Depth=4
	v_cmp_ne_u16_e32 vcc_lo, 0, v93
	v_mov_b32_e32 v91, 0
	s_andn2_b32 s17, s17, exec_lo
	s_and_b32 s75, vcc_lo, exec_lo
	s_or_b32 s17, s17, s75
	s_or_b32 exec_lo, exec_lo, s74
	s_and_saveexec_b32 s74, s17
	s_cbranch_execnz .LBB2_2392
	s_branch .LBB2_2393
.LBB2_2575:                             ;   in Loop: Header=BB2_1949 Depth=4
	s_or_saveexec_b32 s74, s74
	v_mov_b32_e32 v91, 0x7f800001
	s_xor_b32 exec_lo, exec_lo, s74
	s_cbranch_execz .LBB2_2405
.LBB2_2576:                             ;   in Loop: Header=BB2_1949 Depth=4
	v_cmp_ne_u16_sdwa s75, v79, v2 src0_sel:BYTE_3 src1_sel:DWORD
	v_mov_b32_e32 v91, 0
	s_andn2_b32 s17, s17, exec_lo
	s_and_b32 s75, s75, exec_lo
	s_or_b32 s17, s17, s75
	s_or_b32 exec_lo, exec_lo, s74
	s_and_saveexec_b32 s74, s17
	s_cbranch_execnz .LBB2_2406
	s_branch .LBB2_2407
.LBB2_2577:                             ;   in Loop: Header=BB2_1949 Depth=4
	s_or_saveexec_b32 s74, s74
	v_mov_b32_e32 v79, 0x7f800001
	s_xor_b32 exec_lo, exec_lo, s74
	s_cbranch_execz .LBB2_2411
.LBB2_2578:                             ;   in Loop: Header=BB2_1949 Depth=4
	v_cmp_ne_u16_sdwa s75, v10, v2 src0_sel:BYTE_3 src1_sel:DWORD
	v_mov_b32_e32 v79, 0
	s_andn2_b32 s17, s17, exec_lo
	s_and_b32 s75, s75, exec_lo
	s_or_b32 s17, s17, s75
	s_or_b32 exec_lo, exec_lo, s74
	s_and_saveexec_b32 s74, s17
	s_cbranch_execnz .LBB2_2412
	s_branch .LBB2_2413
.LBB2_2579:                             ;   in Loop: Header=BB2_1949 Depth=4
	s_or_saveexec_b32 s74, s74
	v_mov_b32_e32 v72, 0x7f800001
	s_xor_b32 exec_lo, exec_lo, s74
	s_cbranch_execz .LBB2_2425
.LBB2_2580:                             ;   in Loop: Header=BB2_1949 Depth=4
	v_cmp_ne_u16_sdwa s75, v76, v2 src0_sel:BYTE_0 src1_sel:DWORD
	v_mov_b32_e32 v72, 0
	s_andn2_b32 s17, s17, exec_lo
	s_and_b32 s75, s75, exec_lo
	s_or_b32 s17, s17, s75
	s_or_b32 exec_lo, exec_lo, s74
	s_and_saveexec_b32 s74, s17
	s_cbranch_execnz .LBB2_2426
	s_branch .LBB2_2427
.LBB2_2581:                             ;   in Loop: Header=BB2_1949 Depth=4
	s_or_saveexec_b32 s74, s74
	v_mov_b32_e32 v79, 0x7f800001
	s_xor_b32 exec_lo, exec_lo, s74
	s_cbranch_execz .LBB2_2431
.LBB2_2582:                             ;   in Loop: Header=BB2_1949 Depth=4
	v_cmp_ne_u16_sdwa s75, v11, v2 src0_sel:BYTE_0 src1_sel:DWORD
	v_mov_b32_e32 v79, 0
	s_andn2_b32 s17, s17, exec_lo
	s_and_b32 s75, s75, exec_lo
	s_or_b32 s17, s17, s75
	s_or_b32 exec_lo, exec_lo, s74
	s_and_saveexec_b32 s74, s17
	s_cbranch_execnz .LBB2_2432
	s_branch .LBB2_2433
.LBB2_2583:                             ;   in Loop: Header=BB2_1949 Depth=4
	s_or_saveexec_b32 s74, s74
	v_mov_b32_e32 v79, 0x7f800001
	s_xor_b32 exec_lo, exec_lo, s74
	s_cbranch_execz .LBB2_2445
.LBB2_2584:                             ;   in Loop: Header=BB2_1949 Depth=4
	v_cmp_ne_u16_sdwa s75, v76, v2 src0_sel:BYTE_1 src1_sel:DWORD
	v_mov_b32_e32 v79, 0
	s_andn2_b32 s17, s17, exec_lo
	s_and_b32 s75, s75, exec_lo
	s_or_b32 s17, s17, s75
	s_or_b32 exec_lo, exec_lo, s74
	s_and_saveexec_b32 s74, s17
	s_cbranch_execnz .LBB2_2446
	s_branch .LBB2_2447
.LBB2_2585:                             ;   in Loop: Header=BB2_1949 Depth=4
	s_or_saveexec_b32 s74, s74
	v_mov_b32_e32 v91, 0x7f800001
	s_xor_b32 exec_lo, exec_lo, s74
	s_cbranch_execz .LBB2_2451
.LBB2_2586:                             ;   in Loop: Header=BB2_1949 Depth=4
	v_cmp_ne_u16_sdwa s75, v11, v2 src0_sel:BYTE_1 src1_sel:DWORD
	v_mov_b32_e32 v91, 0
	s_andn2_b32 s17, s17, exec_lo
	s_and_b32 s75, s75, exec_lo
	s_or_b32 s17, s17, s75
	s_or_b32 exec_lo, exec_lo, s74
	s_and_saveexec_b32 s74, s17
	s_cbranch_execnz .LBB2_2452
	s_branch .LBB2_2453
.LBB2_2587:                             ;   in Loop: Header=BB2_1949 Depth=4
	s_or_saveexec_b32 s74, s74
	v_mov_b32_e32 v63, 0x7f800001
	s_xor_b32 exec_lo, exec_lo, s74
	s_cbranch_execz .LBB2_2465
.LBB2_2588:                             ;   in Loop: Header=BB2_1949 Depth=4
	v_cmp_ne_u16_sdwa s75, v74, v2 src0_sel:BYTE_0 src1_sel:DWORD
	v_mov_b32_e32 v63, 0
	s_andn2_b32 s17, s17, exec_lo
	s_and_b32 s75, s75, exec_lo
	s_or_b32 s17, s17, s75
	s_or_b32 exec_lo, exec_lo, s74
	v_lshl_or_b32 v74, v74, 16, v76
	s_and_saveexec_b32 s74, s17
	s_cbranch_execnz .LBB2_2466
	s_branch .LBB2_2467
.LBB2_2589:                             ;   in Loop: Header=BB2_1949 Depth=4
	s_or_saveexec_b32 s74, s74
	v_mov_b32_e32 v76, 0x7f800001
	s_xor_b32 exec_lo, exec_lo, s74
	s_cbranch_execz .LBB2_2471
.LBB2_2590:                             ;   in Loop: Header=BB2_1949 Depth=4
	v_cmp_ne_u16_e32 vcc_lo, 0, v91
	v_mov_b32_e32 v76, 0
	s_andn2_b32 s17, s17, exec_lo
	s_and_b32 s75, vcc_lo, exec_lo
	s_or_b32 s17, s17, s75
	s_or_b32 exec_lo, exec_lo, s74
	s_and_saveexec_b32 s74, s17
	s_cbranch_execnz .LBB2_2472
	s_branch .LBB2_2473
.LBB2_2591:                             ;   in Loop: Header=BB2_1949 Depth=4
	s_or_saveexec_b32 s74, s74
	v_mov_b32_e32 v76, 0x7f800001
	s_xor_b32 exec_lo, exec_lo, s74
	s_cbranch_execz .LBB2_2485
.LBB2_2592:                             ;   in Loop: Header=BB2_1949 Depth=4
	v_cmp_ne_u16_sdwa s75, v74, v2 src0_sel:BYTE_3 src1_sel:DWORD
	v_mov_b32_e32 v76, 0
	s_andn2_b32 s17, s17, exec_lo
	s_and_b32 s75, s75, exec_lo
	s_or_b32 s17, s17, s75
	s_or_b32 exec_lo, exec_lo, s74
	s_and_saveexec_b32 s74, s17
	s_cbranch_execnz .LBB2_2486
	s_branch .LBB2_2487
.LBB2_2593:                             ;   in Loop: Header=BB2_1949 Depth=4
	s_or_saveexec_b32 s74, s74
	v_mov_b32_e32 v74, 0x7f800001
	s_xor_b32 exec_lo, exec_lo, s74
	s_cbranch_execz .LBB2_2491
.LBB2_2594:                             ;   in Loop: Header=BB2_1949 Depth=4
	v_cmp_ne_u16_sdwa s75, v11, v2 src0_sel:BYTE_3 src1_sel:DWORD
	v_mov_b32_e32 v74, 0
	s_andn2_b32 s17, s17, exec_lo
	s_and_b32 s75, s75, exec_lo
	s_or_b32 s17, s17, s75
	s_or_b32 exec_lo, exec_lo, s74
	s_and_saveexec_b32 s74, s17
	s_cbranch_execnz .LBB2_2492
	s_branch .LBB2_2493
.LBB2_2595:                             ;   in Loop: Header=BB2_1216 Depth=3
	s_or_b32 exec_lo, exec_lo, s63
.LBB2_2596:                             ;   in Loop: Header=BB2_1216 Depth=3
	s_or_b32 exec_lo, exec_lo, s62
	v_and_b32_e32 v8, 15, v56
	v_cmp_lt_i32_e32 vcc_lo, 0, v60
	v_sub_nc_u32_e32 v9, v57, v8
	v_cndmask_b32_e32 v10, 0, v83, vcc_lo
	v_cndmask_b32_e64 v67, v57, v8, s16
	v_cndmask_b32_e64 v8, 0, v9, s16
	v_sub_nc_u32_e32 v9, v10, v60
	v_cmp_ne_u32_e32 vcc_lo, 0, v67
	v_add3_u32 v66, v59, v51, v8
	v_lshl_add_u32 v68, v9, 5, v58
	s_and_b32 s62, vcc_lo, exec_lo
.LBB2_2597:                             ;   in Loop: Header=BB2_1216 Depth=3
	s_or_b32 exec_lo, exec_lo, s61
	s_and_saveexec_b32 s17, s62
	s_cbranch_execz .LBB2_2982
.LBB2_2598:                             ;   in Loop: Header=BB2_1216 Depth=3
	v_ashrrev_i32_e32 v8, 31, v68
	v_ashrrev_i32_e32 v9, 31, v67
	s_mov_b32 s61, exec_lo
	v_lshrrev_b32_e32 v8, 27, v8
	v_add_nc_u32_sdwa v9, v67, v9 dst_sel:DWORD dst_unused:UNUSED_PAD src0_sel:DWORD src1_sel:BYTE_3
	v_add_nc_u32_e32 v8, v68, v8
	v_ashrrev_i32_e32 v70, 8, v9
	v_ashrrev_i32_e32 v51, 5, v8
	v_sub_nc_u32_e32 v69, v70, v51
	v_cmpx_lt_i32_e32 0, v69
	s_cbranch_execz .LBB2_2930
; %bb.2599:                             ;   in Loop: Header=BB2_1216 Depth=3
	v_and_b32_e32 v8, 0xffffffe0, v8
	s_trap 2
	ds_read_b64 v[10:11], v0
	v_lshlrev_b32_e32 v9, 8, v51
	v_add_co_u32 v64, vcc_lo, 0xe0, v64
	v_sub_nc_u32_e32 v8, v68, v8
	v_add_co_ci_u32_e64 v65, null, 0, v65, vcc_lo
	s_mov_b32 s62, 0
	v_add3_u32 v71, v66, v8, v9
	v_ashrrev_i32_e32 v56, 31, v71
	v_add_co_u32 v8, vcc_lo, v71, v54
	v_add_co_ci_u32_e64 v9, null, v56, v55, vcc_lo
	s_waitcnt lgkmcnt(0)
	v_add_co_u32 v10, vcc_lo, v10, v71
	v_add_co_ci_u32_e64 v11, null, v11, v56, vcc_lo
	v_add_co_u32 v54, vcc_lo, v64, v71
	v_add_co_ci_u32_e64 v55, null, v65, v56, vcc_lo
	s_branch .LBB2_2603
.LBB2_2600:                             ;   in Loop: Header=BB2_2603 Depth=4
	s_or_b32 exec_lo, exec_lo, s16
	v_lshrrev_b32_e32 v58, 21, v58
	v_cmp_gt_i32_e32 vcc_lo, 32, v65
	v_min_i32_e32 v63, 31, v65
	v_and_b32_sdwa v64, v64, v98 dst_sel:DWORD dst_unused:UNUSED_PAD src0_sel:BYTE_3 src1_sel:DWORD
	v_cndmask_b32_e32 v58, 3, v58, vcc_lo
	v_lshlrev_b32_e32 v63, 2, v63
	v_and_b32_e32 v72, 3, v58
	v_or_b32_e32 v65, v65, v58
	v_or3_b32 v64, v63, v64, v72
	v_cmp_ne_u32_e32 vcc_lo, 0, v65
	v_cndmask_b32_e32 v65, 0, v64, vcc_lo
.LBB2_2601:                             ;   in Loop: Header=BB2_2603 Depth=4
	s_or_b32 exec_lo, exec_lo, s72
.LBB2_2602:                             ;   in Loop: Header=BB2_2603 Depth=4
	s_or_b32 exec_lo, exec_lo, s63
	v_add_co_u32 v63, vcc_lo, 0xffffff20, v54
	v_add_co_ci_u32_e64 v64, null, -1, v55, vcc_lo
	v_add_co_u32 v72, vcc_lo, 0xffffff40, v54
	v_add_co_ci_u32_e64 v73, null, -1, v55, vcc_lo
	flat_store_byte v[63:64], v71 glc slc
	flat_store_byte v[72:73], v61 glc slc
	v_add_co_u32 v63, vcc_lo, 0xffffff60, v54
	v_add_co_ci_u32_e64 v64, null, -1, v55, vcc_lo
	v_add_co_u32 v71, vcc_lo, 0xffffff80, v54
	v_add_co_ci_u32_e64 v72, null, -1, v55, vcc_lo
	;; [unrolled: 2-line block ×4, first 2 shown]
	v_add_co_u32 v77, vcc_lo, 0xffffffe0, v54
	v_sub_nc_u32_e32 v69, v69, v83
	v_add_co_ci_u32_e64 v78, null, -1, v55, vcc_lo
	v_add_co_u32 v8, vcc_lo, v8, v115
	v_add_co_ci_u32_e64 v9, null, 0, v9, vcc_lo
	v_add_co_u32 v10, vcc_lo, v10, v115
	flat_store_byte v[63:64], v62 glc slc
	flat_store_byte v[71:72], v60 glc slc
	;; [unrolled: 1-line block ×6, first 2 shown]
	v_add_co_ci_u32_e64 v11, null, 0, v11, vcc_lo
	v_cmp_gt_i32_e32 vcc_lo, 1, v69
	v_add_co_u32 v54, s16, v54, v115
	v_add_co_ci_u32_e64 v55, null, 0, v55, s16
	s_or_b32 s62, vcc_lo, s62
	s_andn2_b32 exec_lo, exec_lo, s62
	s_cbranch_execz .LBB2_2929
.LBB2_2603:                             ;   Parent Loop BB2_47 Depth=1
                                        ;     Parent Loop BB2_1213 Depth=2
                                        ;       Parent Loop BB2_1216 Depth=3
                                        ; =>      This Inner Loop Header: Depth=4
	s_trap 2
	ds_read_b64 v[64:65], v0
	s_waitcnt lgkmcnt(0)
	v_readfirstlane_b32 s16, v64
	s_and_b32 s63, s16, 0xff
	s_cmpk_lt_i32 s63, 0x80
	s_cbranch_scc1 .LBB2_2607
; %bb.2604:                             ;   in Loop: Header=BB2_2603 Depth=4
	s_and_b32 s72, 0xffff, s63
	s_cmpk_eq_i32 s72, 0x80
	s_mov_b32 s72, -1
	s_cbranch_scc0 .LBB2_2606
; %bb.2605:                             ;   in Loop: Header=BB2_2603 Depth=4
	s_mov_b32 s72, 0
.LBB2_2606:                             ;   in Loop: Header=BB2_2603 Depth=4
	s_mov_b32 s73, 0x7f800001
	s_branch .LBB2_2609
.LBB2_2607:                             ;   in Loop: Header=BB2_2603 Depth=4
	s_mov_b32 s72, 0
	s_mov_b32 s73, 0x7f800001
	s_cbranch_execz .LBB2_2609
; %bb.2608:                             ;   in Loop: Header=BB2_2603 Depth=4
	s_and_b32 s63, 0xffff, s63
	s_mov_b32 s73, 0
	s_cmp_lg_u32 s63, 0
	s_cselect_b32 s72, -1, 0
.LBB2_2609:                             ;   in Loop: Header=BB2_2603 Depth=4
	v_mov_b32_e32 v65, s73
	s_andn2_b32 vcc_lo, exec_lo, s72
	s_cbranch_vccnz .LBB2_2611
; %bb.2610:                             ;   in Loop: Header=BB2_2603 Depth=4
	s_and_b32 s63, s16, 3
	s_bfe_u32 s73, s16, 0x50002
	s_flbit_i32_b32 s72, s63
	v_lshlrev_b32_e32 v64, 24, v64
	s_min_u32 s72, s72, 32
	s_sub_i32 s74, s72, 29
	s_sub_i32 s72, 30, s72
	s_lshl_b32 s16, s16, s74
	v_and_b32_e32 v64, 0x80000000, v64
	s_and_b32 s16, s16, 3
	s_cmp_eq_u32 s73, 0
	s_cselect_b32 s72, s72, s73
	s_cselect_b32 s16, s16, s63
	s_lshl_b32 s63, s72, 23
	s_lshl_b32 s16, s16, 21
	s_add_i32 s63, s63, 0x37800000
	v_or_b32_e32 v64, s63, v64
	v_or_b32_e32 v65, s16, v64
.LBB2_2611:                             ;   in Loop: Header=BB2_2603 Depth=4
	flat_load_ubyte v64, v[8:9] slc
	s_mov_b32 s16, 0
	s_mov_b32 s63, exec_lo
	s_waitcnt vmcnt(0) lgkmcnt(0)
	v_cmpx_lt_i16_e32 0x7f, v64
	s_xor_b32 s63, exec_lo, s63
	s_cbranch_execz .LBB2_2881
; %bb.2612:                             ;   in Loop: Header=BB2_2603 Depth=4
	s_mov_b32 s16, -1
	s_mov_b32 s72, exec_lo
	v_cmpx_eq_u16_e32 0x80, v64
; %bb.2613:                             ;   in Loop: Header=BB2_2603 Depth=4
	s_xor_b32 s16, exec_lo, -1
; %bb.2614:                             ;   in Loop: Header=BB2_2603 Depth=4
	s_or_b32 exec_lo, exec_lo, s72
	s_and_b32 s16, s16, exec_lo
	s_or_saveexec_b32 s63, s63
	v_mov_b32_e32 v71, 0x7f800001
	s_xor_b32 exec_lo, exec_lo, s63
	s_cbranch_execnz .LBB2_2882
.LBB2_2615:                             ;   in Loop: Header=BB2_2603 Depth=4
	s_or_b32 exec_lo, exec_lo, s63
	s_and_saveexec_b32 s63, s16
	s_cbranch_execz .LBB2_2617
.LBB2_2616:                             ;   in Loop: Header=BB2_2603 Depth=4
	v_and_b32_e32 v71, 0xffff, v64
	v_lshlrev_b32_e32 v64, 24, v64
	v_and_b32_e32 v56, 3, v71
	v_bfe_u32 v59, v71, 2, 5
	v_and_b32_e32 v64, 0x80000000, v64
	v_ffbh_u32_e32 v57, v56
	v_cmp_eq_u32_e32 vcc_lo, 0, v59
	v_min_u32_e32 v57, 32, v57
	v_subrev_nc_u32_e32 v58, 29, v57
	v_sub_nc_u32_e32 v57, 30, v57
	v_lshlrev_b32_e32 v71, v58, v71
	v_cndmask_b32_e32 v57, v59, v57, vcc_lo
	v_and_b32_e32 v71, 3, v71
	v_cndmask_b32_e32 v71, v56, v71, vcc_lo
	v_lshl_add_u32 v56, v57, 23, 0x37800000
	v_lshlrev_b32_e32 v71, 21, v71
	v_or3_b32 v71, v64, v56, v71
.LBB2_2617:                             ;   in Loop: Header=BB2_2603 Depth=4
	s_or_b32 exec_lo, exec_lo, s63
	v_mul_f32_e32 v64, v65, v71
	v_and_b32_e32 v71, 0x7f800000, v64
	v_cmp_ne_u32_e32 vcc_lo, 0x7f800000, v71
	v_mov_b32_e32 v71, 0x80
	s_and_saveexec_b32 s63, vcc_lo
	s_cbranch_execz .LBB2_2625
; %bb.2618:                             ;   in Loop: Header=BB2_2603 Depth=4
	v_mov_b32_e32 v71, 0
	s_mov_b32 s72, exec_lo
	v_cmpx_ne_u32_e32 0, v64
	s_cbranch_execz .LBB2_2624
; %bb.2619:                             ;   in Loop: Header=BB2_2603 Depth=4
	v_bfe_u32 v71, v64, 23, 8
	v_and_b32_e32 v56, 0x7fffff, v64
	v_sub_nc_u32_e32 v57, 0x70, v71
	v_cmp_gt_u32_e32 vcc_lo, 0x71, v71
	v_or_b32_e32 v58, 0x800000, v56
	v_cndmask_b32_e32 v57, 0, v57, vcc_lo
	v_cmp_eq_u32_e32 vcc_lo, 0, v71
	v_add_nc_u32_e32 v71, 0xffffff91, v71
	v_cndmask_b32_e64 v57, v57, 0x6f, vcc_lo
	v_cndmask_b32_e32 v56, v58, v56, vcc_lo
	v_cndmask_b32_e64 v71, v71, 0xffffff92, vcc_lo
	v_lshl_add_u32 v58, 0x200000, v57, -1
	v_lshrrev_b32_e32 v59, v57, v56
	v_lshlrev_b32_e64 v61, v57, 0x100000
	v_add_nc_u32_e32 v57, v57, v71
	v_and_b32_e32 v56, v58, v56
	v_bfe_u32 v60, v59, 21, 1
	v_cmp_eq_u32_e64 s16, v56, v61
	v_add_nc_u32_e32 v58, -1, v60
	v_cndmask_b32_e64 v56, 0, v58, s16
	v_lshrrev_b32_e32 v58, 23, v59
	s_mov_b32 s16, exec_lo
	v_add_nc_u32_e32 v56, v56, v59
	v_xor_b32_e32 v58, 1, v58
	v_and_b32_e32 v71, 0x1fffff, v56
	v_add_nc_u32_e32 v56, v71, v59
                                        ; implicit-def: $vgpr71
	v_cmpx_ne_u32_e64 v57, v58
	s_xor_b32 s16, exec_lo, s16
; %bb.2620:                             ;   in Loop: Header=BB2_2603 Depth=4
	v_cmp_lt_u32_e32 vcc_lo, 0xffffff, v56
	v_sub_nc_u32_e32 v71, v57, v58
	v_cndmask_b32_e64 v57, 0, 1, vcc_lo
	v_add_co_ci_u32_e64 v71, null, 0, v71, vcc_lo
	v_lshrrev_b32_e32 v56, v57, v56
; %bb.2621:                             ;   in Loop: Header=BB2_2603 Depth=4
	s_andn2_saveexec_b32 s16, s16
; %bb.2622:                             ;   in Loop: Header=BB2_2603 Depth=4
	v_bfe_u32 v71, v56, 23, 1
; %bb.2623:                             ;   in Loop: Header=BB2_2603 Depth=4
	s_or_b32 exec_lo, exec_lo, s16
	v_lshrrev_b32_e32 v56, 21, v56
	v_cmp_gt_i32_e32 vcc_lo, 32, v71
	v_min_i32_e32 v57, 31, v71
	v_and_b32_sdwa v64, v64, v98 dst_sel:DWORD dst_unused:UNUSED_PAD src0_sel:BYTE_3 src1_sel:DWORD
	v_cndmask_b32_e32 v56, 3, v56, vcc_lo
	v_lshlrev_b32_e32 v57, 2, v57
	v_and_b32_e32 v58, 3, v56
	v_or_b32_e32 v71, v71, v56
	v_or3_b32 v64, v57, v64, v58
	v_cmp_ne_u32_e32 vcc_lo, 0, v71
	v_cndmask_b32_e32 v71, 0, v64, vcc_lo
.LBB2_2624:                             ;   in Loop: Header=BB2_2603 Depth=4
	s_or_b32 exec_lo, exec_lo, s72
.LBB2_2625:                             ;   in Loop: Header=BB2_2603 Depth=4
	s_or_b32 exec_lo, exec_lo, s63
	flat_load_ubyte v64, v[8:9] offset:32 slc
	s_mov_b32 s16, 0
	s_mov_b32 s63, exec_lo
	s_waitcnt vmcnt(0) lgkmcnt(0)
	v_cmpx_lt_i16_e32 0x7f, v64
	s_xor_b32 s63, exec_lo, s63
	s_cbranch_execz .LBB2_2883
; %bb.2626:                             ;   in Loop: Header=BB2_2603 Depth=4
	s_mov_b32 s16, -1
	s_mov_b32 s72, exec_lo
	v_cmpx_eq_u16_e32 0x80, v64
; %bb.2627:                             ;   in Loop: Header=BB2_2603 Depth=4
	s_xor_b32 s16, exec_lo, -1
; %bb.2628:                             ;   in Loop: Header=BB2_2603 Depth=4
	s_or_b32 exec_lo, exec_lo, s72
	s_and_b32 s16, s16, exec_lo
	s_or_saveexec_b32 s63, s63
	v_mov_b32_e32 v56, 0x7f800001
	s_xor_b32 exec_lo, exec_lo, s63
	s_cbranch_execnz .LBB2_2884
.LBB2_2629:                             ;   in Loop: Header=BB2_2603 Depth=4
	s_or_b32 exec_lo, exec_lo, s63
	s_and_saveexec_b32 s63, s16
	s_cbranch_execz .LBB2_2631
.LBB2_2630:                             ;   in Loop: Header=BB2_2603 Depth=4
	v_and_b32_e32 v56, 0xffff, v64
	v_lshlrev_b32_e32 v64, 24, v64
	v_and_b32_e32 v57, 3, v56
	v_bfe_u32 v60, v56, 2, 5
	v_and_b32_e32 v64, 0x80000000, v64
	v_ffbh_u32_e32 v58, v57
	v_cmp_eq_u32_e32 vcc_lo, 0, v60
	v_min_u32_e32 v58, 32, v58
	v_subrev_nc_u32_e32 v59, 29, v58
	v_sub_nc_u32_e32 v58, 30, v58
	v_lshlrev_b32_e32 v56, v59, v56
	v_cndmask_b32_e32 v58, v60, v58, vcc_lo
	v_and_b32_e32 v56, 3, v56
	v_cndmask_b32_e32 v56, v57, v56, vcc_lo
	v_lshl_add_u32 v57, v58, 23, 0x37800000
	v_lshlrev_b32_e32 v56, 21, v56
	v_or3_b32 v56, v64, v57, v56
.LBB2_2631:                             ;   in Loop: Header=BB2_2603 Depth=4
	s_or_b32 exec_lo, exec_lo, s63
	v_mul_f32_e32 v64, v65, v56
	v_mov_b32_e32 v61, 0x80
	s_mov_b32 s63, exec_lo
	v_and_b32_e32 v56, 0x7f800000, v64
	v_cmpx_ne_u32_e32 0x7f800000, v56
	s_cbranch_execz .LBB2_2639
; %bb.2632:                             ;   in Loop: Header=BB2_2603 Depth=4
	v_mov_b32_e32 v61, 0
	s_mov_b32 s72, exec_lo
	v_cmpx_ne_u32_e32 0, v64
	s_cbranch_execz .LBB2_2638
; %bb.2633:                             ;   in Loop: Header=BB2_2603 Depth=4
	v_bfe_u32 v56, v64, 23, 8
	v_and_b32_e32 v57, 0x7fffff, v64
	v_sub_nc_u32_e32 v58, 0x70, v56
	v_cmp_gt_u32_e32 vcc_lo, 0x71, v56
	v_or_b32_e32 v59, 0x800000, v57
	v_cndmask_b32_e32 v58, 0, v58, vcc_lo
	v_cmp_eq_u32_e32 vcc_lo, 0, v56
	v_add_nc_u32_e32 v56, 0xffffff91, v56
	v_cndmask_b32_e64 v58, v58, 0x6f, vcc_lo
	v_cndmask_b32_e32 v57, v59, v57, vcc_lo
	v_cndmask_b32_e64 v56, v56, 0xffffff92, vcc_lo
	v_lshl_add_u32 v59, 0x200000, v58, -1
	v_lshrrev_b32_e32 v60, v58, v57
	v_lshlrev_b32_e64 v62, v58, 0x100000
	v_add_nc_u32_e32 v58, v58, v56
	v_and_b32_e32 v57, v59, v57
	v_bfe_u32 v61, v60, 21, 1
	v_cmp_eq_u32_e64 s16, v57, v62
	v_add_nc_u32_e32 v59, -1, v61
	v_cndmask_b32_e64 v57, 0, v59, s16
	v_lshrrev_b32_e32 v59, 23, v60
	s_mov_b32 s16, exec_lo
	v_add_nc_u32_e32 v57, v57, v60
	v_xor_b32_e32 v59, 1, v59
	v_and_b32_e32 v56, 0x1fffff, v57
	v_add_nc_u32_e32 v57, v56, v60
                                        ; implicit-def: $vgpr56
	v_cmpx_ne_u32_e64 v58, v59
	s_xor_b32 s16, exec_lo, s16
; %bb.2634:                             ;   in Loop: Header=BB2_2603 Depth=4
	v_cmp_lt_u32_e32 vcc_lo, 0xffffff, v57
	v_sub_nc_u32_e32 v56, v58, v59
	v_cndmask_b32_e64 v58, 0, 1, vcc_lo
	v_add_co_ci_u32_e64 v56, null, 0, v56, vcc_lo
	v_lshrrev_b32_e32 v57, v58, v57
; %bb.2635:                             ;   in Loop: Header=BB2_2603 Depth=4
	s_andn2_saveexec_b32 s16, s16
; %bb.2636:                             ;   in Loop: Header=BB2_2603 Depth=4
	v_bfe_u32 v56, v57, 23, 1
; %bb.2637:                             ;   in Loop: Header=BB2_2603 Depth=4
	s_or_b32 exec_lo, exec_lo, s16
	v_lshrrev_b32_e32 v57, 21, v57
	v_cmp_gt_i32_e32 vcc_lo, 32, v56
	v_min_i32_e32 v58, 31, v56
	v_and_b32_sdwa v64, v64, v98 dst_sel:DWORD dst_unused:UNUSED_PAD src0_sel:BYTE_3 src1_sel:DWORD
	v_cndmask_b32_e32 v57, 3, v57, vcc_lo
	v_lshlrev_b32_e32 v58, 2, v58
	v_and_b32_e32 v59, 3, v57
	v_or_b32_e32 v56, v56, v57
	v_or3_b32 v64, v58, v64, v59
	v_cmp_ne_u32_e32 vcc_lo, 0, v56
	v_cndmask_b32_e32 v61, 0, v64, vcc_lo
.LBB2_2638:                             ;   in Loop: Header=BB2_2603 Depth=4
	s_or_b32 exec_lo, exec_lo, s72
.LBB2_2639:                             ;   in Loop: Header=BB2_2603 Depth=4
	s_or_b32 exec_lo, exec_lo, s63
	flat_load_ubyte v64, v[8:9] offset:64 slc
	s_mov_b32 s16, 0
	s_mov_b32 s63, exec_lo
	s_waitcnt vmcnt(0) lgkmcnt(0)
	v_cmpx_lt_i16_e32 0x7f, v64
	s_xor_b32 s63, exec_lo, s63
	s_cbranch_execz .LBB2_2885
; %bb.2640:                             ;   in Loop: Header=BB2_2603 Depth=4
	s_mov_b32 s16, -1
	s_mov_b32 s72, exec_lo
	v_cmpx_eq_u16_e32 0x80, v64
; %bb.2641:                             ;   in Loop: Header=BB2_2603 Depth=4
	s_xor_b32 s16, exec_lo, -1
; %bb.2642:                             ;   in Loop: Header=BB2_2603 Depth=4
	s_or_b32 exec_lo, exec_lo, s72
	s_and_b32 s16, s16, exec_lo
	s_or_saveexec_b32 s63, s63
	v_mov_b32_e32 v56, 0x7f800001
	s_xor_b32 exec_lo, exec_lo, s63
	s_cbranch_execnz .LBB2_2886
.LBB2_2643:                             ;   in Loop: Header=BB2_2603 Depth=4
	s_or_b32 exec_lo, exec_lo, s63
	s_and_saveexec_b32 s63, s16
	s_cbranch_execz .LBB2_2645
.LBB2_2644:                             ;   in Loop: Header=BB2_2603 Depth=4
	v_and_b32_e32 v56, 0xffff, v64
	v_lshlrev_b32_e32 v64, 24, v64
	v_and_b32_e32 v57, 3, v56
	v_bfe_u32 v60, v56, 2, 5
	v_and_b32_e32 v64, 0x80000000, v64
	v_ffbh_u32_e32 v58, v57
	v_cmp_eq_u32_e32 vcc_lo, 0, v60
	v_min_u32_e32 v58, 32, v58
	v_subrev_nc_u32_e32 v59, 29, v58
	v_sub_nc_u32_e32 v58, 30, v58
	v_lshlrev_b32_e32 v56, v59, v56
	v_cndmask_b32_e32 v58, v60, v58, vcc_lo
	v_and_b32_e32 v56, 3, v56
	v_cndmask_b32_e32 v56, v57, v56, vcc_lo
	v_lshl_add_u32 v57, v58, 23, 0x37800000
	v_lshlrev_b32_e32 v56, 21, v56
	v_or3_b32 v56, v64, v57, v56
.LBB2_2645:                             ;   in Loop: Header=BB2_2603 Depth=4
	s_or_b32 exec_lo, exec_lo, s63
	v_mul_f32_e32 v64, v65, v56
	v_mov_b32_e32 v62, 0x80
	s_mov_b32 s63, exec_lo
	v_and_b32_e32 v56, 0x7f800000, v64
	v_cmpx_ne_u32_e32 0x7f800000, v56
	s_cbranch_execz .LBB2_2653
; %bb.2646:                             ;   in Loop: Header=BB2_2603 Depth=4
	v_mov_b32_e32 v62, 0
	s_mov_b32 s72, exec_lo
	v_cmpx_ne_u32_e32 0, v64
	s_cbranch_execz .LBB2_2652
; %bb.2647:                             ;   in Loop: Header=BB2_2603 Depth=4
	v_bfe_u32 v56, v64, 23, 8
	v_and_b32_e32 v57, 0x7fffff, v64
	v_sub_nc_u32_e32 v58, 0x70, v56
	v_cmp_gt_u32_e32 vcc_lo, 0x71, v56
	v_or_b32_e32 v59, 0x800000, v57
	v_cndmask_b32_e32 v58, 0, v58, vcc_lo
	v_cmp_eq_u32_e32 vcc_lo, 0, v56
	v_add_nc_u32_e32 v56, 0xffffff91, v56
	v_cndmask_b32_e64 v58, v58, 0x6f, vcc_lo
	v_cndmask_b32_e32 v57, v59, v57, vcc_lo
	v_cndmask_b32_e64 v56, v56, 0xffffff92, vcc_lo
	v_lshl_add_u32 v59, 0x200000, v58, -1
	v_lshrrev_b32_e32 v60, v58, v57
	v_lshlrev_b32_e64 v63, v58, 0x100000
	v_add_nc_u32_e32 v58, v58, v56
	v_and_b32_e32 v57, v59, v57
	v_bfe_u32 v62, v60, 21, 1
	v_cmp_eq_u32_e64 s16, v57, v63
	v_add_nc_u32_e32 v59, -1, v62
	v_cndmask_b32_e64 v57, 0, v59, s16
	v_lshrrev_b32_e32 v59, 23, v60
	s_mov_b32 s16, exec_lo
	v_add_nc_u32_e32 v57, v57, v60
	v_xor_b32_e32 v59, 1, v59
	v_and_b32_e32 v56, 0x1fffff, v57
	v_add_nc_u32_e32 v57, v56, v60
                                        ; implicit-def: $vgpr56
	v_cmpx_ne_u32_e64 v58, v59
	s_xor_b32 s16, exec_lo, s16
; %bb.2648:                             ;   in Loop: Header=BB2_2603 Depth=4
	v_cmp_lt_u32_e32 vcc_lo, 0xffffff, v57
	v_sub_nc_u32_e32 v56, v58, v59
	v_cndmask_b32_e64 v58, 0, 1, vcc_lo
	v_add_co_ci_u32_e64 v56, null, 0, v56, vcc_lo
	v_lshrrev_b32_e32 v57, v58, v57
; %bb.2649:                             ;   in Loop: Header=BB2_2603 Depth=4
	s_andn2_saveexec_b32 s16, s16
; %bb.2650:                             ;   in Loop: Header=BB2_2603 Depth=4
	v_bfe_u32 v56, v57, 23, 1
; %bb.2651:                             ;   in Loop: Header=BB2_2603 Depth=4
	s_or_b32 exec_lo, exec_lo, s16
	v_lshrrev_b32_e32 v57, 21, v57
	v_cmp_gt_i32_e32 vcc_lo, 32, v56
	v_min_i32_e32 v58, 31, v56
	v_and_b32_sdwa v64, v64, v98 dst_sel:DWORD dst_unused:UNUSED_PAD src0_sel:BYTE_3 src1_sel:DWORD
	v_cndmask_b32_e32 v57, 3, v57, vcc_lo
	v_lshlrev_b32_e32 v58, 2, v58
	v_and_b32_e32 v59, 3, v57
	v_or_b32_e32 v56, v56, v57
	v_or3_b32 v64, v58, v64, v59
	v_cmp_ne_u32_e32 vcc_lo, 0, v56
	v_cndmask_b32_e32 v62, 0, v64, vcc_lo
.LBB2_2652:                             ;   in Loop: Header=BB2_2603 Depth=4
	s_or_b32 exec_lo, exec_lo, s72
.LBB2_2653:                             ;   in Loop: Header=BB2_2603 Depth=4
	s_or_b32 exec_lo, exec_lo, s63
	flat_load_ubyte v64, v[8:9] offset:96 slc
	s_mov_b32 s16, 0
	s_mov_b32 s63, exec_lo
	s_waitcnt vmcnt(0) lgkmcnt(0)
	v_cmpx_lt_i16_e32 0x7f, v64
	s_xor_b32 s63, exec_lo, s63
	s_cbranch_execz .LBB2_2887
; %bb.2654:                             ;   in Loop: Header=BB2_2603 Depth=4
	s_mov_b32 s16, -1
	s_mov_b32 s72, exec_lo
	v_cmpx_eq_u16_e32 0x80, v64
; %bb.2655:                             ;   in Loop: Header=BB2_2603 Depth=4
	s_xor_b32 s16, exec_lo, -1
; %bb.2656:                             ;   in Loop: Header=BB2_2603 Depth=4
	s_or_b32 exec_lo, exec_lo, s72
	s_and_b32 s16, s16, exec_lo
	s_or_saveexec_b32 s63, s63
	v_mov_b32_e32 v56, 0x7f800001
	s_xor_b32 exec_lo, exec_lo, s63
	s_cbranch_execnz .LBB2_2888
.LBB2_2657:                             ;   in Loop: Header=BB2_2603 Depth=4
	s_or_b32 exec_lo, exec_lo, s63
	s_and_saveexec_b32 s63, s16
	s_cbranch_execz .LBB2_2659
.LBB2_2658:                             ;   in Loop: Header=BB2_2603 Depth=4
	v_and_b32_e32 v56, 0xffff, v64
	v_lshlrev_b32_e32 v64, 24, v64
	v_and_b32_e32 v57, 3, v56
	v_bfe_u32 v60, v56, 2, 5
	v_and_b32_e32 v64, 0x80000000, v64
	v_ffbh_u32_e32 v58, v57
	v_cmp_eq_u32_e32 vcc_lo, 0, v60
	v_min_u32_e32 v58, 32, v58
	v_subrev_nc_u32_e32 v59, 29, v58
	v_sub_nc_u32_e32 v58, 30, v58
	v_lshlrev_b32_e32 v56, v59, v56
	v_cndmask_b32_e32 v58, v60, v58, vcc_lo
	v_and_b32_e32 v56, 3, v56
	v_cndmask_b32_e32 v56, v57, v56, vcc_lo
	v_lshl_add_u32 v57, v58, 23, 0x37800000
	v_lshlrev_b32_e32 v56, 21, v56
	v_or3_b32 v56, v64, v57, v56
.LBB2_2659:                             ;   in Loop: Header=BB2_2603 Depth=4
	s_or_b32 exec_lo, exec_lo, s63
	v_mul_f32_e32 v64, v65, v56
	v_mov_b32_e32 v60, 0x80
	s_mov_b32 s63, exec_lo
	v_and_b32_e32 v56, 0x7f800000, v64
	v_cmpx_ne_u32_e32 0x7f800000, v56
	s_cbranch_execz .LBB2_2667
; %bb.2660:                             ;   in Loop: Header=BB2_2603 Depth=4
	v_mov_b32_e32 v60, 0
	s_mov_b32 s72, exec_lo
	v_cmpx_ne_u32_e32 0, v64
	s_cbranch_execz .LBB2_2666
; %bb.2661:                             ;   in Loop: Header=BB2_2603 Depth=4
	v_bfe_u32 v56, v64, 23, 8
	v_and_b32_e32 v57, 0x7fffff, v64
	v_sub_nc_u32_e32 v58, 0x70, v56
	v_cmp_gt_u32_e32 vcc_lo, 0x71, v56
	v_or_b32_e32 v59, 0x800000, v57
	v_cndmask_b32_e32 v58, 0, v58, vcc_lo
	v_cmp_eq_u32_e32 vcc_lo, 0, v56
	v_add_nc_u32_e32 v56, 0xffffff91, v56
	v_cndmask_b32_e64 v58, v58, 0x6f, vcc_lo
	v_cndmask_b32_e32 v57, v59, v57, vcc_lo
	v_cndmask_b32_e64 v56, v56, 0xffffff92, vcc_lo
	v_lshl_add_u32 v59, 0x200000, v58, -1
	v_lshrrev_b32_e32 v60, v58, v57
	v_lshlrev_b32_e64 v72, v58, 0x100000
	v_add_nc_u32_e32 v58, v58, v56
	v_and_b32_e32 v57, v59, v57
	v_bfe_u32 v63, v60, 21, 1
	v_cmp_eq_u32_e64 s16, v57, v72
	v_add_nc_u32_e32 v59, -1, v63
	v_cndmask_b32_e64 v57, 0, v59, s16
	v_lshrrev_b32_e32 v59, 23, v60
	s_mov_b32 s16, exec_lo
	v_add_nc_u32_e32 v57, v57, v60
	v_xor_b32_e32 v59, 1, v59
	v_and_b32_e32 v56, 0x1fffff, v57
	v_add_nc_u32_e32 v57, v56, v60
                                        ; implicit-def: $vgpr56
	v_cmpx_ne_u32_e64 v58, v59
	s_xor_b32 s16, exec_lo, s16
; %bb.2662:                             ;   in Loop: Header=BB2_2603 Depth=4
	v_cmp_lt_u32_e32 vcc_lo, 0xffffff, v57
	v_sub_nc_u32_e32 v56, v58, v59
	v_cndmask_b32_e64 v58, 0, 1, vcc_lo
	v_add_co_ci_u32_e64 v56, null, 0, v56, vcc_lo
	v_lshrrev_b32_e32 v57, v58, v57
; %bb.2663:                             ;   in Loop: Header=BB2_2603 Depth=4
	s_andn2_saveexec_b32 s16, s16
; %bb.2664:                             ;   in Loop: Header=BB2_2603 Depth=4
	v_bfe_u32 v56, v57, 23, 1
; %bb.2665:                             ;   in Loop: Header=BB2_2603 Depth=4
	s_or_b32 exec_lo, exec_lo, s16
	v_lshrrev_b32_e32 v57, 21, v57
	v_cmp_gt_i32_e32 vcc_lo, 32, v56
	v_min_i32_e32 v58, 31, v56
	v_and_b32_sdwa v64, v64, v98 dst_sel:DWORD dst_unused:UNUSED_PAD src0_sel:BYTE_3 src1_sel:DWORD
	v_cndmask_b32_e32 v57, 3, v57, vcc_lo
	v_lshlrev_b32_e32 v58, 2, v58
	v_and_b32_e32 v59, 3, v57
	v_or_b32_e32 v56, v56, v57
	v_or3_b32 v64, v58, v64, v59
	v_cmp_ne_u32_e32 vcc_lo, 0, v56
	v_cndmask_b32_e32 v60, 0, v64, vcc_lo
.LBB2_2666:                             ;   in Loop: Header=BB2_2603 Depth=4
	s_or_b32 exec_lo, exec_lo, s72
.LBB2_2667:                             ;   in Loop: Header=BB2_2603 Depth=4
	s_or_b32 exec_lo, exec_lo, s63
	flat_load_ubyte v64, v[8:9] offset:128 slc
	s_mov_b32 s16, 0
	s_mov_b32 s63, exec_lo
	s_waitcnt vmcnt(0) lgkmcnt(0)
	v_cmpx_lt_i16_e32 0x7f, v64
	s_xor_b32 s63, exec_lo, s63
	s_cbranch_execz .LBB2_2889
; %bb.2668:                             ;   in Loop: Header=BB2_2603 Depth=4
	s_mov_b32 s16, -1
	s_mov_b32 s72, exec_lo
	v_cmpx_eq_u16_e32 0x80, v64
; %bb.2669:                             ;   in Loop: Header=BB2_2603 Depth=4
	s_xor_b32 s16, exec_lo, -1
; %bb.2670:                             ;   in Loop: Header=BB2_2603 Depth=4
	s_or_b32 exec_lo, exec_lo, s72
	s_and_b32 s16, s16, exec_lo
	s_or_saveexec_b32 s63, s63
	v_mov_b32_e32 v56, 0x7f800001
	s_xor_b32 exec_lo, exec_lo, s63
	s_cbranch_execnz .LBB2_2890
.LBB2_2671:                             ;   in Loop: Header=BB2_2603 Depth=4
	s_or_b32 exec_lo, exec_lo, s63
	s_and_saveexec_b32 s63, s16
	s_cbranch_execz .LBB2_2673
.LBB2_2672:                             ;   in Loop: Header=BB2_2603 Depth=4
	v_and_b32_e32 v56, 0xffff, v64
	v_lshlrev_b32_e32 v64, 24, v64
	v_and_b32_e32 v57, 3, v56
	v_bfe_u32 v63, v56, 2, 5
	v_and_b32_e32 v64, 0x80000000, v64
	v_ffbh_u32_e32 v58, v57
	v_cmp_eq_u32_e32 vcc_lo, 0, v63
	v_min_u32_e32 v58, 32, v58
	v_subrev_nc_u32_e32 v59, 29, v58
	v_sub_nc_u32_e32 v58, 30, v58
	v_lshlrev_b32_e32 v56, v59, v56
	v_cndmask_b32_e32 v58, v63, v58, vcc_lo
	v_and_b32_e32 v56, 3, v56
	v_cndmask_b32_e32 v56, v57, v56, vcc_lo
	v_lshl_add_u32 v57, v58, 23, 0x37800000
	v_lshlrev_b32_e32 v56, 21, v56
	v_or3_b32 v56, v64, v57, v56
.LBB2_2673:                             ;   in Loop: Header=BB2_2603 Depth=4
	s_or_b32 exec_lo, exec_lo, s63
	v_mul_f32_e32 v64, v65, v56
	v_mov_b32_e32 v59, 0x80
	s_mov_b32 s63, exec_lo
	v_and_b32_e32 v56, 0x7f800000, v64
	v_cmpx_ne_u32_e32 0x7f800000, v56
	s_cbranch_execz .LBB2_2681
; %bb.2674:                             ;   in Loop: Header=BB2_2603 Depth=4
	v_mov_b32_e32 v59, 0
	s_mov_b32 s72, exec_lo
	v_cmpx_ne_u32_e32 0, v64
	s_cbranch_execz .LBB2_2680
; %bb.2675:                             ;   in Loop: Header=BB2_2603 Depth=4
	v_bfe_u32 v56, v64, 23, 8
	v_and_b32_e32 v57, 0x7fffff, v64
	v_sub_nc_u32_e32 v58, 0x70, v56
	v_cmp_gt_u32_e32 vcc_lo, 0x71, v56
	v_or_b32_e32 v59, 0x800000, v57
	v_cndmask_b32_e32 v58, 0, v58, vcc_lo
	v_cmp_eq_u32_e32 vcc_lo, 0, v56
	v_add_nc_u32_e32 v56, 0xffffff91, v56
	v_cndmask_b32_e64 v58, v58, 0x6f, vcc_lo
	v_cndmask_b32_e32 v57, v59, v57, vcc_lo
	v_cndmask_b32_e64 v56, v56, 0xffffff92, vcc_lo
	v_lshl_add_u32 v59, 0x200000, v58, -1
	v_lshrrev_b32_e32 v63, v58, v57
	v_lshlrev_b32_e64 v73, v58, 0x100000
	v_add_nc_u32_e32 v58, v58, v56
	v_and_b32_e32 v57, v59, v57
	v_bfe_u32 v72, v63, 21, 1
	v_cmp_eq_u32_e64 s16, v57, v73
	v_add_nc_u32_e32 v59, -1, v72
	v_cndmask_b32_e64 v57, 0, v59, s16
	v_lshrrev_b32_e32 v59, 23, v63
	s_mov_b32 s16, exec_lo
	v_add_nc_u32_e32 v57, v57, v63
	v_xor_b32_e32 v59, 1, v59
	v_and_b32_e32 v56, 0x1fffff, v57
	v_add_nc_u32_e32 v57, v56, v63
                                        ; implicit-def: $vgpr56
	v_cmpx_ne_u32_e64 v58, v59
	s_xor_b32 s16, exec_lo, s16
; %bb.2676:                             ;   in Loop: Header=BB2_2603 Depth=4
	v_cmp_lt_u32_e32 vcc_lo, 0xffffff, v57
	v_sub_nc_u32_e32 v56, v58, v59
	v_cndmask_b32_e64 v58, 0, 1, vcc_lo
	v_add_co_ci_u32_e64 v56, null, 0, v56, vcc_lo
	v_lshrrev_b32_e32 v57, v58, v57
; %bb.2677:                             ;   in Loop: Header=BB2_2603 Depth=4
	s_andn2_saveexec_b32 s16, s16
; %bb.2678:                             ;   in Loop: Header=BB2_2603 Depth=4
	v_bfe_u32 v56, v57, 23, 1
; %bb.2679:                             ;   in Loop: Header=BB2_2603 Depth=4
	s_or_b32 exec_lo, exec_lo, s16
	v_lshrrev_b32_e32 v57, 21, v57
	v_cmp_gt_i32_e32 vcc_lo, 32, v56
	v_min_i32_e32 v58, 31, v56
	v_and_b32_sdwa v64, v64, v98 dst_sel:DWORD dst_unused:UNUSED_PAD src0_sel:BYTE_3 src1_sel:DWORD
	v_cndmask_b32_e32 v57, 3, v57, vcc_lo
	v_lshlrev_b32_e32 v58, 2, v58
	v_and_b32_e32 v59, 3, v57
	v_or_b32_e32 v56, v56, v57
	v_or3_b32 v64, v58, v64, v59
	v_cmp_ne_u32_e32 vcc_lo, 0, v56
	v_cndmask_b32_e32 v59, 0, v64, vcc_lo
.LBB2_2680:                             ;   in Loop: Header=BB2_2603 Depth=4
	s_or_b32 exec_lo, exec_lo, s72
.LBB2_2681:                             ;   in Loop: Header=BB2_2603 Depth=4
	s_or_b32 exec_lo, exec_lo, s63
	flat_load_ubyte v64, v[8:9] offset:160 slc
	s_mov_b32 s16, 0
	s_mov_b32 s63, exec_lo
	s_waitcnt vmcnt(0) lgkmcnt(0)
	v_cmpx_lt_i16_e32 0x7f, v64
	s_xor_b32 s63, exec_lo, s63
	s_cbranch_execz .LBB2_2891
; %bb.2682:                             ;   in Loop: Header=BB2_2603 Depth=4
	s_mov_b32 s16, -1
	s_mov_b32 s72, exec_lo
	v_cmpx_eq_u16_e32 0x80, v64
; %bb.2683:                             ;   in Loop: Header=BB2_2603 Depth=4
	s_xor_b32 s16, exec_lo, -1
; %bb.2684:                             ;   in Loop: Header=BB2_2603 Depth=4
	s_or_b32 exec_lo, exec_lo, s72
	s_and_b32 s16, s16, exec_lo
	s_or_saveexec_b32 s63, s63
	v_mov_b32_e32 v56, 0x7f800001
	s_xor_b32 exec_lo, exec_lo, s63
	s_cbranch_execnz .LBB2_2892
.LBB2_2685:                             ;   in Loop: Header=BB2_2603 Depth=4
	s_or_b32 exec_lo, exec_lo, s63
	s_and_saveexec_b32 s63, s16
	s_cbranch_execz .LBB2_2687
.LBB2_2686:                             ;   in Loop: Header=BB2_2603 Depth=4
	v_and_b32_e32 v56, 0xffff, v64
	v_lshlrev_b32_e32 v64, 24, v64
	v_and_b32_e32 v57, 3, v56
	v_bfe_u32 v72, v56, 2, 5
	v_and_b32_e32 v64, 0x80000000, v64
	v_ffbh_u32_e32 v58, v57
	v_cmp_eq_u32_e32 vcc_lo, 0, v72
	v_min_u32_e32 v58, 32, v58
	v_subrev_nc_u32_e32 v63, 29, v58
	v_sub_nc_u32_e32 v58, 30, v58
	v_lshlrev_b32_e32 v56, v63, v56
	v_cndmask_b32_e32 v58, v72, v58, vcc_lo
	v_and_b32_e32 v56, 3, v56
	v_cndmask_b32_e32 v56, v57, v56, vcc_lo
	v_lshl_add_u32 v57, v58, 23, 0x37800000
	v_lshlrev_b32_e32 v56, 21, v56
	v_or3_b32 v56, v64, v57, v56
.LBB2_2687:                             ;   in Loop: Header=BB2_2603 Depth=4
	s_or_b32 exec_lo, exec_lo, s63
	v_mul_f32_e32 v64, v65, v56
	v_mov_b32_e32 v57, 0x80
	s_mov_b32 s63, exec_lo
	v_and_b32_e32 v56, 0x7f800000, v64
	v_cmpx_ne_u32_e32 0x7f800000, v56
	s_cbranch_execz .LBB2_2695
; %bb.2688:                             ;   in Loop: Header=BB2_2603 Depth=4
	v_mov_b32_e32 v57, 0
	s_mov_b32 s72, exec_lo
	v_cmpx_ne_u32_e32 0, v64
	s_cbranch_execz .LBB2_2694
; %bb.2689:                             ;   in Loop: Header=BB2_2603 Depth=4
	v_bfe_u32 v56, v64, 23, 8
	v_and_b32_e32 v57, 0x7fffff, v64
	v_sub_nc_u32_e32 v58, 0x70, v56
	v_cmp_gt_u32_e32 vcc_lo, 0x71, v56
	v_or_b32_e32 v63, 0x800000, v57
	v_cndmask_b32_e32 v58, 0, v58, vcc_lo
	v_cmp_eq_u32_e32 vcc_lo, 0, v56
	v_add_nc_u32_e32 v56, 0xffffff91, v56
	v_cndmask_b32_e64 v58, v58, 0x6f, vcc_lo
	v_cndmask_b32_e32 v57, v63, v57, vcc_lo
	v_cndmask_b32_e64 v56, v56, 0xffffff92, vcc_lo
	v_lshl_add_u32 v63, 0x200000, v58, -1
	v_lshrrev_b32_e32 v72, v58, v57
	v_lshlrev_b32_e64 v74, v58, 0x100000
	v_add_nc_u32_e32 v58, v58, v56
	v_and_b32_e32 v57, v63, v57
	v_bfe_u32 v73, v72, 21, 1
	v_cmp_eq_u32_e64 s16, v57, v74
	v_add_nc_u32_e32 v63, -1, v73
	v_cndmask_b32_e64 v57, 0, v63, s16
	v_lshrrev_b32_e32 v63, 23, v72
	s_mov_b32 s16, exec_lo
	v_add_nc_u32_e32 v57, v57, v72
	v_xor_b32_e32 v63, 1, v63
	v_and_b32_e32 v56, 0x1fffff, v57
	v_add_nc_u32_e32 v57, v56, v72
                                        ; implicit-def: $vgpr56
	v_cmpx_ne_u32_e64 v58, v63
	s_xor_b32 s16, exec_lo, s16
; %bb.2690:                             ;   in Loop: Header=BB2_2603 Depth=4
	v_cmp_lt_u32_e32 vcc_lo, 0xffffff, v57
	v_sub_nc_u32_e32 v56, v58, v63
	v_cndmask_b32_e64 v58, 0, 1, vcc_lo
	v_add_co_ci_u32_e64 v56, null, 0, v56, vcc_lo
	v_lshrrev_b32_e32 v57, v58, v57
; %bb.2691:                             ;   in Loop: Header=BB2_2603 Depth=4
	s_andn2_saveexec_b32 s16, s16
; %bb.2692:                             ;   in Loop: Header=BB2_2603 Depth=4
	v_bfe_u32 v56, v57, 23, 1
; %bb.2693:                             ;   in Loop: Header=BB2_2603 Depth=4
	s_or_b32 exec_lo, exec_lo, s16
	v_lshrrev_b32_e32 v57, 21, v57
	v_cmp_gt_i32_e32 vcc_lo, 32, v56
	v_min_i32_e32 v58, 31, v56
	v_and_b32_sdwa v64, v64, v98 dst_sel:DWORD dst_unused:UNUSED_PAD src0_sel:BYTE_3 src1_sel:DWORD
	v_cndmask_b32_e32 v57, 3, v57, vcc_lo
	v_lshlrev_b32_e32 v58, 2, v58
	v_and_b32_e32 v63, 3, v57
	v_or_b32_e32 v56, v56, v57
	v_or3_b32 v64, v58, v64, v63
	v_cmp_ne_u32_e32 vcc_lo, 0, v56
	v_cndmask_b32_e32 v57, 0, v64, vcc_lo
.LBB2_2694:                             ;   in Loop: Header=BB2_2603 Depth=4
	s_or_b32 exec_lo, exec_lo, s72
.LBB2_2695:                             ;   in Loop: Header=BB2_2603 Depth=4
	s_or_b32 exec_lo, exec_lo, s63
	flat_load_ubyte v64, v[8:9] offset:192 slc
	s_mov_b32 s16, 0
	s_mov_b32 s63, exec_lo
	s_waitcnt vmcnt(0) lgkmcnt(0)
	v_cmpx_lt_i16_e32 0x7f, v64
	s_xor_b32 s63, exec_lo, s63
	s_cbranch_execz .LBB2_2893
; %bb.2696:                             ;   in Loop: Header=BB2_2603 Depth=4
	s_mov_b32 s16, -1
	s_mov_b32 s72, exec_lo
	v_cmpx_eq_u16_e32 0x80, v64
; %bb.2697:                             ;   in Loop: Header=BB2_2603 Depth=4
	s_xor_b32 s16, exec_lo, -1
; %bb.2698:                             ;   in Loop: Header=BB2_2603 Depth=4
	s_or_b32 exec_lo, exec_lo, s72
	s_and_b32 s16, s16, exec_lo
	s_or_saveexec_b32 s63, s63
	v_mov_b32_e32 v56, 0x7f800001
	s_xor_b32 exec_lo, exec_lo, s63
	s_cbranch_execnz .LBB2_2894
.LBB2_2699:                             ;   in Loop: Header=BB2_2603 Depth=4
	s_or_b32 exec_lo, exec_lo, s63
	s_and_saveexec_b32 s63, s16
	s_cbranch_execz .LBB2_2701
.LBB2_2700:                             ;   in Loop: Header=BB2_2603 Depth=4
	v_and_b32_e32 v56, 0xffff, v64
	v_lshlrev_b32_e32 v64, 24, v64
	v_and_b32_e32 v58, 3, v56
	v_bfe_u32 v73, v56, 2, 5
	v_and_b32_e32 v64, 0x80000000, v64
	v_ffbh_u32_e32 v63, v58
	v_cmp_eq_u32_e32 vcc_lo, 0, v73
	v_min_u32_e32 v63, 32, v63
	v_subrev_nc_u32_e32 v72, 29, v63
	v_sub_nc_u32_e32 v63, 30, v63
	v_lshlrev_b32_e32 v56, v72, v56
	v_cndmask_b32_e32 v63, v73, v63, vcc_lo
	v_and_b32_e32 v56, 3, v56
	v_cndmask_b32_e32 v56, v58, v56, vcc_lo
	v_lshl_add_u32 v58, v63, 23, 0x37800000
	v_lshlrev_b32_e32 v56, 21, v56
	v_or3_b32 v56, v64, v58, v56
.LBB2_2701:                             ;   in Loop: Header=BB2_2603 Depth=4
	s_or_b32 exec_lo, exec_lo, s63
	v_mul_f32_e32 v64, v65, v56
	v_and_b32_e32 v56, 0x7f800000, v64
	v_cmp_ne_u32_e32 vcc_lo, 0x7f800000, v56
	v_mov_b32_e32 v56, 0x80
	s_and_saveexec_b32 s63, vcc_lo
	s_cbranch_execz .LBB2_2709
; %bb.2702:                             ;   in Loop: Header=BB2_2603 Depth=4
	v_mov_b32_e32 v56, 0
	s_mov_b32 s72, exec_lo
	v_cmpx_ne_u32_e32 0, v64
	s_cbranch_execz .LBB2_2708
; %bb.2703:                             ;   in Loop: Header=BB2_2603 Depth=4
	v_bfe_u32 v56, v64, 23, 8
	v_and_b32_e32 v58, 0x7fffff, v64
	v_sub_nc_u32_e32 v63, 0x70, v56
	v_cmp_gt_u32_e32 vcc_lo, 0x71, v56
	v_or_b32_e32 v72, 0x800000, v58
	v_cndmask_b32_e32 v63, 0, v63, vcc_lo
	v_cmp_eq_u32_e32 vcc_lo, 0, v56
	v_add_nc_u32_e32 v56, 0xffffff91, v56
	v_cndmask_b32_e64 v63, v63, 0x6f, vcc_lo
	v_cndmask_b32_e32 v58, v72, v58, vcc_lo
	v_cndmask_b32_e64 v56, v56, 0xffffff92, vcc_lo
	v_lshl_add_u32 v72, 0x200000, v63, -1
	v_lshrrev_b32_e32 v73, v63, v58
	v_lshlrev_b32_e64 v75, v63, 0x100000
	v_add_nc_u32_e32 v63, v63, v56
	v_and_b32_e32 v58, v72, v58
	v_bfe_u32 v74, v73, 21, 1
	v_cmp_eq_u32_e64 s16, v58, v75
	v_add_nc_u32_e32 v72, -1, v74
	v_cndmask_b32_e64 v58, 0, v72, s16
	v_lshrrev_b32_e32 v72, 23, v73
	s_mov_b32 s16, exec_lo
	v_add_nc_u32_e32 v58, v58, v73
	v_xor_b32_e32 v72, 1, v72
	v_and_b32_e32 v56, 0x1fffff, v58
	v_add_nc_u32_e32 v58, v56, v73
                                        ; implicit-def: $vgpr56
	v_cmpx_ne_u32_e64 v63, v72
	s_xor_b32 s16, exec_lo, s16
; %bb.2704:                             ;   in Loop: Header=BB2_2603 Depth=4
	v_cmp_lt_u32_e32 vcc_lo, 0xffffff, v58
	v_sub_nc_u32_e32 v56, v63, v72
	v_cndmask_b32_e64 v63, 0, 1, vcc_lo
	v_add_co_ci_u32_e64 v56, null, 0, v56, vcc_lo
	v_lshrrev_b32_e32 v58, v63, v58
; %bb.2705:                             ;   in Loop: Header=BB2_2603 Depth=4
	s_andn2_saveexec_b32 s16, s16
; %bb.2706:                             ;   in Loop: Header=BB2_2603 Depth=4
	v_bfe_u32 v56, v58, 23, 1
; %bb.2707:                             ;   in Loop: Header=BB2_2603 Depth=4
	s_or_b32 exec_lo, exec_lo, s16
	v_lshrrev_b32_e32 v58, 21, v58
	v_cmp_gt_i32_e32 vcc_lo, 32, v56
	v_min_i32_e32 v63, 31, v56
	v_and_b32_sdwa v64, v64, v98 dst_sel:DWORD dst_unused:UNUSED_PAD src0_sel:BYTE_3 src1_sel:DWORD
	v_cndmask_b32_e32 v58, 3, v58, vcc_lo
	v_lshlrev_b32_e32 v63, 2, v63
	v_and_b32_e32 v72, 3, v58
	v_or_b32_e32 v56, v56, v58
	v_or3_b32 v64, v63, v64, v72
	v_cmp_ne_u32_e32 vcc_lo, 0, v56
	v_cndmask_b32_e32 v56, 0, v64, vcc_lo
.LBB2_2708:                             ;   in Loop: Header=BB2_2603 Depth=4
	s_or_b32 exec_lo, exec_lo, s72
.LBB2_2709:                             ;   in Loop: Header=BB2_2603 Depth=4
	s_or_b32 exec_lo, exec_lo, s63
	flat_load_ubyte v64, v[8:9] offset:224 slc
	s_mov_b32 s16, 0
	s_mov_b32 s63, exec_lo
	s_waitcnt vmcnt(0) lgkmcnt(0)
	v_cmpx_lt_i16_e32 0x7f, v64
	s_xor_b32 s63, exec_lo, s63
	s_cbranch_execz .LBB2_2895
; %bb.2710:                             ;   in Loop: Header=BB2_2603 Depth=4
	s_mov_b32 s16, -1
	s_mov_b32 s72, exec_lo
	v_cmpx_eq_u16_e32 0x80, v64
; %bb.2711:                             ;   in Loop: Header=BB2_2603 Depth=4
	s_xor_b32 s16, exec_lo, -1
; %bb.2712:                             ;   in Loop: Header=BB2_2603 Depth=4
	s_or_b32 exec_lo, exec_lo, s72
	s_and_b32 s16, s16, exec_lo
	s_or_saveexec_b32 s63, s63
	v_mov_b32_e32 v58, 0x7f800001
	s_xor_b32 exec_lo, exec_lo, s63
	s_cbranch_execnz .LBB2_2896
.LBB2_2713:                             ;   in Loop: Header=BB2_2603 Depth=4
	s_or_b32 exec_lo, exec_lo, s63
	s_and_saveexec_b32 s63, s16
	s_cbranch_execz .LBB2_2715
.LBB2_2714:                             ;   in Loop: Header=BB2_2603 Depth=4
	v_and_b32_e32 v58, 0xffff, v64
	v_lshlrev_b32_e32 v64, 24, v64
	v_and_b32_e32 v63, 3, v58
	v_bfe_u32 v74, v58, 2, 5
	v_and_b32_e32 v64, 0x80000000, v64
	v_ffbh_u32_e32 v72, v63
	v_cmp_eq_u32_e32 vcc_lo, 0, v74
	v_min_u32_e32 v72, 32, v72
	v_subrev_nc_u32_e32 v73, 29, v72
	v_sub_nc_u32_e32 v72, 30, v72
	v_lshlrev_b32_e32 v58, v73, v58
	v_cndmask_b32_e32 v72, v74, v72, vcc_lo
	v_and_b32_e32 v58, 3, v58
	v_cndmask_b32_e32 v58, v63, v58, vcc_lo
	v_lshl_add_u32 v63, v72, 23, 0x37800000
	v_lshlrev_b32_e32 v58, 21, v58
	v_or3_b32 v58, v64, v63, v58
.LBB2_2715:                             ;   in Loop: Header=BB2_2603 Depth=4
	s_or_b32 exec_lo, exec_lo, s63
	v_mul_f32_e32 v64, v65, v58
	v_and_b32_e32 v65, 0x7f800000, v64
	v_cmp_ne_u32_e32 vcc_lo, 0x7f800000, v65
	v_mov_b32_e32 v65, 0x80
	s_and_saveexec_b32 s63, vcc_lo
	s_cbranch_execz .LBB2_2723
; %bb.2716:                             ;   in Loop: Header=BB2_2603 Depth=4
	v_mov_b32_e32 v65, 0
	s_mov_b32 s72, exec_lo
	v_cmpx_ne_u32_e32 0, v64
	s_cbranch_execz .LBB2_2722
; %bb.2717:                             ;   in Loop: Header=BB2_2603 Depth=4
	v_bfe_u32 v65, v64, 23, 8
	v_and_b32_e32 v58, 0x7fffff, v64
	v_sub_nc_u32_e32 v63, 0x70, v65
	v_cmp_gt_u32_e32 vcc_lo, 0x71, v65
	v_or_b32_e32 v72, 0x800000, v58
	v_cndmask_b32_e32 v63, 0, v63, vcc_lo
	v_cmp_eq_u32_e32 vcc_lo, 0, v65
	v_add_nc_u32_e32 v65, 0xffffff91, v65
	v_cndmask_b32_e64 v63, v63, 0x6f, vcc_lo
	v_cndmask_b32_e32 v58, v72, v58, vcc_lo
	v_cndmask_b32_e64 v65, v65, 0xffffff92, vcc_lo
	v_lshl_add_u32 v72, 0x200000, v63, -1
	v_lshrrev_b32_e32 v73, v63, v58
	v_lshlrev_b32_e64 v75, v63, 0x100000
	v_add_nc_u32_e32 v63, v63, v65
	v_and_b32_e32 v58, v72, v58
	v_bfe_u32 v74, v73, 21, 1
	v_cmp_eq_u32_e64 s16, v58, v75
	v_add_nc_u32_e32 v72, -1, v74
	v_cndmask_b32_e64 v58, 0, v72, s16
	v_lshrrev_b32_e32 v72, 23, v73
	s_mov_b32 s16, exec_lo
	v_add_nc_u32_e32 v58, v58, v73
	v_xor_b32_e32 v72, 1, v72
	v_and_b32_e32 v65, 0x1fffff, v58
	v_add_nc_u32_e32 v58, v65, v73
                                        ; implicit-def: $vgpr65
	v_cmpx_ne_u32_e64 v63, v72
	s_xor_b32 s16, exec_lo, s16
; %bb.2718:                             ;   in Loop: Header=BB2_2603 Depth=4
	v_cmp_lt_u32_e32 vcc_lo, 0xffffff, v58
	v_sub_nc_u32_e32 v65, v63, v72
	v_cndmask_b32_e64 v63, 0, 1, vcc_lo
	v_add_co_ci_u32_e64 v65, null, 0, v65, vcc_lo
	v_lshrrev_b32_e32 v58, v63, v58
; %bb.2719:                             ;   in Loop: Header=BB2_2603 Depth=4
	s_andn2_saveexec_b32 s16, s16
; %bb.2720:                             ;   in Loop: Header=BB2_2603 Depth=4
	v_bfe_u32 v65, v58, 23, 1
; %bb.2721:                             ;   in Loop: Header=BB2_2603 Depth=4
	s_or_b32 exec_lo, exec_lo, s16
	v_lshrrev_b32_e32 v58, 21, v58
	v_cmp_gt_i32_e32 vcc_lo, 32, v65
	v_min_i32_e32 v63, 31, v65
	v_and_b32_sdwa v64, v64, v98 dst_sel:DWORD dst_unused:UNUSED_PAD src0_sel:BYTE_3 src1_sel:DWORD
	v_cndmask_b32_e32 v58, 3, v58, vcc_lo
	v_lshlrev_b32_e32 v63, 2, v63
	v_and_b32_e32 v72, 3, v58
	v_or_b32_e32 v65, v65, v58
	v_or3_b32 v64, v63, v64, v72
	v_cmp_ne_u32_e32 vcc_lo, 0, v65
	v_cndmask_b32_e32 v65, 0, v64, vcc_lo
.LBB2_2722:                             ;   in Loop: Header=BB2_2603 Depth=4
	s_or_b32 exec_lo, exec_lo, s72
.LBB2_2723:                             ;   in Loop: Header=BB2_2603 Depth=4
	s_or_b32 exec_lo, exec_lo, s63
	s_clause 0x7
	flat_load_ubyte v76, v[10:11] slc
	flat_load_ubyte v75, v[10:11] offset:32 slc
	flat_load_ubyte v74, v[10:11] offset:64 slc
	;; [unrolled: 1-line block ×7, first 2 shown]
	v_cmp_gt_i16_sdwa s63, v71, v97 src0_sel:BYTE_0 src1_sel:DWORD
	s_mov_b32 s16, 0
	s_and_saveexec_b32 s72, s63
	s_xor_b32 s63, exec_lo, s72
	s_cbranch_execz .LBB2_2897
; %bb.2724:                             ;   in Loop: Header=BB2_2603 Depth=4
	v_cmp_eq_u16_sdwa s73, v71, v98 src0_sel:BYTE_0 src1_sel:DWORD
	s_mov_b32 s16, -1
	s_and_saveexec_b32 s72, s73
; %bb.2725:                             ;   in Loop: Header=BB2_2603 Depth=4
	s_xor_b32 s16, exec_lo, -1
; %bb.2726:                             ;   in Loop: Header=BB2_2603 Depth=4
	s_or_b32 exec_lo, exec_lo, s72
	s_and_b32 s16, s16, exec_lo
	s_or_saveexec_b32 s63, s63
	v_mov_b32_e32 v77, 0x7f800001
	s_xor_b32 exec_lo, exec_lo, s63
	s_cbranch_execnz .LBB2_2898
.LBB2_2727:                             ;   in Loop: Header=BB2_2603 Depth=4
	s_or_b32 exec_lo, exec_lo, s63
	s_and_saveexec_b32 s63, s16
	s_cbranch_execz .LBB2_2729
.LBB2_2728:                             ;   in Loop: Header=BB2_2603 Depth=4
	v_and_b32_e32 v77, 3, v71
	v_lshrrev_b16 v79, 2, v71
	v_ffbh_u32_e32 v78, v77
	v_and_b32_e32 v79, 31, v79
	v_min_u32_e32 v78, 32, v78
	v_cmp_eq_u32_e32 vcc_lo, 0, v79
	v_subrev_nc_u32_e32 v88, 29, v78
	v_sub_nc_u32_e32 v78, 30, v78
	v_lshlrev_b32_e32 v88, v88, v71
	v_lshlrev_b32_e32 v71, 24, v71
	v_cndmask_b32_e32 v78, v79, v78, vcc_lo
	v_and_b32_e32 v88, 3, v88
	v_and_b32_e32 v71, 0x80000000, v71
	v_lshl_add_u32 v78, v78, 23, 0x37800000
	v_cndmask_b32_e32 v77, v77, v88, vcc_lo
	v_lshlrev_b32_e32 v77, 21, v77
	v_or3_b32 v77, v71, v78, v77
.LBB2_2729:                             ;   in Loop: Header=BB2_2603 Depth=4
	s_or_b32 exec_lo, exec_lo, s63
	s_waitcnt vmcnt(7) lgkmcnt(7)
	v_cmp_gt_i16_sdwa s63, v76, v97 src0_sel:BYTE_0 src1_sel:DWORD
	s_mov_b32 s16, 0
	s_and_saveexec_b32 s72, s63
	s_xor_b32 s63, exec_lo, s72
	s_cbranch_execz .LBB2_2899
; %bb.2730:                             ;   in Loop: Header=BB2_2603 Depth=4
	v_cmp_eq_u16_sdwa s73, v76, v98 src0_sel:BYTE_0 src1_sel:DWORD
	s_mov_b32 s16, -1
	s_and_saveexec_b32 s72, s73
; %bb.2731:                             ;   in Loop: Header=BB2_2603 Depth=4
	s_xor_b32 s16, exec_lo, -1
; %bb.2732:                             ;   in Loop: Header=BB2_2603 Depth=4
	s_or_b32 exec_lo, exec_lo, s72
	s_and_b32 s16, s16, exec_lo
	s_or_saveexec_b32 s63, s63
	v_mov_b32_e32 v71, 0x7f800001
	s_xor_b32 exec_lo, exec_lo, s63
	s_cbranch_execnz .LBB2_2900
.LBB2_2733:                             ;   in Loop: Header=BB2_2603 Depth=4
	s_or_b32 exec_lo, exec_lo, s63
	s_and_saveexec_b32 s63, s16
	s_cbranch_execz .LBB2_2735
.LBB2_2734:                             ;   in Loop: Header=BB2_2603 Depth=4
	v_and_b32_e32 v71, 3, v76
	v_lshrrev_b16 v79, 2, v76
	v_ffbh_u32_e32 v78, v71
	v_and_b32_e32 v79, 31, v79
	v_min_u32_e32 v78, 32, v78
	v_cmp_eq_u32_e32 vcc_lo, 0, v79
	v_subrev_nc_u32_e32 v88, 29, v78
	v_sub_nc_u32_e32 v78, 30, v78
	v_lshlrev_b32_e32 v88, v88, v76
	v_lshlrev_b32_e32 v76, 24, v76
	v_cndmask_b32_e32 v78, v79, v78, vcc_lo
	v_and_b32_e32 v88, 3, v88
	v_and_b32_e32 v76, 0x80000000, v76
	v_lshl_add_u32 v78, v78, 23, 0x37800000
	v_cndmask_b32_e32 v71, v71, v88, vcc_lo
	v_lshlrev_b32_e32 v71, 21, v71
	v_or3_b32 v71, v76, v78, v71
.LBB2_2735:                             ;   in Loop: Header=BB2_2603 Depth=4
	s_or_b32 exec_lo, exec_lo, s63
	v_add_f32_e32 v76, v77, v71
	v_and_b32_e32 v71, 0x7f800000, v76
	v_cmp_ne_u32_e32 vcc_lo, 0x7f800000, v71
	v_mov_b32_e32 v71, 0x80
	s_and_saveexec_b32 s63, vcc_lo
	s_cbranch_execz .LBB2_2743
; %bb.2736:                             ;   in Loop: Header=BB2_2603 Depth=4
	v_mov_b32_e32 v71, 0
	s_mov_b32 s72, exec_lo
	v_cmpx_ne_u32_e32 0, v76
	s_cbranch_execz .LBB2_2742
; %bb.2737:                             ;   in Loop: Header=BB2_2603 Depth=4
	v_bfe_u32 v71, v76, 23, 8
	v_and_b32_e32 v77, 0x7fffff, v76
	v_sub_nc_u32_e32 v78, 0x70, v71
	v_cmp_gt_u32_e32 vcc_lo, 0x71, v71
	v_or_b32_e32 v79, 0x800000, v77
	v_cndmask_b32_e32 v78, 0, v78, vcc_lo
	v_cmp_eq_u32_e32 vcc_lo, 0, v71
	v_add_nc_u32_e32 v71, 0xffffff91, v71
	v_cndmask_b32_e64 v78, v78, 0x6f, vcc_lo
	v_cndmask_b32_e32 v77, v79, v77, vcc_lo
	v_cndmask_b32_e64 v71, v71, 0xffffff92, vcc_lo
	v_lshl_add_u32 v79, 0x200000, v78, -1
	v_lshrrev_b32_e32 v88, v78, v77
	v_lshlrev_b32_e64 v90, v78, 0x100000
	v_add_nc_u32_e32 v78, v78, v71
	v_and_b32_e32 v77, v79, v77
	v_bfe_u32 v89, v88, 21, 1
	v_cmp_eq_u32_e64 s16, v77, v90
	v_add_nc_u32_e32 v79, -1, v89
	v_cndmask_b32_e64 v77, 0, v79, s16
	v_lshrrev_b32_e32 v79, 23, v88
	s_mov_b32 s16, exec_lo
	v_add_nc_u32_e32 v77, v77, v88
	v_xor_b32_e32 v79, 1, v79
	v_and_b32_e32 v71, 0x1fffff, v77
	v_add_nc_u32_e32 v77, v71, v88
                                        ; implicit-def: $vgpr71
	v_cmpx_ne_u32_e64 v78, v79
	s_xor_b32 s16, exec_lo, s16
; %bb.2738:                             ;   in Loop: Header=BB2_2603 Depth=4
	v_cmp_lt_u32_e32 vcc_lo, 0xffffff, v77
	v_sub_nc_u32_e32 v71, v78, v79
	v_cndmask_b32_e64 v78, 0, 1, vcc_lo
	v_add_co_ci_u32_e64 v71, null, 0, v71, vcc_lo
	v_lshrrev_b32_e32 v77, v78, v77
; %bb.2739:                             ;   in Loop: Header=BB2_2603 Depth=4
	s_andn2_saveexec_b32 s16, s16
; %bb.2740:                             ;   in Loop: Header=BB2_2603 Depth=4
	v_bfe_u32 v71, v77, 23, 1
; %bb.2741:                             ;   in Loop: Header=BB2_2603 Depth=4
	s_or_b32 exec_lo, exec_lo, s16
	v_lshrrev_b32_e32 v77, 21, v77
	v_cmp_gt_i32_e32 vcc_lo, 32, v71
	v_min_i32_e32 v78, 31, v71
	v_and_b32_sdwa v76, v76, v98 dst_sel:DWORD dst_unused:UNUSED_PAD src0_sel:BYTE_3 src1_sel:DWORD
	v_cndmask_b32_e32 v77, 3, v77, vcc_lo
	v_lshlrev_b32_e32 v78, 2, v78
	v_and_b32_e32 v79, 3, v77
	v_or_b32_e32 v71, v71, v77
	v_or3_b32 v76, v78, v76, v79
	v_cmp_ne_u32_e32 vcc_lo, 0, v71
	v_cndmask_b32_e32 v71, 0, v76, vcc_lo
.LBB2_2742:                             ;   in Loop: Header=BB2_2603 Depth=4
	s_or_b32 exec_lo, exec_lo, s72
.LBB2_2743:                             ;   in Loop: Header=BB2_2603 Depth=4
	s_or_b32 exec_lo, exec_lo, s63
	v_cmp_gt_i16_sdwa s63, v61, v97 src0_sel:BYTE_0 src1_sel:DWORD
	s_mov_b32 s16, 0
	s_and_saveexec_b32 s72, s63
	s_xor_b32 s63, exec_lo, s72
	s_cbranch_execz .LBB2_2901
; %bb.2744:                             ;   in Loop: Header=BB2_2603 Depth=4
	v_cmp_eq_u16_sdwa s73, v61, v98 src0_sel:BYTE_0 src1_sel:DWORD
	s_mov_b32 s16, -1
	s_and_saveexec_b32 s72, s73
; %bb.2745:                             ;   in Loop: Header=BB2_2603 Depth=4
	s_xor_b32 s16, exec_lo, -1
; %bb.2746:                             ;   in Loop: Header=BB2_2603 Depth=4
	s_or_b32 exec_lo, exec_lo, s72
	s_and_b32 s16, s16, exec_lo
	s_or_saveexec_b32 s63, s63
	v_mov_b32_e32 v76, 0x7f800001
	s_xor_b32 exec_lo, exec_lo, s63
	s_cbranch_execnz .LBB2_2902
.LBB2_2747:                             ;   in Loop: Header=BB2_2603 Depth=4
	s_or_b32 exec_lo, exec_lo, s63
	s_and_saveexec_b32 s63, s16
	s_cbranch_execz .LBB2_2749
.LBB2_2748:                             ;   in Loop: Header=BB2_2603 Depth=4
	v_and_b32_e32 v76, 3, v61
	v_lshrrev_b16 v78, 2, v61
	v_ffbh_u32_e32 v77, v76
	v_and_b32_e32 v78, 31, v78
	v_min_u32_e32 v77, 32, v77
	v_cmp_eq_u32_e32 vcc_lo, 0, v78
	v_subrev_nc_u32_e32 v79, 29, v77
	v_sub_nc_u32_e32 v77, 30, v77
	v_lshlrev_b32_e32 v79, v79, v61
	v_lshlrev_b32_e32 v61, 24, v61
	v_cndmask_b32_e32 v77, v78, v77, vcc_lo
	v_and_b32_e32 v79, 3, v79
	v_and_b32_e32 v61, 0x80000000, v61
	v_lshl_add_u32 v77, v77, 23, 0x37800000
	v_cndmask_b32_e32 v76, v76, v79, vcc_lo
	v_lshlrev_b32_e32 v76, 21, v76
	v_or3_b32 v76, v61, v77, v76
.LBB2_2749:                             ;   in Loop: Header=BB2_2603 Depth=4
	s_or_b32 exec_lo, exec_lo, s63
	s_waitcnt vmcnt(6) lgkmcnt(6)
	v_cmp_gt_i16_sdwa s63, v75, v97 src0_sel:BYTE_0 src1_sel:DWORD
	s_mov_b32 s16, 0
	s_and_saveexec_b32 s72, s63
	s_xor_b32 s63, exec_lo, s72
	s_cbranch_execz .LBB2_2903
; %bb.2750:                             ;   in Loop: Header=BB2_2603 Depth=4
	v_cmp_eq_u16_sdwa s73, v75, v98 src0_sel:BYTE_0 src1_sel:DWORD
	s_mov_b32 s16, -1
	s_and_saveexec_b32 s72, s73
; %bb.2751:                             ;   in Loop: Header=BB2_2603 Depth=4
	s_xor_b32 s16, exec_lo, -1
; %bb.2752:                             ;   in Loop: Header=BB2_2603 Depth=4
	s_or_b32 exec_lo, exec_lo, s72
	s_and_b32 s16, s16, exec_lo
	s_or_saveexec_b32 s63, s63
	v_mov_b32_e32 v61, 0x7f800001
	s_xor_b32 exec_lo, exec_lo, s63
	s_cbranch_execnz .LBB2_2904
.LBB2_2753:                             ;   in Loop: Header=BB2_2603 Depth=4
	s_or_b32 exec_lo, exec_lo, s63
	s_and_saveexec_b32 s63, s16
	s_cbranch_execz .LBB2_2755
.LBB2_2754:                             ;   in Loop: Header=BB2_2603 Depth=4
	v_and_b32_e32 v61, 3, v75
	v_lshrrev_b16 v78, 2, v75
	v_ffbh_u32_e32 v77, v61
	v_and_b32_e32 v78, 31, v78
	v_min_u32_e32 v77, 32, v77
	v_cmp_eq_u32_e32 vcc_lo, 0, v78
	v_subrev_nc_u32_e32 v79, 29, v77
	v_sub_nc_u32_e32 v77, 30, v77
	v_lshlrev_b32_e32 v79, v79, v75
	v_lshlrev_b32_e32 v75, 24, v75
	v_cndmask_b32_e32 v77, v78, v77, vcc_lo
	v_and_b32_e32 v79, 3, v79
	v_and_b32_e32 v75, 0x80000000, v75
	v_lshl_add_u32 v77, v77, 23, 0x37800000
	v_cndmask_b32_e32 v61, v61, v79, vcc_lo
	v_lshlrev_b32_e32 v61, 21, v61
	v_or3_b32 v61, v75, v77, v61
.LBB2_2755:                             ;   in Loop: Header=BB2_2603 Depth=4
	s_or_b32 exec_lo, exec_lo, s63
	v_add_f32_e32 v75, v76, v61
	v_and_b32_e32 v61, 0x7f800000, v75
	v_cmp_ne_u32_e32 vcc_lo, 0x7f800000, v61
	v_mov_b32_e32 v61, 0x80
	s_and_saveexec_b32 s63, vcc_lo
	s_cbranch_execz .LBB2_2763
; %bb.2756:                             ;   in Loop: Header=BB2_2603 Depth=4
	v_mov_b32_e32 v61, 0
	s_mov_b32 s72, exec_lo
	v_cmpx_ne_u32_e32 0, v75
	s_cbranch_execz .LBB2_2762
; %bb.2757:                             ;   in Loop: Header=BB2_2603 Depth=4
	v_bfe_u32 v61, v75, 23, 8
	v_and_b32_e32 v76, 0x7fffff, v75
	v_sub_nc_u32_e32 v77, 0x70, v61
	v_cmp_gt_u32_e32 vcc_lo, 0x71, v61
	v_or_b32_e32 v78, 0x800000, v76
	v_cndmask_b32_e32 v77, 0, v77, vcc_lo
	v_cmp_eq_u32_e32 vcc_lo, 0, v61
	v_add_nc_u32_e32 v61, 0xffffff91, v61
	v_cndmask_b32_e64 v77, v77, 0x6f, vcc_lo
	v_cndmask_b32_e32 v76, v78, v76, vcc_lo
	v_cndmask_b32_e64 v61, v61, 0xffffff92, vcc_lo
	v_lshl_add_u32 v78, 0x200000, v77, -1
	v_lshrrev_b32_e32 v79, v77, v76
	v_lshlrev_b32_e64 v89, v77, 0x100000
	v_add_nc_u32_e32 v77, v77, v61
	v_and_b32_e32 v76, v78, v76
	v_bfe_u32 v88, v79, 21, 1
	v_cmp_eq_u32_e64 s16, v76, v89
	v_add_nc_u32_e32 v78, -1, v88
	v_cndmask_b32_e64 v76, 0, v78, s16
	v_lshrrev_b32_e32 v78, 23, v79
	s_mov_b32 s16, exec_lo
	v_add_nc_u32_e32 v76, v76, v79
	v_xor_b32_e32 v78, 1, v78
	v_and_b32_e32 v61, 0x1fffff, v76
	v_add_nc_u32_e32 v76, v61, v79
                                        ; implicit-def: $vgpr61
	v_cmpx_ne_u32_e64 v77, v78
	s_xor_b32 s16, exec_lo, s16
; %bb.2758:                             ;   in Loop: Header=BB2_2603 Depth=4
	v_cmp_lt_u32_e32 vcc_lo, 0xffffff, v76
	v_sub_nc_u32_e32 v61, v77, v78
	v_cndmask_b32_e64 v77, 0, 1, vcc_lo
	v_add_co_ci_u32_e64 v61, null, 0, v61, vcc_lo
	v_lshrrev_b32_e32 v76, v77, v76
; %bb.2759:                             ;   in Loop: Header=BB2_2603 Depth=4
	s_andn2_saveexec_b32 s16, s16
; %bb.2760:                             ;   in Loop: Header=BB2_2603 Depth=4
	v_bfe_u32 v61, v76, 23, 1
; %bb.2761:                             ;   in Loop: Header=BB2_2603 Depth=4
	s_or_b32 exec_lo, exec_lo, s16
	v_lshrrev_b32_e32 v76, 21, v76
	v_cmp_gt_i32_e32 vcc_lo, 32, v61
	v_min_i32_e32 v77, 31, v61
	v_and_b32_sdwa v75, v75, v98 dst_sel:DWORD dst_unused:UNUSED_PAD src0_sel:BYTE_3 src1_sel:DWORD
	v_cndmask_b32_e32 v76, 3, v76, vcc_lo
	v_lshlrev_b32_e32 v77, 2, v77
	v_and_b32_e32 v78, 3, v76
	v_or_b32_e32 v61, v61, v76
	v_or3_b32 v75, v77, v75, v78
	v_cmp_ne_u32_e32 vcc_lo, 0, v61
	v_cndmask_b32_e32 v61, 0, v75, vcc_lo
.LBB2_2762:                             ;   in Loop: Header=BB2_2603 Depth=4
	s_or_b32 exec_lo, exec_lo, s72
.LBB2_2763:                             ;   in Loop: Header=BB2_2603 Depth=4
	s_or_b32 exec_lo, exec_lo, s63
	v_cmp_gt_i16_sdwa s63, v62, v97 src0_sel:BYTE_0 src1_sel:DWORD
	s_mov_b32 s16, 0
	s_and_saveexec_b32 s72, s63
	s_xor_b32 s63, exec_lo, s72
	s_cbranch_execz .LBB2_2905
; %bb.2764:                             ;   in Loop: Header=BB2_2603 Depth=4
	v_cmp_eq_u16_sdwa s73, v62, v98 src0_sel:BYTE_0 src1_sel:DWORD
	s_mov_b32 s16, -1
	s_and_saveexec_b32 s72, s73
; %bb.2765:                             ;   in Loop: Header=BB2_2603 Depth=4
	s_xor_b32 s16, exec_lo, -1
; %bb.2766:                             ;   in Loop: Header=BB2_2603 Depth=4
	s_or_b32 exec_lo, exec_lo, s72
	s_and_b32 s16, s16, exec_lo
	s_or_saveexec_b32 s63, s63
	v_mov_b32_e32 v75, 0x7f800001
	s_xor_b32 exec_lo, exec_lo, s63
	s_cbranch_execnz .LBB2_2906
.LBB2_2767:                             ;   in Loop: Header=BB2_2603 Depth=4
	s_or_b32 exec_lo, exec_lo, s63
	s_and_saveexec_b32 s63, s16
	s_cbranch_execz .LBB2_2769
.LBB2_2768:                             ;   in Loop: Header=BB2_2603 Depth=4
	v_and_b32_e32 v75, 3, v62
	v_lshrrev_b16 v77, 2, v62
	v_ffbh_u32_e32 v76, v75
	v_and_b32_e32 v77, 31, v77
	v_min_u32_e32 v76, 32, v76
	v_cmp_eq_u32_e32 vcc_lo, 0, v77
	v_subrev_nc_u32_e32 v78, 29, v76
	v_sub_nc_u32_e32 v76, 30, v76
	v_lshlrev_b32_e32 v78, v78, v62
	v_lshlrev_b32_e32 v62, 24, v62
	v_cndmask_b32_e32 v76, v77, v76, vcc_lo
	v_and_b32_e32 v78, 3, v78
	v_and_b32_e32 v62, 0x80000000, v62
	v_lshl_add_u32 v76, v76, 23, 0x37800000
	v_cndmask_b32_e32 v75, v75, v78, vcc_lo
	v_lshlrev_b32_e32 v75, 21, v75
	v_or3_b32 v75, v62, v76, v75
.LBB2_2769:                             ;   in Loop: Header=BB2_2603 Depth=4
	s_or_b32 exec_lo, exec_lo, s63
	s_waitcnt vmcnt(5) lgkmcnt(5)
	v_cmp_gt_i16_sdwa s63, v74, v97 src0_sel:BYTE_0 src1_sel:DWORD
	s_mov_b32 s16, 0
	s_and_saveexec_b32 s72, s63
	s_xor_b32 s63, exec_lo, s72
	s_cbranch_execz .LBB2_2907
; %bb.2770:                             ;   in Loop: Header=BB2_2603 Depth=4
	v_cmp_eq_u16_sdwa s73, v74, v98 src0_sel:BYTE_0 src1_sel:DWORD
	s_mov_b32 s16, -1
	s_and_saveexec_b32 s72, s73
; %bb.2771:                             ;   in Loop: Header=BB2_2603 Depth=4
	s_xor_b32 s16, exec_lo, -1
; %bb.2772:                             ;   in Loop: Header=BB2_2603 Depth=4
	s_or_b32 exec_lo, exec_lo, s72
	s_and_b32 s16, s16, exec_lo
	s_or_saveexec_b32 s63, s63
	v_mov_b32_e32 v62, 0x7f800001
	s_xor_b32 exec_lo, exec_lo, s63
	s_cbranch_execnz .LBB2_2908
.LBB2_2773:                             ;   in Loop: Header=BB2_2603 Depth=4
	s_or_b32 exec_lo, exec_lo, s63
	s_and_saveexec_b32 s63, s16
	s_cbranch_execz .LBB2_2775
.LBB2_2774:                             ;   in Loop: Header=BB2_2603 Depth=4
	v_and_b32_e32 v62, 3, v74
	v_lshrrev_b16 v77, 2, v74
	v_ffbh_u32_e32 v76, v62
	v_and_b32_e32 v77, 31, v77
	v_min_u32_e32 v76, 32, v76
	v_cmp_eq_u32_e32 vcc_lo, 0, v77
	v_subrev_nc_u32_e32 v78, 29, v76
	v_sub_nc_u32_e32 v76, 30, v76
	v_lshlrev_b32_e32 v78, v78, v74
	v_lshlrev_b32_e32 v74, 24, v74
	v_cndmask_b32_e32 v76, v77, v76, vcc_lo
	v_and_b32_e32 v78, 3, v78
	v_and_b32_e32 v74, 0x80000000, v74
	v_lshl_add_u32 v76, v76, 23, 0x37800000
	v_cndmask_b32_e32 v62, v62, v78, vcc_lo
	v_lshlrev_b32_e32 v62, 21, v62
	v_or3_b32 v62, v74, v76, v62
.LBB2_2775:                             ;   in Loop: Header=BB2_2603 Depth=4
	s_or_b32 exec_lo, exec_lo, s63
	v_add_f32_e32 v74, v75, v62
	v_and_b32_e32 v62, 0x7f800000, v74
	v_cmp_ne_u32_e32 vcc_lo, 0x7f800000, v62
	v_mov_b32_e32 v62, 0x80
	s_and_saveexec_b32 s63, vcc_lo
	s_cbranch_execz .LBB2_2783
; %bb.2776:                             ;   in Loop: Header=BB2_2603 Depth=4
	v_mov_b32_e32 v62, 0
	s_mov_b32 s72, exec_lo
	v_cmpx_ne_u32_e32 0, v74
	s_cbranch_execz .LBB2_2782
; %bb.2777:                             ;   in Loop: Header=BB2_2603 Depth=4
	v_bfe_u32 v62, v74, 23, 8
	v_and_b32_e32 v75, 0x7fffff, v74
	v_sub_nc_u32_e32 v76, 0x70, v62
	v_cmp_gt_u32_e32 vcc_lo, 0x71, v62
	v_or_b32_e32 v77, 0x800000, v75
	v_cndmask_b32_e32 v76, 0, v76, vcc_lo
	v_cmp_eq_u32_e32 vcc_lo, 0, v62
	v_add_nc_u32_e32 v62, 0xffffff91, v62
	v_cndmask_b32_e64 v76, v76, 0x6f, vcc_lo
	v_cndmask_b32_e32 v75, v77, v75, vcc_lo
	v_cndmask_b32_e64 v62, v62, 0xffffff92, vcc_lo
	v_lshl_add_u32 v77, 0x200000, v76, -1
	v_lshrrev_b32_e32 v78, v76, v75
	v_lshlrev_b32_e64 v88, v76, 0x100000
	v_add_nc_u32_e32 v76, v76, v62
	v_and_b32_e32 v75, v77, v75
	v_bfe_u32 v79, v78, 21, 1
	v_cmp_eq_u32_e64 s16, v75, v88
	v_add_nc_u32_e32 v77, -1, v79
	v_cndmask_b32_e64 v75, 0, v77, s16
	v_lshrrev_b32_e32 v77, 23, v78
	s_mov_b32 s16, exec_lo
	v_add_nc_u32_e32 v75, v75, v78
	v_xor_b32_e32 v77, 1, v77
	v_and_b32_e32 v62, 0x1fffff, v75
	v_add_nc_u32_e32 v75, v62, v78
                                        ; implicit-def: $vgpr62
	v_cmpx_ne_u32_e64 v76, v77
	s_xor_b32 s16, exec_lo, s16
; %bb.2778:                             ;   in Loop: Header=BB2_2603 Depth=4
	v_cmp_lt_u32_e32 vcc_lo, 0xffffff, v75
	v_sub_nc_u32_e32 v62, v76, v77
	v_cndmask_b32_e64 v76, 0, 1, vcc_lo
	v_add_co_ci_u32_e64 v62, null, 0, v62, vcc_lo
	v_lshrrev_b32_e32 v75, v76, v75
; %bb.2779:                             ;   in Loop: Header=BB2_2603 Depth=4
	s_andn2_saveexec_b32 s16, s16
; %bb.2780:                             ;   in Loop: Header=BB2_2603 Depth=4
	v_bfe_u32 v62, v75, 23, 1
; %bb.2781:                             ;   in Loop: Header=BB2_2603 Depth=4
	s_or_b32 exec_lo, exec_lo, s16
	v_lshrrev_b32_e32 v75, 21, v75
	v_cmp_gt_i32_e32 vcc_lo, 32, v62
	v_min_i32_e32 v76, 31, v62
	v_and_b32_sdwa v74, v74, v98 dst_sel:DWORD dst_unused:UNUSED_PAD src0_sel:BYTE_3 src1_sel:DWORD
	v_cndmask_b32_e32 v75, 3, v75, vcc_lo
	v_lshlrev_b32_e32 v76, 2, v76
	v_and_b32_e32 v77, 3, v75
	v_or_b32_e32 v62, v62, v75
	v_or3_b32 v74, v76, v74, v77
	v_cmp_ne_u32_e32 vcc_lo, 0, v62
	v_cndmask_b32_e32 v62, 0, v74, vcc_lo
.LBB2_2782:                             ;   in Loop: Header=BB2_2603 Depth=4
	s_or_b32 exec_lo, exec_lo, s72
.LBB2_2783:                             ;   in Loop: Header=BB2_2603 Depth=4
	s_or_b32 exec_lo, exec_lo, s63
	v_cmp_gt_i16_sdwa s63, v60, v97 src0_sel:BYTE_0 src1_sel:DWORD
	s_mov_b32 s16, 0
	s_and_saveexec_b32 s72, s63
	s_xor_b32 s63, exec_lo, s72
	s_cbranch_execz .LBB2_2909
; %bb.2784:                             ;   in Loop: Header=BB2_2603 Depth=4
	v_cmp_eq_u16_sdwa s73, v60, v98 src0_sel:BYTE_0 src1_sel:DWORD
	s_mov_b32 s16, -1
	s_and_saveexec_b32 s72, s73
; %bb.2785:                             ;   in Loop: Header=BB2_2603 Depth=4
	s_xor_b32 s16, exec_lo, -1
; %bb.2786:                             ;   in Loop: Header=BB2_2603 Depth=4
	s_or_b32 exec_lo, exec_lo, s72
	s_and_b32 s16, s16, exec_lo
	s_or_saveexec_b32 s63, s63
	v_mov_b32_e32 v74, 0x7f800001
	s_xor_b32 exec_lo, exec_lo, s63
	s_cbranch_execnz .LBB2_2910
.LBB2_2787:                             ;   in Loop: Header=BB2_2603 Depth=4
	s_or_b32 exec_lo, exec_lo, s63
	s_and_saveexec_b32 s63, s16
	s_cbranch_execz .LBB2_2789
.LBB2_2788:                             ;   in Loop: Header=BB2_2603 Depth=4
	v_and_b32_e32 v74, 3, v60
	v_lshrrev_b16 v76, 2, v60
	v_ffbh_u32_e32 v75, v74
	v_and_b32_e32 v76, 31, v76
	v_min_u32_e32 v75, 32, v75
	v_cmp_eq_u32_e32 vcc_lo, 0, v76
	v_subrev_nc_u32_e32 v77, 29, v75
	v_sub_nc_u32_e32 v75, 30, v75
	v_lshlrev_b32_e32 v77, v77, v60
	v_lshlrev_b32_e32 v60, 24, v60
	v_cndmask_b32_e32 v75, v76, v75, vcc_lo
	v_and_b32_e32 v77, 3, v77
	v_and_b32_e32 v60, 0x80000000, v60
	v_lshl_add_u32 v75, v75, 23, 0x37800000
	v_cndmask_b32_e32 v74, v74, v77, vcc_lo
	v_lshlrev_b32_e32 v74, 21, v74
	v_or3_b32 v74, v60, v75, v74
.LBB2_2789:                             ;   in Loop: Header=BB2_2603 Depth=4
	s_or_b32 exec_lo, exec_lo, s63
	s_waitcnt vmcnt(4) lgkmcnt(4)
	v_cmp_gt_i16_sdwa s63, v73, v97 src0_sel:BYTE_0 src1_sel:DWORD
	s_mov_b32 s16, 0
	s_and_saveexec_b32 s72, s63
	s_xor_b32 s63, exec_lo, s72
	s_cbranch_execz .LBB2_2911
; %bb.2790:                             ;   in Loop: Header=BB2_2603 Depth=4
	v_cmp_eq_u16_sdwa s73, v73, v98 src0_sel:BYTE_0 src1_sel:DWORD
	s_mov_b32 s16, -1
	s_and_saveexec_b32 s72, s73
; %bb.2791:                             ;   in Loop: Header=BB2_2603 Depth=4
	s_xor_b32 s16, exec_lo, -1
; %bb.2792:                             ;   in Loop: Header=BB2_2603 Depth=4
	s_or_b32 exec_lo, exec_lo, s72
	s_and_b32 s16, s16, exec_lo
	s_or_saveexec_b32 s63, s63
	v_mov_b32_e32 v60, 0x7f800001
	s_xor_b32 exec_lo, exec_lo, s63
	s_cbranch_execnz .LBB2_2912
.LBB2_2793:                             ;   in Loop: Header=BB2_2603 Depth=4
	s_or_b32 exec_lo, exec_lo, s63
	s_and_saveexec_b32 s63, s16
	s_cbranch_execz .LBB2_2795
.LBB2_2794:                             ;   in Loop: Header=BB2_2603 Depth=4
	v_and_b32_e32 v60, 3, v73
	v_lshrrev_b16 v76, 2, v73
	v_ffbh_u32_e32 v75, v60
	v_and_b32_e32 v76, 31, v76
	v_min_u32_e32 v75, 32, v75
	v_cmp_eq_u32_e32 vcc_lo, 0, v76
	v_subrev_nc_u32_e32 v77, 29, v75
	v_sub_nc_u32_e32 v75, 30, v75
	v_lshlrev_b32_e32 v77, v77, v73
	v_lshlrev_b32_e32 v73, 24, v73
	v_cndmask_b32_e32 v75, v76, v75, vcc_lo
	v_and_b32_e32 v77, 3, v77
	v_and_b32_e32 v73, 0x80000000, v73
	v_lshl_add_u32 v75, v75, 23, 0x37800000
	v_cndmask_b32_e32 v60, v60, v77, vcc_lo
	v_lshlrev_b32_e32 v60, 21, v60
	v_or3_b32 v60, v73, v75, v60
.LBB2_2795:                             ;   in Loop: Header=BB2_2603 Depth=4
	s_or_b32 exec_lo, exec_lo, s63
	v_add_f32_e32 v73, v74, v60
	v_and_b32_e32 v60, 0x7f800000, v73
	v_cmp_ne_u32_e32 vcc_lo, 0x7f800000, v60
	v_mov_b32_e32 v60, 0x80
	s_and_saveexec_b32 s63, vcc_lo
	s_cbranch_execz .LBB2_2803
; %bb.2796:                             ;   in Loop: Header=BB2_2603 Depth=4
	v_mov_b32_e32 v60, 0
	s_mov_b32 s72, exec_lo
	v_cmpx_ne_u32_e32 0, v73
	s_cbranch_execz .LBB2_2802
; %bb.2797:                             ;   in Loop: Header=BB2_2603 Depth=4
	v_bfe_u32 v60, v73, 23, 8
	v_and_b32_e32 v74, 0x7fffff, v73
	v_sub_nc_u32_e32 v75, 0x70, v60
	v_cmp_gt_u32_e32 vcc_lo, 0x71, v60
	v_or_b32_e32 v76, 0x800000, v74
	v_cndmask_b32_e32 v75, 0, v75, vcc_lo
	v_cmp_eq_u32_e32 vcc_lo, 0, v60
	v_add_nc_u32_e32 v60, 0xffffff91, v60
	v_cndmask_b32_e64 v75, v75, 0x6f, vcc_lo
	v_cndmask_b32_e32 v74, v76, v74, vcc_lo
	v_cndmask_b32_e64 v60, v60, 0xffffff92, vcc_lo
	v_lshl_add_u32 v76, 0x200000, v75, -1
	v_lshrrev_b32_e32 v77, v75, v74
	v_lshlrev_b32_e64 v79, v75, 0x100000
	v_add_nc_u32_e32 v75, v75, v60
	v_and_b32_e32 v74, v76, v74
	v_bfe_u32 v78, v77, 21, 1
	v_cmp_eq_u32_e64 s16, v74, v79
	v_add_nc_u32_e32 v76, -1, v78
	v_cndmask_b32_e64 v74, 0, v76, s16
	v_lshrrev_b32_e32 v76, 23, v77
	s_mov_b32 s16, exec_lo
	v_add_nc_u32_e32 v74, v74, v77
	v_xor_b32_e32 v76, 1, v76
	v_and_b32_e32 v60, 0x1fffff, v74
	v_add_nc_u32_e32 v74, v60, v77
                                        ; implicit-def: $vgpr60
	v_cmpx_ne_u32_e64 v75, v76
	s_xor_b32 s16, exec_lo, s16
; %bb.2798:                             ;   in Loop: Header=BB2_2603 Depth=4
	v_cmp_lt_u32_e32 vcc_lo, 0xffffff, v74
	v_sub_nc_u32_e32 v60, v75, v76
	v_cndmask_b32_e64 v75, 0, 1, vcc_lo
	v_add_co_ci_u32_e64 v60, null, 0, v60, vcc_lo
	v_lshrrev_b32_e32 v74, v75, v74
; %bb.2799:                             ;   in Loop: Header=BB2_2603 Depth=4
	s_andn2_saveexec_b32 s16, s16
; %bb.2800:                             ;   in Loop: Header=BB2_2603 Depth=4
	v_bfe_u32 v60, v74, 23, 1
; %bb.2801:                             ;   in Loop: Header=BB2_2603 Depth=4
	s_or_b32 exec_lo, exec_lo, s16
	v_lshrrev_b32_e32 v74, 21, v74
	v_cmp_gt_i32_e32 vcc_lo, 32, v60
	v_min_i32_e32 v75, 31, v60
	v_and_b32_sdwa v73, v73, v98 dst_sel:DWORD dst_unused:UNUSED_PAD src0_sel:BYTE_3 src1_sel:DWORD
	v_cndmask_b32_e32 v74, 3, v74, vcc_lo
	v_lshlrev_b32_e32 v75, 2, v75
	v_and_b32_e32 v76, 3, v74
	v_or_b32_e32 v60, v60, v74
	v_or3_b32 v73, v75, v73, v76
	v_cmp_ne_u32_e32 vcc_lo, 0, v60
	v_cndmask_b32_e32 v60, 0, v73, vcc_lo
.LBB2_2802:                             ;   in Loop: Header=BB2_2603 Depth=4
	s_or_b32 exec_lo, exec_lo, s72
.LBB2_2803:                             ;   in Loop: Header=BB2_2603 Depth=4
	s_or_b32 exec_lo, exec_lo, s63
	v_cmp_gt_i16_sdwa s63, v59, v97 src0_sel:BYTE_0 src1_sel:DWORD
	s_mov_b32 s16, 0
	s_and_saveexec_b32 s72, s63
	s_xor_b32 s63, exec_lo, s72
	s_cbranch_execz .LBB2_2913
; %bb.2804:                             ;   in Loop: Header=BB2_2603 Depth=4
	v_cmp_eq_u16_sdwa s73, v59, v98 src0_sel:BYTE_0 src1_sel:DWORD
	s_mov_b32 s16, -1
	s_and_saveexec_b32 s72, s73
; %bb.2805:                             ;   in Loop: Header=BB2_2603 Depth=4
	s_xor_b32 s16, exec_lo, -1
; %bb.2806:                             ;   in Loop: Header=BB2_2603 Depth=4
	s_or_b32 exec_lo, exec_lo, s72
	s_and_b32 s16, s16, exec_lo
	s_or_saveexec_b32 s63, s63
	v_mov_b32_e32 v73, 0x7f800001
	s_xor_b32 exec_lo, exec_lo, s63
	s_cbranch_execnz .LBB2_2914
.LBB2_2807:                             ;   in Loop: Header=BB2_2603 Depth=4
	s_or_b32 exec_lo, exec_lo, s63
	s_and_saveexec_b32 s63, s16
	s_cbranch_execz .LBB2_2809
.LBB2_2808:                             ;   in Loop: Header=BB2_2603 Depth=4
	v_and_b32_e32 v73, 3, v59
	v_lshrrev_b16 v75, 2, v59
	v_ffbh_u32_e32 v74, v73
	v_and_b32_e32 v75, 31, v75
	v_min_u32_e32 v74, 32, v74
	v_cmp_eq_u32_e32 vcc_lo, 0, v75
	v_subrev_nc_u32_e32 v76, 29, v74
	v_sub_nc_u32_e32 v74, 30, v74
	v_lshlrev_b32_e32 v76, v76, v59
	v_lshlrev_b32_e32 v59, 24, v59
	v_cndmask_b32_e32 v74, v75, v74, vcc_lo
	v_and_b32_e32 v76, 3, v76
	v_and_b32_e32 v59, 0x80000000, v59
	v_lshl_add_u32 v74, v74, 23, 0x37800000
	v_cndmask_b32_e32 v73, v73, v76, vcc_lo
	v_lshlrev_b32_e32 v73, 21, v73
	v_or3_b32 v73, v59, v74, v73
.LBB2_2809:                             ;   in Loop: Header=BB2_2603 Depth=4
	s_or_b32 exec_lo, exec_lo, s63
	s_waitcnt vmcnt(3) lgkmcnt(3)
	v_cmp_gt_i16_sdwa s63, v72, v97 src0_sel:BYTE_0 src1_sel:DWORD
	s_mov_b32 s16, 0
	s_and_saveexec_b32 s72, s63
	s_xor_b32 s63, exec_lo, s72
	s_cbranch_execz .LBB2_2915
; %bb.2810:                             ;   in Loop: Header=BB2_2603 Depth=4
	v_cmp_eq_u16_sdwa s73, v72, v98 src0_sel:BYTE_0 src1_sel:DWORD
	s_mov_b32 s16, -1
	s_and_saveexec_b32 s72, s73
; %bb.2811:                             ;   in Loop: Header=BB2_2603 Depth=4
	s_xor_b32 s16, exec_lo, -1
; %bb.2812:                             ;   in Loop: Header=BB2_2603 Depth=4
	s_or_b32 exec_lo, exec_lo, s72
	s_and_b32 s16, s16, exec_lo
	s_or_saveexec_b32 s63, s63
	v_mov_b32_e32 v59, 0x7f800001
	s_xor_b32 exec_lo, exec_lo, s63
	s_cbranch_execnz .LBB2_2916
.LBB2_2813:                             ;   in Loop: Header=BB2_2603 Depth=4
	s_or_b32 exec_lo, exec_lo, s63
	s_and_saveexec_b32 s63, s16
	s_cbranch_execz .LBB2_2815
.LBB2_2814:                             ;   in Loop: Header=BB2_2603 Depth=4
	v_and_b32_e32 v59, 3, v72
	v_lshrrev_b16 v75, 2, v72
	v_ffbh_u32_e32 v74, v59
	v_and_b32_e32 v75, 31, v75
	v_min_u32_e32 v74, 32, v74
	v_cmp_eq_u32_e32 vcc_lo, 0, v75
	v_subrev_nc_u32_e32 v76, 29, v74
	v_sub_nc_u32_e32 v74, 30, v74
	v_lshlrev_b32_e32 v76, v76, v72
	v_lshlrev_b32_e32 v72, 24, v72
	v_cndmask_b32_e32 v74, v75, v74, vcc_lo
	v_and_b32_e32 v76, 3, v76
	v_and_b32_e32 v72, 0x80000000, v72
	v_lshl_add_u32 v74, v74, 23, 0x37800000
	v_cndmask_b32_e32 v59, v59, v76, vcc_lo
	v_lshlrev_b32_e32 v59, 21, v59
	v_or3_b32 v59, v72, v74, v59
.LBB2_2815:                             ;   in Loop: Header=BB2_2603 Depth=4
	s_or_b32 exec_lo, exec_lo, s63
	v_add_f32_e32 v72, v73, v59
	v_and_b32_e32 v59, 0x7f800000, v72
	v_cmp_ne_u32_e32 vcc_lo, 0x7f800000, v59
	v_mov_b32_e32 v59, 0x80
	s_and_saveexec_b32 s63, vcc_lo
	s_cbranch_execz .LBB2_2823
; %bb.2816:                             ;   in Loop: Header=BB2_2603 Depth=4
	v_mov_b32_e32 v59, 0
	s_mov_b32 s72, exec_lo
	v_cmpx_ne_u32_e32 0, v72
	s_cbranch_execz .LBB2_2822
; %bb.2817:                             ;   in Loop: Header=BB2_2603 Depth=4
	v_bfe_u32 v59, v72, 23, 8
	v_and_b32_e32 v73, 0x7fffff, v72
	v_sub_nc_u32_e32 v74, 0x70, v59
	v_cmp_gt_u32_e32 vcc_lo, 0x71, v59
	v_or_b32_e32 v75, 0x800000, v73
	v_cndmask_b32_e32 v74, 0, v74, vcc_lo
	v_cmp_eq_u32_e32 vcc_lo, 0, v59
	v_add_nc_u32_e32 v59, 0xffffff91, v59
	v_cndmask_b32_e64 v74, v74, 0x6f, vcc_lo
	v_cndmask_b32_e32 v73, v75, v73, vcc_lo
	v_cndmask_b32_e64 v59, v59, 0xffffff92, vcc_lo
	v_lshl_add_u32 v75, 0x200000, v74, -1
	v_lshrrev_b32_e32 v76, v74, v73
	v_lshlrev_b32_e64 v78, v74, 0x100000
	v_add_nc_u32_e32 v74, v74, v59
	v_and_b32_e32 v73, v75, v73
	v_bfe_u32 v77, v76, 21, 1
	v_cmp_eq_u32_e64 s16, v73, v78
	v_add_nc_u32_e32 v75, -1, v77
	v_cndmask_b32_e64 v73, 0, v75, s16
	v_lshrrev_b32_e32 v75, 23, v76
	s_mov_b32 s16, exec_lo
	v_add_nc_u32_e32 v73, v73, v76
	v_xor_b32_e32 v75, 1, v75
	v_and_b32_e32 v59, 0x1fffff, v73
	v_add_nc_u32_e32 v73, v59, v76
                                        ; implicit-def: $vgpr59
	v_cmpx_ne_u32_e64 v74, v75
	s_xor_b32 s16, exec_lo, s16
; %bb.2818:                             ;   in Loop: Header=BB2_2603 Depth=4
	v_cmp_lt_u32_e32 vcc_lo, 0xffffff, v73
	v_sub_nc_u32_e32 v59, v74, v75
	v_cndmask_b32_e64 v74, 0, 1, vcc_lo
	v_add_co_ci_u32_e64 v59, null, 0, v59, vcc_lo
	v_lshrrev_b32_e32 v73, v74, v73
; %bb.2819:                             ;   in Loop: Header=BB2_2603 Depth=4
	s_andn2_saveexec_b32 s16, s16
; %bb.2820:                             ;   in Loop: Header=BB2_2603 Depth=4
	v_bfe_u32 v59, v73, 23, 1
; %bb.2821:                             ;   in Loop: Header=BB2_2603 Depth=4
	s_or_b32 exec_lo, exec_lo, s16
	v_lshrrev_b32_e32 v73, 21, v73
	v_cmp_gt_i32_e32 vcc_lo, 32, v59
	v_min_i32_e32 v74, 31, v59
	v_and_b32_sdwa v72, v72, v98 dst_sel:DWORD dst_unused:UNUSED_PAD src0_sel:BYTE_3 src1_sel:DWORD
	v_cndmask_b32_e32 v73, 3, v73, vcc_lo
	v_lshlrev_b32_e32 v74, 2, v74
	v_and_b32_e32 v75, 3, v73
	v_or_b32_e32 v59, v59, v73
	v_or3_b32 v72, v74, v72, v75
	v_cmp_ne_u32_e32 vcc_lo, 0, v59
	v_cndmask_b32_e32 v59, 0, v72, vcc_lo
.LBB2_2822:                             ;   in Loop: Header=BB2_2603 Depth=4
	s_or_b32 exec_lo, exec_lo, s72
.LBB2_2823:                             ;   in Loop: Header=BB2_2603 Depth=4
	s_or_b32 exec_lo, exec_lo, s63
	v_cmp_gt_i16_sdwa s63, v57, v97 src0_sel:BYTE_0 src1_sel:DWORD
	s_mov_b32 s16, 0
	s_and_saveexec_b32 s72, s63
	s_xor_b32 s63, exec_lo, s72
	s_cbranch_execz .LBB2_2917
; %bb.2824:                             ;   in Loop: Header=BB2_2603 Depth=4
	v_cmp_eq_u16_sdwa s73, v57, v98 src0_sel:BYTE_0 src1_sel:DWORD
	s_mov_b32 s16, -1
	s_and_saveexec_b32 s72, s73
; %bb.2825:                             ;   in Loop: Header=BB2_2603 Depth=4
	s_xor_b32 s16, exec_lo, -1
; %bb.2826:                             ;   in Loop: Header=BB2_2603 Depth=4
	s_or_b32 exec_lo, exec_lo, s72
	s_and_b32 s16, s16, exec_lo
	s_or_saveexec_b32 s63, s63
	v_mov_b32_e32 v72, 0x7f800001
	s_xor_b32 exec_lo, exec_lo, s63
	s_cbranch_execnz .LBB2_2918
.LBB2_2827:                             ;   in Loop: Header=BB2_2603 Depth=4
	s_or_b32 exec_lo, exec_lo, s63
	s_and_saveexec_b32 s63, s16
	s_cbranch_execz .LBB2_2829
.LBB2_2828:                             ;   in Loop: Header=BB2_2603 Depth=4
	v_and_b32_e32 v72, 3, v57
	v_lshrrev_b16 v74, 2, v57
	v_ffbh_u32_e32 v73, v72
	v_and_b32_e32 v74, 31, v74
	v_min_u32_e32 v73, 32, v73
	v_cmp_eq_u32_e32 vcc_lo, 0, v74
	v_subrev_nc_u32_e32 v75, 29, v73
	v_sub_nc_u32_e32 v73, 30, v73
	v_lshlrev_b32_e32 v75, v75, v57
	v_lshlrev_b32_e32 v57, 24, v57
	v_cndmask_b32_e32 v73, v74, v73, vcc_lo
	v_and_b32_e32 v75, 3, v75
	v_and_b32_e32 v57, 0x80000000, v57
	v_lshl_add_u32 v73, v73, 23, 0x37800000
	v_cndmask_b32_e32 v72, v72, v75, vcc_lo
	v_lshlrev_b32_e32 v72, 21, v72
	v_or3_b32 v72, v57, v73, v72
.LBB2_2829:                             ;   in Loop: Header=BB2_2603 Depth=4
	s_or_b32 exec_lo, exec_lo, s63
	s_waitcnt vmcnt(2) lgkmcnt(2)
	v_cmp_gt_i16_sdwa s63, v63, v97 src0_sel:BYTE_0 src1_sel:DWORD
	s_mov_b32 s16, 0
	s_and_saveexec_b32 s72, s63
	s_xor_b32 s63, exec_lo, s72
	s_cbranch_execz .LBB2_2919
; %bb.2830:                             ;   in Loop: Header=BB2_2603 Depth=4
	v_cmp_eq_u16_sdwa s73, v63, v98 src0_sel:BYTE_0 src1_sel:DWORD
	s_mov_b32 s16, -1
	s_and_saveexec_b32 s72, s73
; %bb.2831:                             ;   in Loop: Header=BB2_2603 Depth=4
	s_xor_b32 s16, exec_lo, -1
; %bb.2832:                             ;   in Loop: Header=BB2_2603 Depth=4
	s_or_b32 exec_lo, exec_lo, s72
	s_and_b32 s16, s16, exec_lo
	s_or_saveexec_b32 s63, s63
	v_mov_b32_e32 v57, 0x7f800001
	s_xor_b32 exec_lo, exec_lo, s63
	s_cbranch_execnz .LBB2_2920
.LBB2_2833:                             ;   in Loop: Header=BB2_2603 Depth=4
	s_or_b32 exec_lo, exec_lo, s63
	s_and_saveexec_b32 s63, s16
	s_cbranch_execz .LBB2_2835
.LBB2_2834:                             ;   in Loop: Header=BB2_2603 Depth=4
	v_and_b32_e32 v57, 3, v63
	v_lshrrev_b16 v74, 2, v63
	v_ffbh_u32_e32 v73, v57
	v_and_b32_e32 v74, 31, v74
	v_min_u32_e32 v73, 32, v73
	v_cmp_eq_u32_e32 vcc_lo, 0, v74
	v_subrev_nc_u32_e32 v75, 29, v73
	v_sub_nc_u32_e32 v73, 30, v73
	v_lshlrev_b32_e32 v75, v75, v63
	v_lshlrev_b32_e32 v63, 24, v63
	v_cndmask_b32_e32 v73, v74, v73, vcc_lo
	v_and_b32_e32 v75, 3, v75
	v_and_b32_e32 v63, 0x80000000, v63
	v_lshl_add_u32 v73, v73, 23, 0x37800000
	v_cndmask_b32_e32 v57, v57, v75, vcc_lo
	v_lshlrev_b32_e32 v57, 21, v57
	v_or3_b32 v57, v63, v73, v57
.LBB2_2835:                             ;   in Loop: Header=BB2_2603 Depth=4
	s_or_b32 exec_lo, exec_lo, s63
	v_add_f32_e32 v63, v72, v57
	v_and_b32_e32 v57, 0x7f800000, v63
	v_cmp_ne_u32_e32 vcc_lo, 0x7f800000, v57
	v_mov_b32_e32 v57, 0x80
	s_and_saveexec_b32 s63, vcc_lo
	s_cbranch_execz .LBB2_2843
; %bb.2836:                             ;   in Loop: Header=BB2_2603 Depth=4
	v_mov_b32_e32 v57, 0
	s_mov_b32 s72, exec_lo
	v_cmpx_ne_u32_e32 0, v63
	s_cbranch_execz .LBB2_2842
; %bb.2837:                             ;   in Loop: Header=BB2_2603 Depth=4
	v_bfe_u32 v57, v63, 23, 8
	v_and_b32_e32 v72, 0x7fffff, v63
	v_sub_nc_u32_e32 v73, 0x70, v57
	v_cmp_gt_u32_e32 vcc_lo, 0x71, v57
	v_or_b32_e32 v74, 0x800000, v72
	v_cndmask_b32_e32 v73, 0, v73, vcc_lo
	v_cmp_eq_u32_e32 vcc_lo, 0, v57
	v_add_nc_u32_e32 v57, 0xffffff91, v57
	v_cndmask_b32_e64 v73, v73, 0x6f, vcc_lo
	v_cndmask_b32_e32 v72, v74, v72, vcc_lo
	v_cndmask_b32_e64 v57, v57, 0xffffff92, vcc_lo
	v_lshl_add_u32 v74, 0x200000, v73, -1
	v_lshrrev_b32_e32 v75, v73, v72
	v_lshlrev_b32_e64 v77, v73, 0x100000
	v_add_nc_u32_e32 v73, v73, v57
	v_and_b32_e32 v72, v74, v72
	v_bfe_u32 v76, v75, 21, 1
	v_cmp_eq_u32_e64 s16, v72, v77
	v_add_nc_u32_e32 v74, -1, v76
	v_cndmask_b32_e64 v72, 0, v74, s16
	v_lshrrev_b32_e32 v74, 23, v75
	s_mov_b32 s16, exec_lo
	v_add_nc_u32_e32 v72, v72, v75
	v_xor_b32_e32 v74, 1, v74
	v_and_b32_e32 v57, 0x1fffff, v72
	v_add_nc_u32_e32 v72, v57, v75
                                        ; implicit-def: $vgpr57
	v_cmpx_ne_u32_e64 v73, v74
	s_xor_b32 s16, exec_lo, s16
; %bb.2838:                             ;   in Loop: Header=BB2_2603 Depth=4
	v_cmp_lt_u32_e32 vcc_lo, 0xffffff, v72
	v_sub_nc_u32_e32 v57, v73, v74
	v_cndmask_b32_e64 v73, 0, 1, vcc_lo
	v_add_co_ci_u32_e64 v57, null, 0, v57, vcc_lo
	v_lshrrev_b32_e32 v72, v73, v72
; %bb.2839:                             ;   in Loop: Header=BB2_2603 Depth=4
	s_andn2_saveexec_b32 s16, s16
; %bb.2840:                             ;   in Loop: Header=BB2_2603 Depth=4
	v_bfe_u32 v57, v72, 23, 1
; %bb.2841:                             ;   in Loop: Header=BB2_2603 Depth=4
	s_or_b32 exec_lo, exec_lo, s16
	v_lshrrev_b32_e32 v72, 21, v72
	v_cmp_gt_i32_e32 vcc_lo, 32, v57
	v_min_i32_e32 v73, 31, v57
	v_and_b32_sdwa v63, v63, v98 dst_sel:DWORD dst_unused:UNUSED_PAD src0_sel:BYTE_3 src1_sel:DWORD
	v_cndmask_b32_e32 v72, 3, v72, vcc_lo
	v_lshlrev_b32_e32 v73, 2, v73
	v_and_b32_e32 v74, 3, v72
	v_or_b32_e32 v57, v57, v72
	v_or3_b32 v63, v73, v63, v74
	v_cmp_ne_u32_e32 vcc_lo, 0, v57
	v_cndmask_b32_e32 v57, 0, v63, vcc_lo
.LBB2_2842:                             ;   in Loop: Header=BB2_2603 Depth=4
	s_or_b32 exec_lo, exec_lo, s72
.LBB2_2843:                             ;   in Loop: Header=BB2_2603 Depth=4
	s_or_b32 exec_lo, exec_lo, s63
	v_cmp_gt_i16_sdwa s63, v56, v97 src0_sel:BYTE_0 src1_sel:DWORD
	s_mov_b32 s16, 0
	s_and_saveexec_b32 s72, s63
	s_xor_b32 s63, exec_lo, s72
	s_cbranch_execz .LBB2_2921
; %bb.2844:                             ;   in Loop: Header=BB2_2603 Depth=4
	v_cmp_eq_u16_sdwa s73, v56, v98 src0_sel:BYTE_0 src1_sel:DWORD
	s_mov_b32 s16, -1
	s_and_saveexec_b32 s72, s73
; %bb.2845:                             ;   in Loop: Header=BB2_2603 Depth=4
	s_xor_b32 s16, exec_lo, -1
; %bb.2846:                             ;   in Loop: Header=BB2_2603 Depth=4
	s_or_b32 exec_lo, exec_lo, s72
	s_and_b32 s16, s16, exec_lo
	s_or_saveexec_b32 s63, s63
	v_mov_b32_e32 v63, 0x7f800001
	s_xor_b32 exec_lo, exec_lo, s63
	s_cbranch_execnz .LBB2_2922
.LBB2_2847:                             ;   in Loop: Header=BB2_2603 Depth=4
	s_or_b32 exec_lo, exec_lo, s63
	s_and_saveexec_b32 s63, s16
	s_cbranch_execz .LBB2_2849
.LBB2_2848:                             ;   in Loop: Header=BB2_2603 Depth=4
	v_and_b32_e32 v63, 3, v56
	v_lshrrev_b16 v73, 2, v56
	v_ffbh_u32_e32 v72, v63
	v_and_b32_e32 v73, 31, v73
	v_min_u32_e32 v72, 32, v72
	v_cmp_eq_u32_e32 vcc_lo, 0, v73
	v_subrev_nc_u32_e32 v74, 29, v72
	v_sub_nc_u32_e32 v72, 30, v72
	v_lshlrev_b32_e32 v74, v74, v56
	v_lshlrev_b32_e32 v56, 24, v56
	v_cndmask_b32_e32 v72, v73, v72, vcc_lo
	v_and_b32_e32 v74, 3, v74
	v_and_b32_e32 v56, 0x80000000, v56
	v_lshl_add_u32 v72, v72, 23, 0x37800000
	v_cndmask_b32_e32 v63, v63, v74, vcc_lo
	v_lshlrev_b32_e32 v63, 21, v63
	v_or3_b32 v63, v56, v72, v63
.LBB2_2849:                             ;   in Loop: Header=BB2_2603 Depth=4
	s_or_b32 exec_lo, exec_lo, s63
	s_waitcnt vmcnt(1) lgkmcnt(1)
	v_cmp_gt_i16_sdwa s63, v58, v97 src0_sel:BYTE_0 src1_sel:DWORD
	s_mov_b32 s16, 0
	s_and_saveexec_b32 s72, s63
	s_xor_b32 s63, exec_lo, s72
	s_cbranch_execz .LBB2_2923
; %bb.2850:                             ;   in Loop: Header=BB2_2603 Depth=4
	v_cmp_eq_u16_sdwa s73, v58, v98 src0_sel:BYTE_0 src1_sel:DWORD
	s_mov_b32 s16, -1
	s_and_saveexec_b32 s72, s73
; %bb.2851:                             ;   in Loop: Header=BB2_2603 Depth=4
	s_xor_b32 s16, exec_lo, -1
; %bb.2852:                             ;   in Loop: Header=BB2_2603 Depth=4
	s_or_b32 exec_lo, exec_lo, s72
	s_and_b32 s16, s16, exec_lo
	s_or_saveexec_b32 s63, s63
	v_mov_b32_e32 v56, 0x7f800001
	s_xor_b32 exec_lo, exec_lo, s63
	s_cbranch_execnz .LBB2_2924
.LBB2_2853:                             ;   in Loop: Header=BB2_2603 Depth=4
	s_or_b32 exec_lo, exec_lo, s63
	s_and_saveexec_b32 s63, s16
	s_cbranch_execz .LBB2_2855
.LBB2_2854:                             ;   in Loop: Header=BB2_2603 Depth=4
	v_and_b32_e32 v56, 3, v58
	v_lshrrev_b16 v73, 2, v58
	v_ffbh_u32_e32 v72, v56
	v_and_b32_e32 v73, 31, v73
	v_min_u32_e32 v72, 32, v72
	v_cmp_eq_u32_e32 vcc_lo, 0, v73
	v_subrev_nc_u32_e32 v74, 29, v72
	v_sub_nc_u32_e32 v72, 30, v72
	v_lshlrev_b32_e32 v74, v74, v58
	v_lshlrev_b32_e32 v58, 24, v58
	v_cndmask_b32_e32 v72, v73, v72, vcc_lo
	v_and_b32_e32 v74, 3, v74
	v_and_b32_e32 v58, 0x80000000, v58
	v_lshl_add_u32 v72, v72, 23, 0x37800000
	v_cndmask_b32_e32 v56, v56, v74, vcc_lo
	v_lshlrev_b32_e32 v56, 21, v56
	v_or3_b32 v56, v58, v72, v56
.LBB2_2855:                             ;   in Loop: Header=BB2_2603 Depth=4
	s_or_b32 exec_lo, exec_lo, s63
	v_add_f32_e32 v58, v63, v56
	v_and_b32_e32 v56, 0x7f800000, v58
	v_cmp_ne_u32_e32 vcc_lo, 0x7f800000, v56
	v_mov_b32_e32 v56, 0x80
	s_and_saveexec_b32 s63, vcc_lo
	s_cbranch_execz .LBB2_2863
; %bb.2856:                             ;   in Loop: Header=BB2_2603 Depth=4
	v_mov_b32_e32 v56, 0
	s_mov_b32 s72, exec_lo
	v_cmpx_ne_u32_e32 0, v58
	s_cbranch_execz .LBB2_2862
; %bb.2857:                             ;   in Loop: Header=BB2_2603 Depth=4
	v_bfe_u32 v56, v58, 23, 8
	v_and_b32_e32 v63, 0x7fffff, v58
	v_sub_nc_u32_e32 v72, 0x70, v56
	v_cmp_gt_u32_e32 vcc_lo, 0x71, v56
	v_or_b32_e32 v73, 0x800000, v63
	v_cndmask_b32_e32 v72, 0, v72, vcc_lo
	v_cmp_eq_u32_e32 vcc_lo, 0, v56
	v_add_nc_u32_e32 v56, 0xffffff91, v56
	v_cndmask_b32_e64 v72, v72, 0x6f, vcc_lo
	v_cndmask_b32_e32 v63, v73, v63, vcc_lo
	v_cndmask_b32_e64 v56, v56, 0xffffff92, vcc_lo
	v_lshl_add_u32 v73, 0x200000, v72, -1
	v_lshrrev_b32_e32 v74, v72, v63
	v_lshlrev_b32_e64 v76, v72, 0x100000
	v_add_nc_u32_e32 v72, v72, v56
	v_and_b32_e32 v63, v73, v63
	v_bfe_u32 v75, v74, 21, 1
	v_cmp_eq_u32_e64 s16, v63, v76
	v_add_nc_u32_e32 v73, -1, v75
	v_cndmask_b32_e64 v63, 0, v73, s16
	v_lshrrev_b32_e32 v73, 23, v74
	s_mov_b32 s16, exec_lo
	v_add_nc_u32_e32 v63, v63, v74
	v_xor_b32_e32 v73, 1, v73
	v_and_b32_e32 v56, 0x1fffff, v63
	v_add_nc_u32_e32 v63, v56, v74
                                        ; implicit-def: $vgpr56
	v_cmpx_ne_u32_e64 v72, v73
	s_xor_b32 s16, exec_lo, s16
; %bb.2858:                             ;   in Loop: Header=BB2_2603 Depth=4
	v_cmp_lt_u32_e32 vcc_lo, 0xffffff, v63
	v_sub_nc_u32_e32 v56, v72, v73
	v_cndmask_b32_e64 v72, 0, 1, vcc_lo
	v_add_co_ci_u32_e64 v56, null, 0, v56, vcc_lo
	v_lshrrev_b32_e32 v63, v72, v63
; %bb.2859:                             ;   in Loop: Header=BB2_2603 Depth=4
	s_andn2_saveexec_b32 s16, s16
; %bb.2860:                             ;   in Loop: Header=BB2_2603 Depth=4
	v_bfe_u32 v56, v63, 23, 1
; %bb.2861:                             ;   in Loop: Header=BB2_2603 Depth=4
	s_or_b32 exec_lo, exec_lo, s16
	v_lshrrev_b32_e32 v63, 21, v63
	v_cmp_gt_i32_e32 vcc_lo, 32, v56
	v_min_i32_e32 v72, 31, v56
	v_and_b32_sdwa v58, v58, v98 dst_sel:DWORD dst_unused:UNUSED_PAD src0_sel:BYTE_3 src1_sel:DWORD
	v_cndmask_b32_e32 v63, 3, v63, vcc_lo
	v_lshlrev_b32_e32 v72, 2, v72
	v_and_b32_e32 v73, 3, v63
	v_or_b32_e32 v56, v56, v63
	v_or3_b32 v58, v72, v58, v73
	v_cmp_ne_u32_e32 vcc_lo, 0, v56
	v_cndmask_b32_e32 v56, 0, v58, vcc_lo
.LBB2_2862:                             ;   in Loop: Header=BB2_2603 Depth=4
	s_or_b32 exec_lo, exec_lo, s72
.LBB2_2863:                             ;   in Loop: Header=BB2_2603 Depth=4
	s_or_b32 exec_lo, exec_lo, s63
	v_cmp_gt_i16_sdwa s63, v65, v97 src0_sel:BYTE_0 src1_sel:DWORD
	s_mov_b32 s16, 0
	s_and_saveexec_b32 s72, s63
	s_xor_b32 s63, exec_lo, s72
	s_cbranch_execz .LBB2_2925
; %bb.2864:                             ;   in Loop: Header=BB2_2603 Depth=4
	v_cmp_eq_u16_sdwa s73, v65, v98 src0_sel:BYTE_0 src1_sel:DWORD
	s_mov_b32 s16, -1
	s_and_saveexec_b32 s72, s73
; %bb.2865:                             ;   in Loop: Header=BB2_2603 Depth=4
	s_xor_b32 s16, exec_lo, -1
; %bb.2866:                             ;   in Loop: Header=BB2_2603 Depth=4
	s_or_b32 exec_lo, exec_lo, s72
	s_and_b32 s16, s16, exec_lo
	s_or_saveexec_b32 s63, s63
	v_mov_b32_e32 v58, 0x7f800001
	s_xor_b32 exec_lo, exec_lo, s63
	s_cbranch_execnz .LBB2_2926
.LBB2_2867:                             ;   in Loop: Header=BB2_2603 Depth=4
	s_or_b32 exec_lo, exec_lo, s63
	s_and_saveexec_b32 s63, s16
	s_cbranch_execz .LBB2_2869
.LBB2_2868:                             ;   in Loop: Header=BB2_2603 Depth=4
	v_and_b32_e32 v58, 3, v65
	v_lshrrev_b16 v72, 2, v65
	v_ffbh_u32_e32 v63, v58
	v_and_b32_e32 v72, 31, v72
	v_min_u32_e32 v63, 32, v63
	v_cmp_eq_u32_e32 vcc_lo, 0, v72
	v_subrev_nc_u32_e32 v73, 29, v63
	v_sub_nc_u32_e32 v63, 30, v63
	v_lshlrev_b32_e32 v73, v73, v65
	v_lshlrev_b32_e32 v65, 24, v65
	v_cndmask_b32_e32 v63, v72, v63, vcc_lo
	v_and_b32_e32 v73, 3, v73
	v_and_b32_e32 v65, 0x80000000, v65
	v_lshl_add_u32 v63, v63, 23, 0x37800000
	v_cndmask_b32_e32 v58, v58, v73, vcc_lo
	v_lshlrev_b32_e32 v58, 21, v58
	v_or3_b32 v58, v65, v63, v58
.LBB2_2869:                             ;   in Loop: Header=BB2_2603 Depth=4
	s_or_b32 exec_lo, exec_lo, s63
	s_waitcnt vmcnt(0) lgkmcnt(0)
	v_cmp_gt_i16_sdwa s63, v64, v97 src0_sel:BYTE_0 src1_sel:DWORD
	s_mov_b32 s16, 0
	s_and_saveexec_b32 s72, s63
	s_xor_b32 s63, exec_lo, s72
	s_cbranch_execz .LBB2_2927
; %bb.2870:                             ;   in Loop: Header=BB2_2603 Depth=4
	v_cmp_eq_u16_sdwa s73, v64, v98 src0_sel:BYTE_0 src1_sel:DWORD
	s_mov_b32 s16, -1
	s_and_saveexec_b32 s72, s73
; %bb.2871:                             ;   in Loop: Header=BB2_2603 Depth=4
	s_xor_b32 s16, exec_lo, -1
; %bb.2872:                             ;   in Loop: Header=BB2_2603 Depth=4
	s_or_b32 exec_lo, exec_lo, s72
	s_and_b32 s16, s16, exec_lo
	s_or_saveexec_b32 s63, s63
	v_mov_b32_e32 v65, 0x7f800001
	s_xor_b32 exec_lo, exec_lo, s63
	s_cbranch_execnz .LBB2_2928
.LBB2_2873:                             ;   in Loop: Header=BB2_2603 Depth=4
	s_or_b32 exec_lo, exec_lo, s63
	s_and_saveexec_b32 s63, s16
	s_cbranch_execz .LBB2_2875
.LBB2_2874:                             ;   in Loop: Header=BB2_2603 Depth=4
	v_and_b32_e32 v65, 3, v64
	v_lshrrev_b16 v72, 2, v64
	v_ffbh_u32_e32 v63, v65
	v_and_b32_e32 v72, 31, v72
	v_min_u32_e32 v63, 32, v63
	v_cmp_eq_u32_e32 vcc_lo, 0, v72
	v_subrev_nc_u32_e32 v73, 29, v63
	v_sub_nc_u32_e32 v63, 30, v63
	v_lshlrev_b32_e32 v73, v73, v64
	v_lshlrev_b32_e32 v64, 24, v64
	v_cndmask_b32_e32 v63, v72, v63, vcc_lo
	v_and_b32_e32 v73, 3, v73
	v_and_b32_e32 v64, 0x80000000, v64
	v_lshl_add_u32 v63, v63, 23, 0x37800000
	v_cndmask_b32_e32 v65, v65, v73, vcc_lo
	v_lshlrev_b32_e32 v65, 21, v65
	v_or3_b32 v65, v64, v63, v65
.LBB2_2875:                             ;   in Loop: Header=BB2_2603 Depth=4
	s_or_b32 exec_lo, exec_lo, s63
	v_add_f32_e32 v64, v58, v65
	v_and_b32_e32 v65, 0x7f800000, v64
	v_cmp_ne_u32_e32 vcc_lo, 0x7f800000, v65
	v_mov_b32_e32 v65, 0x80
	s_and_saveexec_b32 s63, vcc_lo
	s_cbranch_execz .LBB2_2602
; %bb.2876:                             ;   in Loop: Header=BB2_2603 Depth=4
	v_mov_b32_e32 v65, 0
	s_mov_b32 s72, exec_lo
	v_cmpx_ne_u32_e32 0, v64
	s_cbranch_execz .LBB2_2601
; %bb.2877:                             ;   in Loop: Header=BB2_2603 Depth=4
	v_bfe_u32 v65, v64, 23, 8
	v_and_b32_e32 v58, 0x7fffff, v64
	v_sub_nc_u32_e32 v63, 0x70, v65
	v_cmp_gt_u32_e32 vcc_lo, 0x71, v65
	v_or_b32_e32 v72, 0x800000, v58
	v_cndmask_b32_e32 v63, 0, v63, vcc_lo
	v_cmp_eq_u32_e32 vcc_lo, 0, v65
	v_add_nc_u32_e32 v65, 0xffffff91, v65
	v_cndmask_b32_e64 v63, v63, 0x6f, vcc_lo
	v_cndmask_b32_e32 v58, v72, v58, vcc_lo
	v_cndmask_b32_e64 v65, v65, 0xffffff92, vcc_lo
	v_lshl_add_u32 v72, 0x200000, v63, -1
	v_lshrrev_b32_e32 v73, v63, v58
	v_lshlrev_b32_e64 v75, v63, 0x100000
	v_add_nc_u32_e32 v63, v63, v65
	v_and_b32_e32 v58, v72, v58
	v_bfe_u32 v74, v73, 21, 1
	v_cmp_eq_u32_e64 s16, v58, v75
	v_add_nc_u32_e32 v72, -1, v74
	v_cndmask_b32_e64 v58, 0, v72, s16
	v_lshrrev_b32_e32 v72, 23, v73
	s_mov_b32 s16, exec_lo
	v_add_nc_u32_e32 v58, v58, v73
	v_xor_b32_e32 v72, 1, v72
	v_and_b32_e32 v65, 0x1fffff, v58
	v_add_nc_u32_e32 v58, v65, v73
                                        ; implicit-def: $vgpr65
	v_cmpx_ne_u32_e64 v63, v72
	s_xor_b32 s16, exec_lo, s16
; %bb.2878:                             ;   in Loop: Header=BB2_2603 Depth=4
	v_cmp_lt_u32_e32 vcc_lo, 0xffffff, v58
	v_sub_nc_u32_e32 v65, v63, v72
	v_cndmask_b32_e64 v63, 0, 1, vcc_lo
	v_add_co_ci_u32_e64 v65, null, 0, v65, vcc_lo
	v_lshrrev_b32_e32 v58, v63, v58
; %bb.2879:                             ;   in Loop: Header=BB2_2603 Depth=4
	s_andn2_saveexec_b32 s16, s16
	s_cbranch_execz .LBB2_2600
; %bb.2880:                             ;   in Loop: Header=BB2_2603 Depth=4
	v_bfe_u32 v65, v58, 23, 1
	s_branch .LBB2_2600
.LBB2_2881:                             ;   in Loop: Header=BB2_2603 Depth=4
	s_or_saveexec_b32 s63, s63
	v_mov_b32_e32 v71, 0x7f800001
	s_xor_b32 exec_lo, exec_lo, s63
	s_cbranch_execz .LBB2_2615
.LBB2_2882:                             ;   in Loop: Header=BB2_2603 Depth=4
	v_cmp_ne_u16_e32 vcc_lo, 0, v64
	v_mov_b32_e32 v71, 0
	s_andn2_b32 s16, s16, exec_lo
	s_and_b32 s72, vcc_lo, exec_lo
	s_or_b32 s16, s16, s72
	s_or_b32 exec_lo, exec_lo, s63
	s_and_saveexec_b32 s63, s16
	s_cbranch_execnz .LBB2_2616
	s_branch .LBB2_2617
.LBB2_2883:                             ;   in Loop: Header=BB2_2603 Depth=4
	s_or_saveexec_b32 s63, s63
	v_mov_b32_e32 v56, 0x7f800001
	s_xor_b32 exec_lo, exec_lo, s63
	s_cbranch_execz .LBB2_2629
.LBB2_2884:                             ;   in Loop: Header=BB2_2603 Depth=4
	v_cmp_ne_u16_e32 vcc_lo, 0, v64
	v_mov_b32_e32 v56, 0
	s_andn2_b32 s16, s16, exec_lo
	s_and_b32 s72, vcc_lo, exec_lo
	s_or_b32 s16, s16, s72
	s_or_b32 exec_lo, exec_lo, s63
	s_and_saveexec_b32 s63, s16
	s_cbranch_execnz .LBB2_2630
	s_branch .LBB2_2631
.LBB2_2885:                             ;   in Loop: Header=BB2_2603 Depth=4
	s_or_saveexec_b32 s63, s63
	v_mov_b32_e32 v56, 0x7f800001
	s_xor_b32 exec_lo, exec_lo, s63
	s_cbranch_execz .LBB2_2643
.LBB2_2886:                             ;   in Loop: Header=BB2_2603 Depth=4
	v_cmp_ne_u16_e32 vcc_lo, 0, v64
	v_mov_b32_e32 v56, 0
	s_andn2_b32 s16, s16, exec_lo
	s_and_b32 s72, vcc_lo, exec_lo
	s_or_b32 s16, s16, s72
	s_or_b32 exec_lo, exec_lo, s63
	s_and_saveexec_b32 s63, s16
	s_cbranch_execnz .LBB2_2644
	s_branch .LBB2_2645
.LBB2_2887:                             ;   in Loop: Header=BB2_2603 Depth=4
	s_or_saveexec_b32 s63, s63
	v_mov_b32_e32 v56, 0x7f800001
	s_xor_b32 exec_lo, exec_lo, s63
	s_cbranch_execz .LBB2_2657
.LBB2_2888:                             ;   in Loop: Header=BB2_2603 Depth=4
	v_cmp_ne_u16_e32 vcc_lo, 0, v64
	v_mov_b32_e32 v56, 0
	s_andn2_b32 s16, s16, exec_lo
	s_and_b32 s72, vcc_lo, exec_lo
	s_or_b32 s16, s16, s72
	s_or_b32 exec_lo, exec_lo, s63
	s_and_saveexec_b32 s63, s16
	s_cbranch_execnz .LBB2_2658
	s_branch .LBB2_2659
.LBB2_2889:                             ;   in Loop: Header=BB2_2603 Depth=4
	s_or_saveexec_b32 s63, s63
	v_mov_b32_e32 v56, 0x7f800001
	s_xor_b32 exec_lo, exec_lo, s63
	s_cbranch_execz .LBB2_2671
.LBB2_2890:                             ;   in Loop: Header=BB2_2603 Depth=4
	v_cmp_ne_u16_e32 vcc_lo, 0, v64
	v_mov_b32_e32 v56, 0
	s_andn2_b32 s16, s16, exec_lo
	s_and_b32 s72, vcc_lo, exec_lo
	s_or_b32 s16, s16, s72
	s_or_b32 exec_lo, exec_lo, s63
	s_and_saveexec_b32 s63, s16
	s_cbranch_execnz .LBB2_2672
	s_branch .LBB2_2673
.LBB2_2891:                             ;   in Loop: Header=BB2_2603 Depth=4
	s_or_saveexec_b32 s63, s63
	v_mov_b32_e32 v56, 0x7f800001
	s_xor_b32 exec_lo, exec_lo, s63
	s_cbranch_execz .LBB2_2685
.LBB2_2892:                             ;   in Loop: Header=BB2_2603 Depth=4
	v_cmp_ne_u16_e32 vcc_lo, 0, v64
	v_mov_b32_e32 v56, 0
	s_andn2_b32 s16, s16, exec_lo
	s_and_b32 s72, vcc_lo, exec_lo
	s_or_b32 s16, s16, s72
	s_or_b32 exec_lo, exec_lo, s63
	s_and_saveexec_b32 s63, s16
	s_cbranch_execnz .LBB2_2686
	s_branch .LBB2_2687
.LBB2_2893:                             ;   in Loop: Header=BB2_2603 Depth=4
	s_or_saveexec_b32 s63, s63
	v_mov_b32_e32 v56, 0x7f800001
	s_xor_b32 exec_lo, exec_lo, s63
	s_cbranch_execz .LBB2_2699
.LBB2_2894:                             ;   in Loop: Header=BB2_2603 Depth=4
	v_cmp_ne_u16_e32 vcc_lo, 0, v64
	v_mov_b32_e32 v56, 0
	s_andn2_b32 s16, s16, exec_lo
	s_and_b32 s72, vcc_lo, exec_lo
	s_or_b32 s16, s16, s72
	s_or_b32 exec_lo, exec_lo, s63
	s_and_saveexec_b32 s63, s16
	s_cbranch_execnz .LBB2_2700
	s_branch .LBB2_2701
.LBB2_2895:                             ;   in Loop: Header=BB2_2603 Depth=4
	s_or_saveexec_b32 s63, s63
	v_mov_b32_e32 v58, 0x7f800001
	s_xor_b32 exec_lo, exec_lo, s63
	s_cbranch_execz .LBB2_2713
.LBB2_2896:                             ;   in Loop: Header=BB2_2603 Depth=4
	v_cmp_ne_u16_e32 vcc_lo, 0, v64
	v_mov_b32_e32 v58, 0
	s_andn2_b32 s16, s16, exec_lo
	s_and_b32 s72, vcc_lo, exec_lo
	s_or_b32 s16, s16, s72
	s_or_b32 exec_lo, exec_lo, s63
	s_and_saveexec_b32 s63, s16
	s_cbranch_execnz .LBB2_2714
	s_branch .LBB2_2715
.LBB2_2897:                             ;   in Loop: Header=BB2_2603 Depth=4
	s_or_saveexec_b32 s63, s63
	v_mov_b32_e32 v77, 0x7f800001
	s_xor_b32 exec_lo, exec_lo, s63
	s_cbranch_execz .LBB2_2727
.LBB2_2898:                             ;   in Loop: Header=BB2_2603 Depth=4
	v_cmp_ne_u16_sdwa s72, v71, v2 src0_sel:BYTE_0 src1_sel:DWORD
	v_mov_b32_e32 v77, 0
	s_andn2_b32 s16, s16, exec_lo
	s_and_b32 s72, s72, exec_lo
	s_or_b32 s16, s16, s72
	s_or_b32 exec_lo, exec_lo, s63
	s_and_saveexec_b32 s63, s16
	s_cbranch_execnz .LBB2_2728
	s_branch .LBB2_2729
.LBB2_2899:                             ;   in Loop: Header=BB2_2603 Depth=4
	s_or_saveexec_b32 s63, s63
	v_mov_b32_e32 v71, 0x7f800001
	s_xor_b32 exec_lo, exec_lo, s63
	s_cbranch_execz .LBB2_2733
.LBB2_2900:                             ;   in Loop: Header=BB2_2603 Depth=4
	v_cmp_ne_u16_sdwa s72, v76, v2 src0_sel:BYTE_0 src1_sel:DWORD
	v_mov_b32_e32 v71, 0
	s_andn2_b32 s16, s16, exec_lo
	s_and_b32 s72, s72, exec_lo
	s_or_b32 s16, s16, s72
	s_or_b32 exec_lo, exec_lo, s63
	s_and_saveexec_b32 s63, s16
	s_cbranch_execnz .LBB2_2734
	s_branch .LBB2_2735
.LBB2_2901:                             ;   in Loop: Header=BB2_2603 Depth=4
	s_or_saveexec_b32 s63, s63
	v_mov_b32_e32 v76, 0x7f800001
	s_xor_b32 exec_lo, exec_lo, s63
	s_cbranch_execz .LBB2_2747
.LBB2_2902:                             ;   in Loop: Header=BB2_2603 Depth=4
	v_cmp_ne_u16_sdwa s72, v61, v2 src0_sel:BYTE_0 src1_sel:DWORD
	v_mov_b32_e32 v76, 0
	s_andn2_b32 s16, s16, exec_lo
	s_and_b32 s72, s72, exec_lo
	s_or_b32 s16, s16, s72
	s_or_b32 exec_lo, exec_lo, s63
	s_and_saveexec_b32 s63, s16
	s_cbranch_execnz .LBB2_2748
	s_branch .LBB2_2749
.LBB2_2903:                             ;   in Loop: Header=BB2_2603 Depth=4
	s_or_saveexec_b32 s63, s63
	v_mov_b32_e32 v61, 0x7f800001
	s_xor_b32 exec_lo, exec_lo, s63
	s_cbranch_execz .LBB2_2753
.LBB2_2904:                             ;   in Loop: Header=BB2_2603 Depth=4
	v_cmp_ne_u16_sdwa s72, v75, v2 src0_sel:BYTE_0 src1_sel:DWORD
	v_mov_b32_e32 v61, 0
	s_andn2_b32 s16, s16, exec_lo
	s_and_b32 s72, s72, exec_lo
	s_or_b32 s16, s16, s72
	s_or_b32 exec_lo, exec_lo, s63
	s_and_saveexec_b32 s63, s16
	s_cbranch_execnz .LBB2_2754
	s_branch .LBB2_2755
.LBB2_2905:                             ;   in Loop: Header=BB2_2603 Depth=4
	s_or_saveexec_b32 s63, s63
	v_mov_b32_e32 v75, 0x7f800001
	s_xor_b32 exec_lo, exec_lo, s63
	s_cbranch_execz .LBB2_2767
.LBB2_2906:                             ;   in Loop: Header=BB2_2603 Depth=4
	v_cmp_ne_u16_sdwa s72, v62, v2 src0_sel:BYTE_0 src1_sel:DWORD
	v_mov_b32_e32 v75, 0
	s_andn2_b32 s16, s16, exec_lo
	s_and_b32 s72, s72, exec_lo
	s_or_b32 s16, s16, s72
	s_or_b32 exec_lo, exec_lo, s63
	s_and_saveexec_b32 s63, s16
	s_cbranch_execnz .LBB2_2768
	s_branch .LBB2_2769
.LBB2_2907:                             ;   in Loop: Header=BB2_2603 Depth=4
	s_or_saveexec_b32 s63, s63
	v_mov_b32_e32 v62, 0x7f800001
	s_xor_b32 exec_lo, exec_lo, s63
	s_cbranch_execz .LBB2_2773
.LBB2_2908:                             ;   in Loop: Header=BB2_2603 Depth=4
	v_cmp_ne_u16_sdwa s72, v74, v2 src0_sel:BYTE_0 src1_sel:DWORD
	v_mov_b32_e32 v62, 0
	s_andn2_b32 s16, s16, exec_lo
	s_and_b32 s72, s72, exec_lo
	s_or_b32 s16, s16, s72
	s_or_b32 exec_lo, exec_lo, s63
	s_and_saveexec_b32 s63, s16
	s_cbranch_execnz .LBB2_2774
	s_branch .LBB2_2775
.LBB2_2909:                             ;   in Loop: Header=BB2_2603 Depth=4
	s_or_saveexec_b32 s63, s63
	v_mov_b32_e32 v74, 0x7f800001
	s_xor_b32 exec_lo, exec_lo, s63
	s_cbranch_execz .LBB2_2787
.LBB2_2910:                             ;   in Loop: Header=BB2_2603 Depth=4
	v_cmp_ne_u16_sdwa s72, v60, v2 src0_sel:BYTE_0 src1_sel:DWORD
	v_mov_b32_e32 v74, 0
	s_andn2_b32 s16, s16, exec_lo
	s_and_b32 s72, s72, exec_lo
	s_or_b32 s16, s16, s72
	s_or_b32 exec_lo, exec_lo, s63
	s_and_saveexec_b32 s63, s16
	s_cbranch_execnz .LBB2_2788
	s_branch .LBB2_2789
.LBB2_2911:                             ;   in Loop: Header=BB2_2603 Depth=4
	s_or_saveexec_b32 s63, s63
	v_mov_b32_e32 v60, 0x7f800001
	s_xor_b32 exec_lo, exec_lo, s63
	s_cbranch_execz .LBB2_2793
.LBB2_2912:                             ;   in Loop: Header=BB2_2603 Depth=4
	v_cmp_ne_u16_sdwa s72, v73, v2 src0_sel:BYTE_0 src1_sel:DWORD
	v_mov_b32_e32 v60, 0
	s_andn2_b32 s16, s16, exec_lo
	s_and_b32 s72, s72, exec_lo
	s_or_b32 s16, s16, s72
	s_or_b32 exec_lo, exec_lo, s63
	s_and_saveexec_b32 s63, s16
	s_cbranch_execnz .LBB2_2794
	s_branch .LBB2_2795
.LBB2_2913:                             ;   in Loop: Header=BB2_2603 Depth=4
	s_or_saveexec_b32 s63, s63
	v_mov_b32_e32 v73, 0x7f800001
	s_xor_b32 exec_lo, exec_lo, s63
	s_cbranch_execz .LBB2_2807
.LBB2_2914:                             ;   in Loop: Header=BB2_2603 Depth=4
	v_cmp_ne_u16_sdwa s72, v59, v2 src0_sel:BYTE_0 src1_sel:DWORD
	v_mov_b32_e32 v73, 0
	s_andn2_b32 s16, s16, exec_lo
	s_and_b32 s72, s72, exec_lo
	s_or_b32 s16, s16, s72
	s_or_b32 exec_lo, exec_lo, s63
	s_and_saveexec_b32 s63, s16
	s_cbranch_execnz .LBB2_2808
	s_branch .LBB2_2809
.LBB2_2915:                             ;   in Loop: Header=BB2_2603 Depth=4
	s_or_saveexec_b32 s63, s63
	v_mov_b32_e32 v59, 0x7f800001
	s_xor_b32 exec_lo, exec_lo, s63
	s_cbranch_execz .LBB2_2813
.LBB2_2916:                             ;   in Loop: Header=BB2_2603 Depth=4
	v_cmp_ne_u16_sdwa s72, v72, v2 src0_sel:BYTE_0 src1_sel:DWORD
	v_mov_b32_e32 v59, 0
	s_andn2_b32 s16, s16, exec_lo
	s_and_b32 s72, s72, exec_lo
	s_or_b32 s16, s16, s72
	s_or_b32 exec_lo, exec_lo, s63
	s_and_saveexec_b32 s63, s16
	s_cbranch_execnz .LBB2_2814
	s_branch .LBB2_2815
.LBB2_2917:                             ;   in Loop: Header=BB2_2603 Depth=4
	s_or_saveexec_b32 s63, s63
	v_mov_b32_e32 v72, 0x7f800001
	s_xor_b32 exec_lo, exec_lo, s63
	s_cbranch_execz .LBB2_2827
.LBB2_2918:                             ;   in Loop: Header=BB2_2603 Depth=4
	v_cmp_ne_u16_sdwa s72, v57, v2 src0_sel:BYTE_0 src1_sel:DWORD
	v_mov_b32_e32 v72, 0
	s_andn2_b32 s16, s16, exec_lo
	s_and_b32 s72, s72, exec_lo
	s_or_b32 s16, s16, s72
	s_or_b32 exec_lo, exec_lo, s63
	s_and_saveexec_b32 s63, s16
	s_cbranch_execnz .LBB2_2828
	s_branch .LBB2_2829
.LBB2_2919:                             ;   in Loop: Header=BB2_2603 Depth=4
	s_or_saveexec_b32 s63, s63
	v_mov_b32_e32 v57, 0x7f800001
	s_xor_b32 exec_lo, exec_lo, s63
	s_cbranch_execz .LBB2_2833
.LBB2_2920:                             ;   in Loop: Header=BB2_2603 Depth=4
	v_cmp_ne_u16_sdwa s72, v63, v2 src0_sel:BYTE_0 src1_sel:DWORD
	v_mov_b32_e32 v57, 0
	s_andn2_b32 s16, s16, exec_lo
	s_and_b32 s72, s72, exec_lo
	s_or_b32 s16, s16, s72
	s_or_b32 exec_lo, exec_lo, s63
	s_and_saveexec_b32 s63, s16
	s_cbranch_execnz .LBB2_2834
	s_branch .LBB2_2835
.LBB2_2921:                             ;   in Loop: Header=BB2_2603 Depth=4
	s_or_saveexec_b32 s63, s63
	v_mov_b32_e32 v63, 0x7f800001
	s_xor_b32 exec_lo, exec_lo, s63
	s_cbranch_execz .LBB2_2847
.LBB2_2922:                             ;   in Loop: Header=BB2_2603 Depth=4
	v_cmp_ne_u16_sdwa s72, v56, v2 src0_sel:BYTE_0 src1_sel:DWORD
	v_mov_b32_e32 v63, 0
	s_andn2_b32 s16, s16, exec_lo
	s_and_b32 s72, s72, exec_lo
	s_or_b32 s16, s16, s72
	s_or_b32 exec_lo, exec_lo, s63
	s_and_saveexec_b32 s63, s16
	s_cbranch_execnz .LBB2_2848
	s_branch .LBB2_2849
.LBB2_2923:                             ;   in Loop: Header=BB2_2603 Depth=4
	s_or_saveexec_b32 s63, s63
	v_mov_b32_e32 v56, 0x7f800001
	s_xor_b32 exec_lo, exec_lo, s63
	s_cbranch_execz .LBB2_2853
.LBB2_2924:                             ;   in Loop: Header=BB2_2603 Depth=4
	v_cmp_ne_u16_sdwa s72, v58, v2 src0_sel:BYTE_0 src1_sel:DWORD
	v_mov_b32_e32 v56, 0
	s_andn2_b32 s16, s16, exec_lo
	s_and_b32 s72, s72, exec_lo
	s_or_b32 s16, s16, s72
	s_or_b32 exec_lo, exec_lo, s63
	s_and_saveexec_b32 s63, s16
	s_cbranch_execnz .LBB2_2854
	s_branch .LBB2_2855
.LBB2_2925:                             ;   in Loop: Header=BB2_2603 Depth=4
	s_or_saveexec_b32 s63, s63
	v_mov_b32_e32 v58, 0x7f800001
	s_xor_b32 exec_lo, exec_lo, s63
	s_cbranch_execz .LBB2_2867
.LBB2_2926:                             ;   in Loop: Header=BB2_2603 Depth=4
	v_cmp_ne_u16_sdwa s72, v65, v2 src0_sel:BYTE_0 src1_sel:DWORD
	v_mov_b32_e32 v58, 0
	s_andn2_b32 s16, s16, exec_lo
	s_and_b32 s72, s72, exec_lo
	s_or_b32 s16, s16, s72
	s_or_b32 exec_lo, exec_lo, s63
	s_and_saveexec_b32 s63, s16
	s_cbranch_execnz .LBB2_2868
	s_branch .LBB2_2869
.LBB2_2927:                             ;   in Loop: Header=BB2_2603 Depth=4
	s_or_saveexec_b32 s63, s63
	v_mov_b32_e32 v65, 0x7f800001
	s_xor_b32 exec_lo, exec_lo, s63
	s_cbranch_execz .LBB2_2873
.LBB2_2928:                             ;   in Loop: Header=BB2_2603 Depth=4
	v_cmp_ne_u16_sdwa s72, v64, v2 src0_sel:BYTE_0 src1_sel:DWORD
	v_mov_b32_e32 v65, 0
	s_andn2_b32 s16, s16, exec_lo
	s_and_b32 s72, s72, exec_lo
	s_or_b32 s16, s16, s72
	s_or_b32 exec_lo, exec_lo, s63
	s_and_saveexec_b32 s63, s16
	s_cbranch_execnz .LBB2_2874
	s_branch .LBB2_2875
.LBB2_2929:                             ;   in Loop: Header=BB2_1216 Depth=3
	s_or_b32 exec_lo, exec_lo, s62
.LBB2_2930:                             ;   in Loop: Header=BB2_1216 Depth=3
	s_or_b32 exec_lo, exec_lo, s61
	v_lshlrev_b32_e32 v8, 8, v70
	v_cmp_ne_u32_e32 vcc_lo, v67, v8
	s_and_b32 exec_lo, exec_lo, vcc_lo
	s_cbranch_execz .LBB2_2982
; %bb.2931:                             ;   in Loop: Header=BB2_1216 Depth=3
	v_lshlrev_b32_e32 v9, 5, v51
	v_lshlrev_b32_e32 v10, 5, v69
	v_sub_nc_u32_e32 v9, v68, v9
	v_sub_nc_u32_e32 v9, v9, v10
	v_add_nc_u32_e32 v8, v8, v9
	v_sub_nc_u32_e32 v51, v67, v8
	v_cmp_lt_i32_e32 vcc_lo, 0, v51
	s_and_b32 exec_lo, exec_lo, vcc_lo
	s_cbranch_execz .LBB2_2982
; %bb.2932:                             ;   in Loop: Header=BB2_1216 Depth=3
	s_trap 2
	ds_read_b128 v[67:70], v0
	ds_read_b64 v[54:55], v0
	v_add_nc_u32_e32 v64, v8, v66
	s_mov_b32 s61, 0
	v_ashrrev_i32_e32 v65, 31, v64
	s_waitcnt lgkmcnt(1)
	v_add_co_u32 v8, vcc_lo, v67, v64
	v_add_co_ci_u32_e64 v9, null, v68, v65, vcc_lo
	v_add_co_u32 v10, vcc_lo, v69, v64
	v_add_co_ci_u32_e64 v11, null, v70, v65, vcc_lo
	s_waitcnt lgkmcnt(0)
	v_add_co_u32 v54, vcc_lo, v54, v64
	v_add_co_ci_u32_e64 v55, null, v55, v65, vcc_lo
	s_branch .LBB2_2936
.LBB2_2933:                             ;   in Loop: Header=BB2_2936 Depth=4
	s_or_b32 exec_lo, exec_lo, s16
	v_lshrrev_b32_e32 v66, 21, v66
	v_cmp_gt_i32_e32 vcc_lo, 32, v65
	v_min_i32_e32 v67, 31, v65
	v_and_b32_sdwa v64, v64, v98 dst_sel:DWORD dst_unused:UNUSED_PAD src0_sel:BYTE_3 src1_sel:DWORD
	v_cndmask_b32_e32 v66, 3, v66, vcc_lo
	v_lshlrev_b32_e32 v67, 2, v67
	v_and_b32_e32 v68, 3, v66
	v_or_b32_e32 v65, v65, v66
	v_or3_b32 v64, v67, v64, v68
	v_cmp_ne_u32_e32 vcc_lo, 0, v65
	v_cndmask_b32_e32 v65, 0, v64, vcc_lo
.LBB2_2934:                             ;   in Loop: Header=BB2_2936 Depth=4
	s_or_b32 exec_lo, exec_lo, s63
.LBB2_2935:                             ;   in Loop: Header=BB2_2936 Depth=4
	s_or_b32 exec_lo, exec_lo, s62
	v_sub_nc_u32_e32 v51, v51, v86
	v_add_co_u32 v8, vcc_lo, v8, v86
	v_add_co_ci_u32_e64 v9, null, 0, v9, vcc_lo
	v_add_co_u32 v10, vcc_lo, v10, v86
	flat_store_byte v[54:55], v65 glc slc
	v_add_co_ci_u32_e64 v11, null, 0, v11, vcc_lo
	v_cmp_gt_i32_e32 vcc_lo, 1, v51
	v_add_co_u32 v54, s16, v54, v86
	v_add_co_ci_u32_e64 v55, null, 0, v55, s16
	s_or_b32 s61, vcc_lo, s61
	s_andn2_b32 exec_lo, exec_lo, s61
	s_cbranch_execz .LBB2_2982
.LBB2_2936:                             ;   Parent Loop BB2_47 Depth=1
                                        ;     Parent Loop BB2_1213 Depth=2
                                        ;       Parent Loop BB2_1216 Depth=3
                                        ; =>      This Inner Loop Header: Depth=4
	s_trap 2
	ds_read_b64 v[64:65], v0
	s_waitcnt lgkmcnt(0)
	v_readfirstlane_b32 s16, v64
	s_and_b32 s62, s16, 0xff
	s_cmpk_lt_i32 s62, 0x80
	s_cbranch_scc1 .LBB2_2940
; %bb.2937:                             ;   in Loop: Header=BB2_2936 Depth=4
	s_and_b32 s63, 0xffff, s62
	s_cmpk_eq_i32 s63, 0x80
	s_mov_b32 s63, -1
	s_cbranch_scc0 .LBB2_2939
; %bb.2938:                             ;   in Loop: Header=BB2_2936 Depth=4
	s_mov_b32 s63, 0
.LBB2_2939:                             ;   in Loop: Header=BB2_2936 Depth=4
	s_mov_b32 s72, 0x7f800001
	s_branch .LBB2_2942
.LBB2_2940:                             ;   in Loop: Header=BB2_2936 Depth=4
	s_mov_b32 s63, 0
	s_mov_b32 s72, 0x7f800001
	s_cbranch_execz .LBB2_2942
; %bb.2941:                             ;   in Loop: Header=BB2_2936 Depth=4
	s_and_b32 s62, 0xffff, s62
	s_mov_b32 s72, 0
	s_cmp_lg_u32 s62, 0
	s_cselect_b32 s63, -1, 0
.LBB2_2942:                             ;   in Loop: Header=BB2_2936 Depth=4
	v_mov_b32_e32 v65, s72
	s_andn2_b32 vcc_lo, exec_lo, s63
	s_cbranch_vccnz .LBB2_2944
; %bb.2943:                             ;   in Loop: Header=BB2_2936 Depth=4
	s_and_b32 s62, s16, 3
	s_bfe_u32 s72, s16, 0x50002
	s_flbit_i32_b32 s63, s62
	v_lshlrev_b32_e32 v64, 24, v64
	s_min_u32 s63, s63, 32
	s_sub_i32 s73, s63, 29
	s_sub_i32 s63, 30, s63
	s_lshl_b32 s16, s16, s73
	v_and_b32_e32 v64, 0x80000000, v64
	s_and_b32 s16, s16, 3
	s_cmp_eq_u32 s72, 0
	s_cselect_b32 s63, s63, s72
	s_cselect_b32 s16, s16, s62
	s_lshl_b32 s62, s63, 23
	s_lshl_b32 s16, s16, 21
	s_add_i32 s62, s62, 0x37800000
	v_or_b32_e32 v64, s62, v64
	v_or_b32_e32 v65, s16, v64
.LBB2_2944:                             ;   in Loop: Header=BB2_2936 Depth=4
	flat_load_ubyte v64, v[8:9] slc
	s_mov_b32 s16, 0
	s_mov_b32 s62, exec_lo
	s_waitcnt vmcnt(0) lgkmcnt(0)
	v_cmpx_lt_i16_e32 0x7f, v64
	s_xor_b32 s62, exec_lo, s62
	s_cbranch_execz .LBB2_2976
; %bb.2945:                             ;   in Loop: Header=BB2_2936 Depth=4
	s_mov_b32 s16, -1
	s_mov_b32 s63, exec_lo
	v_cmpx_eq_u16_e32 0x80, v64
; %bb.2946:                             ;   in Loop: Header=BB2_2936 Depth=4
	s_xor_b32 s16, exec_lo, -1
; %bb.2947:                             ;   in Loop: Header=BB2_2936 Depth=4
	s_or_b32 exec_lo, exec_lo, s63
	s_and_b32 s16, s16, exec_lo
	s_or_saveexec_b32 s62, s62
	v_mov_b32_e32 v66, 0x7f800001
	s_xor_b32 exec_lo, exec_lo, s62
	s_cbranch_execnz .LBB2_2977
.LBB2_2948:                             ;   in Loop: Header=BB2_2936 Depth=4
	s_or_b32 exec_lo, exec_lo, s62
	s_and_saveexec_b32 s62, s16
	s_cbranch_execz .LBB2_2950
.LBB2_2949:                             ;   in Loop: Header=BB2_2936 Depth=4
	v_and_b32_e32 v66, 0xffff, v64
	v_lshlrev_b32_e32 v64, 24, v64
	v_and_b32_e32 v67, 3, v66
	v_bfe_u32 v70, v66, 2, 5
	v_and_b32_e32 v64, 0x80000000, v64
	v_ffbh_u32_e32 v68, v67
	v_cmp_eq_u32_e32 vcc_lo, 0, v70
	v_min_u32_e32 v68, 32, v68
	v_subrev_nc_u32_e32 v69, 29, v68
	v_sub_nc_u32_e32 v68, 30, v68
	v_lshlrev_b32_e32 v66, v69, v66
	v_cndmask_b32_e32 v68, v70, v68, vcc_lo
	v_and_b32_e32 v66, 3, v66
	v_cndmask_b32_e32 v66, v67, v66, vcc_lo
	v_lshl_add_u32 v67, v68, 23, 0x37800000
	v_lshlrev_b32_e32 v66, 21, v66
	v_or3_b32 v66, v64, v67, v66
.LBB2_2950:                             ;   in Loop: Header=BB2_2936 Depth=4
	s_or_b32 exec_lo, exec_lo, s62
	v_mul_f32_e32 v64, v65, v66
	v_mov_b32_e32 v66, 0x80
	s_mov_b32 s62, exec_lo
	v_and_b32_e32 v65, 0x7f800000, v64
	v_cmpx_ne_u32_e32 0x7f800000, v65
	s_cbranch_execz .LBB2_2958
; %bb.2951:                             ;   in Loop: Header=BB2_2936 Depth=4
	v_mov_b32_e32 v66, 0
	s_mov_b32 s63, exec_lo
	v_cmpx_ne_u32_e32 0, v64
	s_cbranch_execz .LBB2_2957
; %bb.2952:                             ;   in Loop: Header=BB2_2936 Depth=4
	v_bfe_u32 v65, v64, 23, 8
	v_and_b32_e32 v66, 0x7fffff, v64
	v_sub_nc_u32_e32 v67, 0x70, v65
	v_cmp_gt_u32_e32 vcc_lo, 0x71, v65
	v_or_b32_e32 v68, 0x800000, v66
	v_cndmask_b32_e32 v67, 0, v67, vcc_lo
	v_cmp_eq_u32_e32 vcc_lo, 0, v65
	v_add_nc_u32_e32 v65, 0xffffff91, v65
	v_cndmask_b32_e64 v67, v67, 0x6f, vcc_lo
	v_cndmask_b32_e32 v66, v68, v66, vcc_lo
	v_cndmask_b32_e64 v65, v65, 0xffffff92, vcc_lo
	v_lshl_add_u32 v68, 0x200000, v67, -1
	v_lshrrev_b32_e32 v69, v67, v66
	v_lshlrev_b32_e64 v71, v67, 0x100000
	v_add_nc_u32_e32 v67, v67, v65
	v_and_b32_e32 v66, v68, v66
	v_bfe_u32 v70, v69, 21, 1
	v_cmp_eq_u32_e64 s16, v66, v71
	v_add_nc_u32_e32 v68, -1, v70
	v_cndmask_b32_e64 v66, 0, v68, s16
	v_lshrrev_b32_e32 v68, 23, v69
	s_mov_b32 s16, exec_lo
	v_add_nc_u32_e32 v66, v66, v69
	v_xor_b32_e32 v68, 1, v68
	v_and_b32_e32 v65, 0x1fffff, v66
	v_add_nc_u32_e32 v66, v65, v69
                                        ; implicit-def: $vgpr65
	v_cmpx_ne_u32_e64 v67, v68
	s_xor_b32 s16, exec_lo, s16
; %bb.2953:                             ;   in Loop: Header=BB2_2936 Depth=4
	v_cmp_lt_u32_e32 vcc_lo, 0xffffff, v66
	v_sub_nc_u32_e32 v65, v67, v68
	v_cndmask_b32_e64 v67, 0, 1, vcc_lo
	v_add_co_ci_u32_e64 v65, null, 0, v65, vcc_lo
	v_lshrrev_b32_e32 v66, v67, v66
; %bb.2954:                             ;   in Loop: Header=BB2_2936 Depth=4
	s_andn2_saveexec_b32 s16, s16
; %bb.2955:                             ;   in Loop: Header=BB2_2936 Depth=4
	v_bfe_u32 v65, v66, 23, 1
; %bb.2956:                             ;   in Loop: Header=BB2_2936 Depth=4
	s_or_b32 exec_lo, exec_lo, s16
	v_lshrrev_b32_e32 v66, 21, v66
	v_cmp_gt_i32_e32 vcc_lo, 32, v65
	v_min_i32_e32 v67, 31, v65
	v_and_b32_sdwa v64, v64, v98 dst_sel:DWORD dst_unused:UNUSED_PAD src0_sel:BYTE_3 src1_sel:DWORD
	v_cndmask_b32_e32 v66, 3, v66, vcc_lo
	v_lshlrev_b32_e32 v67, 2, v67
	v_and_b32_e32 v68, 3, v66
	v_or_b32_e32 v65, v65, v66
	v_or3_b32 v64, v67, v64, v68
	v_cmp_ne_u32_e32 vcc_lo, 0, v65
	v_cndmask_b32_e32 v66, 0, v64, vcc_lo
.LBB2_2957:                             ;   in Loop: Header=BB2_2936 Depth=4
	s_or_b32 exec_lo, exec_lo, s63
.LBB2_2958:                             ;   in Loop: Header=BB2_2936 Depth=4
	s_or_b32 exec_lo, exec_lo, s62
	flat_load_ubyte v64, v[10:11] slc
	v_cmp_gt_i16_sdwa s62, v66, v97 src0_sel:BYTE_0 src1_sel:DWORD
	s_mov_b32 s16, 0
	s_and_saveexec_b32 s63, s62
	s_xor_b32 s62, exec_lo, s63
	s_cbranch_execz .LBB2_2978
; %bb.2959:                             ;   in Loop: Header=BB2_2936 Depth=4
	v_cmp_eq_u16_sdwa s72, v66, v98 src0_sel:BYTE_0 src1_sel:DWORD
	s_mov_b32 s16, -1
	s_and_saveexec_b32 s63, s72
; %bb.2960:                             ;   in Loop: Header=BB2_2936 Depth=4
	s_xor_b32 s16, exec_lo, -1
; %bb.2961:                             ;   in Loop: Header=BB2_2936 Depth=4
	s_or_b32 exec_lo, exec_lo, s63
	s_and_b32 s16, s16, exec_lo
	s_or_saveexec_b32 s62, s62
	v_mov_b32_e32 v65, 0x7f800001
	s_xor_b32 exec_lo, exec_lo, s62
	s_cbranch_execnz .LBB2_2979
.LBB2_2962:                             ;   in Loop: Header=BB2_2936 Depth=4
	s_or_b32 exec_lo, exec_lo, s62
	s_and_saveexec_b32 s62, s16
	s_cbranch_execz .LBB2_2964
.LBB2_2963:                             ;   in Loop: Header=BB2_2936 Depth=4
	v_and_b32_e32 v65, 3, v66
	v_lshrrev_b16 v68, 2, v66
	v_ffbh_u32_e32 v67, v65
	v_and_b32_e32 v68, 31, v68
	v_min_u32_e32 v67, 32, v67
	v_cmp_eq_u32_e32 vcc_lo, 0, v68
	v_subrev_nc_u32_e32 v69, 29, v67
	v_sub_nc_u32_e32 v67, 30, v67
	v_lshlrev_b32_e32 v69, v69, v66
	v_lshlrev_b32_e32 v66, 24, v66
	v_cndmask_b32_e32 v67, v68, v67, vcc_lo
	v_and_b32_e32 v69, 3, v69
	v_and_b32_e32 v66, 0x80000000, v66
	v_lshl_add_u32 v67, v67, 23, 0x37800000
	v_cndmask_b32_e32 v65, v65, v69, vcc_lo
	v_lshlrev_b32_e32 v65, 21, v65
	v_or3_b32 v65, v66, v67, v65
.LBB2_2964:                             ;   in Loop: Header=BB2_2936 Depth=4
	s_or_b32 exec_lo, exec_lo, s62
	s_waitcnt vmcnt(0) lgkmcnt(0)
	v_cmp_gt_i16_sdwa s62, v64, v97 src0_sel:BYTE_0 src1_sel:DWORD
	s_mov_b32 s16, 0
	s_and_saveexec_b32 s63, s62
	s_xor_b32 s62, exec_lo, s63
	s_cbranch_execz .LBB2_2980
; %bb.2965:                             ;   in Loop: Header=BB2_2936 Depth=4
	v_cmp_eq_u16_sdwa s72, v64, v98 src0_sel:BYTE_0 src1_sel:DWORD
	s_mov_b32 s16, -1
	s_and_saveexec_b32 s63, s72
; %bb.2966:                             ;   in Loop: Header=BB2_2936 Depth=4
	s_xor_b32 s16, exec_lo, -1
; %bb.2967:                             ;   in Loop: Header=BB2_2936 Depth=4
	s_or_b32 exec_lo, exec_lo, s63
	s_and_b32 s16, s16, exec_lo
	s_or_saveexec_b32 s62, s62
	v_mov_b32_e32 v66, 0x7f800001
	s_xor_b32 exec_lo, exec_lo, s62
	s_cbranch_execnz .LBB2_2981
.LBB2_2968:                             ;   in Loop: Header=BB2_2936 Depth=4
	s_or_b32 exec_lo, exec_lo, s62
	s_and_saveexec_b32 s62, s16
	s_cbranch_execz .LBB2_2970
.LBB2_2969:                             ;   in Loop: Header=BB2_2936 Depth=4
	v_and_b32_e32 v66, 3, v64
	v_lshrrev_b16 v68, 2, v64
	v_ffbh_u32_e32 v67, v66
	v_and_b32_e32 v68, 31, v68
	v_min_u32_e32 v67, 32, v67
	v_cmp_eq_u32_e32 vcc_lo, 0, v68
	v_subrev_nc_u32_e32 v69, 29, v67
	v_sub_nc_u32_e32 v67, 30, v67
	v_lshlrev_b32_e32 v69, v69, v64
	v_lshlrev_b32_e32 v64, 24, v64
	v_cndmask_b32_e32 v67, v68, v67, vcc_lo
	v_and_b32_e32 v69, 3, v69
	v_and_b32_e32 v64, 0x80000000, v64
	v_lshl_add_u32 v67, v67, 23, 0x37800000
	v_cndmask_b32_e32 v66, v66, v69, vcc_lo
	v_lshlrev_b32_e32 v66, 21, v66
	v_or3_b32 v66, v64, v67, v66
.LBB2_2970:                             ;   in Loop: Header=BB2_2936 Depth=4
	s_or_b32 exec_lo, exec_lo, s62
	v_add_f32_e32 v64, v65, v66
	v_and_b32_e32 v65, 0x7f800000, v64
	v_cmp_ne_u32_e32 vcc_lo, 0x7f800000, v65
	v_mov_b32_e32 v65, 0x80
	s_and_saveexec_b32 s62, vcc_lo
	s_cbranch_execz .LBB2_2935
; %bb.2971:                             ;   in Loop: Header=BB2_2936 Depth=4
	v_mov_b32_e32 v65, 0
	s_mov_b32 s63, exec_lo
	v_cmpx_ne_u32_e32 0, v64
	s_cbranch_execz .LBB2_2934
; %bb.2972:                             ;   in Loop: Header=BB2_2936 Depth=4
	v_bfe_u32 v65, v64, 23, 8
	v_and_b32_e32 v66, 0x7fffff, v64
	v_sub_nc_u32_e32 v67, 0x70, v65
	v_cmp_gt_u32_e32 vcc_lo, 0x71, v65
	v_or_b32_e32 v68, 0x800000, v66
	v_cndmask_b32_e32 v67, 0, v67, vcc_lo
	v_cmp_eq_u32_e32 vcc_lo, 0, v65
	v_add_nc_u32_e32 v65, 0xffffff91, v65
	v_cndmask_b32_e64 v67, v67, 0x6f, vcc_lo
	v_cndmask_b32_e32 v66, v68, v66, vcc_lo
	v_cndmask_b32_e64 v65, v65, 0xffffff92, vcc_lo
	v_lshl_add_u32 v68, 0x200000, v67, -1
	v_lshrrev_b32_e32 v69, v67, v66
	v_lshlrev_b32_e64 v71, v67, 0x100000
	v_add_nc_u32_e32 v67, v67, v65
	v_and_b32_e32 v66, v68, v66
	v_bfe_u32 v70, v69, 21, 1
	v_cmp_eq_u32_e64 s16, v66, v71
	v_add_nc_u32_e32 v68, -1, v70
	v_cndmask_b32_e64 v66, 0, v68, s16
	v_lshrrev_b32_e32 v68, 23, v69
	s_mov_b32 s16, exec_lo
	v_add_nc_u32_e32 v66, v66, v69
	v_xor_b32_e32 v68, 1, v68
	v_and_b32_e32 v65, 0x1fffff, v66
	v_add_nc_u32_e32 v66, v65, v69
                                        ; implicit-def: $vgpr65
	v_cmpx_ne_u32_e64 v67, v68
	s_xor_b32 s16, exec_lo, s16
; %bb.2973:                             ;   in Loop: Header=BB2_2936 Depth=4
	v_cmp_lt_u32_e32 vcc_lo, 0xffffff, v66
	v_sub_nc_u32_e32 v65, v67, v68
	v_cndmask_b32_e64 v67, 0, 1, vcc_lo
	v_add_co_ci_u32_e64 v65, null, 0, v65, vcc_lo
	v_lshrrev_b32_e32 v66, v67, v66
; %bb.2974:                             ;   in Loop: Header=BB2_2936 Depth=4
	s_andn2_saveexec_b32 s16, s16
	s_cbranch_execz .LBB2_2933
; %bb.2975:                             ;   in Loop: Header=BB2_2936 Depth=4
	v_bfe_u32 v65, v66, 23, 1
	s_branch .LBB2_2933
.LBB2_2976:                             ;   in Loop: Header=BB2_2936 Depth=4
	s_or_saveexec_b32 s62, s62
	v_mov_b32_e32 v66, 0x7f800001
	s_xor_b32 exec_lo, exec_lo, s62
	s_cbranch_execz .LBB2_2948
.LBB2_2977:                             ;   in Loop: Header=BB2_2936 Depth=4
	v_cmp_ne_u16_e32 vcc_lo, 0, v64
	v_mov_b32_e32 v66, 0
	s_andn2_b32 s16, s16, exec_lo
	s_and_b32 s63, vcc_lo, exec_lo
	s_or_b32 s16, s16, s63
	s_or_b32 exec_lo, exec_lo, s62
	s_and_saveexec_b32 s62, s16
	s_cbranch_execnz .LBB2_2949
	s_branch .LBB2_2950
.LBB2_2978:                             ;   in Loop: Header=BB2_2936 Depth=4
	s_or_saveexec_b32 s62, s62
	v_mov_b32_e32 v65, 0x7f800001
	s_xor_b32 exec_lo, exec_lo, s62
	s_cbranch_execz .LBB2_2962
.LBB2_2979:                             ;   in Loop: Header=BB2_2936 Depth=4
	v_cmp_ne_u16_sdwa s63, v66, v2 src0_sel:BYTE_0 src1_sel:DWORD
	v_mov_b32_e32 v65, 0
	s_andn2_b32 s16, s16, exec_lo
	s_and_b32 s63, s63, exec_lo
	s_or_b32 s16, s16, s63
	s_or_b32 exec_lo, exec_lo, s62
	s_and_saveexec_b32 s62, s16
	s_cbranch_execnz .LBB2_2963
	s_branch .LBB2_2964
.LBB2_2980:                             ;   in Loop: Header=BB2_2936 Depth=4
	s_or_saveexec_b32 s62, s62
	v_mov_b32_e32 v66, 0x7f800001
	s_xor_b32 exec_lo, exec_lo, s62
	s_cbranch_execz .LBB2_2968
.LBB2_2981:                             ;   in Loop: Header=BB2_2936 Depth=4
	v_cmp_ne_u16_sdwa s63, v64, v2 src0_sel:BYTE_0 src1_sel:DWORD
	v_mov_b32_e32 v66, 0
	s_andn2_b32 s16, s16, exec_lo
	s_and_b32 s63, s63, exec_lo
	s_or_b32 s16, s16, s63
	s_or_b32 exec_lo, exec_lo, s62
	s_and_saveexec_b32 s62, s16
	s_cbranch_execnz .LBB2_2969
	s_branch .LBB2_2970
.LBB2_2982:                             ;   in Loop: Header=BB2_1216 Depth=3
	s_or_b32 exec_lo, exec_lo, s17
	v_cmp_lt_i32_e64 s16, 0, v3
	s_and_saveexec_b32 s17, s6
	s_cbranch_execz .LBB2_3001
.LBB2_2983:                             ;   in Loop: Header=BB2_1216 Depth=3
	s_and_saveexec_b32 s61, s29
	s_xor_b32 s61, exec_lo, s61
	s_cbranch_execz .LBB2_2998
; %bb.2984:                             ;   in Loop: Header=BB2_1216 Depth=3
	s_and_saveexec_b32 s62, s11
	s_cbranch_execz .LBB2_2997
; %bb.2985:                             ;   in Loop: Header=BB2_1216 Depth=3
	s_mov_b32 s72, exec_lo
	s_mov_b32 s63, exec_lo
	v_mbcnt_lo_u32_b32 v3, s72, 0
	s_waitcnt vmcnt(0) lgkmcnt(0)
	s_waitcnt_vscnt null, 0x0
	buffer_gl1_inv
	buffer_gl0_inv
	v_cmpx_eq_u32_e32 0, v3
	s_cbranch_execz .LBB2_2987
; %bb.2986:                             ;   in Loop: Header=BB2_1216 Depth=3
	s_bcnt1_i32_b32 s72, s72
	v_mov_b32_e32 v9, v2
	v_mov_b32_e32 v8, s72
	ds_add_u64 v0, v[8:9]
	s_trap 2
.LBB2_2987:                             ;   in Loop: Header=BB2_1216 Depth=3
	s_or_b32 exec_lo, exec_lo, s63
	s_trap 2
	ds_read_b64 v[8:9], v0
	s_waitcnt lgkmcnt(0)
	buffer_gl0_inv
	v_add_co_u32 v12, vcc_lo, v12, v83
	v_add_co_ci_u32_e64 v13, null, 0, v13, vcc_lo
	s_mov_b32 s63, exec_lo
	v_cmpx_lt_u64_e64 v[8:9], v[12:13]
	s_cbranch_execz .LBB2_2996
; %bb.2988:                             ;   in Loop: Header=BB2_1216 Depth=3
	s_mov_b32 s72, 0
	s_mov_b32 s75, 0
                                        ; implicit-def: $sgpr73
                                        ; implicit-def: $sgpr74
	s_inst_prefetch 0x1
	s_branch .LBB2_2990
	.p2align	6
.LBB2_2989:                             ;   in Loop: Header=BB2_2990 Depth=4
	s_or_b32 exec_lo, exec_lo, s77
	s_and_b32 s76, exec_lo, s78
	s_or_b32 s72, s76, s72
	s_andn2_b32 s73, s73, exec_lo
	s_and_b32 s76, s74, exec_lo
	s_or_b32 s73, s73, s76
	s_andn2_b32 exec_lo, exec_lo, s72
	s_cbranch_execz .LBB2_2994
.LBB2_2990:                             ;   Parent Loop BB2_47 Depth=1
                                        ;     Parent Loop BB2_1213 Depth=2
                                        ;       Parent Loop BB2_1216 Depth=3
                                        ; =>      This Inner Loop Header: Depth=4
	s_add_i32 s75, s75, 1
	s_cmpk_lg_i32 s75, 0x2710
	s_cselect_b32 s76, -1, 0
	s_and_b32 vcc_lo, exec_lo, s76
	s_cbranch_vccz .LBB2_2992
; %bb.2991:                             ;   in Loop: Header=BB2_2990 Depth=4
	s_mov_b32 s78, -1
	s_or_b32 s74, s74, exec_lo
	s_and_saveexec_b32 s77, s76
	s_cbranch_execz .LBB2_2989
	s_branch .LBB2_2993
	.p2align	6
.LBB2_2992:                             ;   in Loop: Header=BB2_2990 Depth=4
	s_trap 2
	ds_read_b64 v[8:9], v0
	s_andn2_b32 s76, s76, exec_lo
	s_mov_b32 s75, 0
	s_waitcnt lgkmcnt(0)
	flat_load_dword v3, v[8:9] glc dlc
	s_waitcnt vmcnt(0) lgkmcnt(0)
	buffer_gl1_inv
	buffer_gl0_inv
	v_cmp_eq_u32_e32 vcc_lo, 0, v3
	s_and_b32 s77, vcc_lo, exec_lo
	s_or_b32 s76, s76, s77
	s_mov_b32 s78, -1
	s_or_b32 s74, s74, exec_lo
	s_and_saveexec_b32 s77, s76
	s_cbranch_execz .LBB2_2989
.LBB2_2993:                             ;   in Loop: Header=BB2_2990 Depth=4
	s_sleep 1
	s_trap 2
	ds_read_b64 v[8:9], v0
	s_waitcnt lgkmcnt(0)
	buffer_gl0_inv
	s_andn2_b32 s74, s74, exec_lo
	v_cmp_ge_u64_e32 vcc_lo, v[8:9], v[12:13]
	s_orn2_b32 s78, vcc_lo, exec_lo
	s_branch .LBB2_2989
.LBB2_2994:                             ;   in Loop: Header=BB2_1216 Depth=3
	s_inst_prefetch 0x2
	s_or_b32 exec_lo, exec_lo, s72
	s_and_saveexec_b32 s72, s73
	s_xor_b32 s72, exec_lo, s72
	s_cbranch_execz .LBB2_2996
; %bb.2995:                             ;   in Loop: Header=BB2_1216 Depth=3
	ds_write_b32 v0, v96
	s_trap 2
.LBB2_2996:                             ;   in Loop: Header=BB2_1216 Depth=3
	s_or_b32 exec_lo, exec_lo, s63
	;;#ASMSTART
	s_wakeup
	;;#ASMEND
.LBB2_2997:                             ;   in Loop: Header=BB2_1216 Depth=3
	s_or_b32 exec_lo, exec_lo, s62
.LBB2_2998:                             ;   in Loop: Header=BB2_1216 Depth=3
	s_andn2_saveexec_b32 s61, s61
	s_cbranch_execz .LBB2_3000
; %bb.2999:                             ;   in Loop: Header=BB2_1216 Depth=3
	s_waitcnt vmcnt(0) lgkmcnt(0)
	s_waitcnt_vscnt null, 0x0
	buffer_gl1_inv
	buffer_gl0_inv
	s_barrier
.LBB2_3000:                             ;   in Loop: Header=BB2_1216 Depth=3
	s_or_b32 exec_lo, exec_lo, s61
.LBB2_3001:                             ;   in Loop: Header=BB2_1216 Depth=3
	s_or_b32 exec_lo, exec_lo, s17
	v_and_b32_e32 v3, 16, v81
	s_and_saveexec_b32 s17, s15
	s_xor_b32 s17, exec_lo, s17
	s_cbranch_execz .LBB2_3005
; %bb.3002:                             ;   in Loop: Header=BB2_1216 Depth=3
	v_and_b32_e32 v3, 16, v81
	v_cmp_ne_u32_e32 vcc_lo, 0, v3
	v_and_b32_e32 v3, 16, v81
	s_and_b32 s61, vcc_lo, s16
	s_and_saveexec_b32 s16, s61
	s_cbranch_execz .LBB2_3004
; %bb.3003:                             ;   in Loop: Header=BB2_1216 Depth=3
	v_mov_b32_e32 v3, 1
	s_waitcnt vmcnt(0) lgkmcnt(0)
	s_waitcnt_vscnt null, 0x0
	buffer_gl1_inv
	buffer_gl0_inv
.LBB2_3004:                             ;   in Loop: Header=BB2_1216 Depth=3
	s_or_b32 exec_lo, exec_lo, s16
.LBB2_3005:                             ;   in Loop: Header=BB2_1216 Depth=3
	s_andn2_saveexec_b32 s16, s17
	s_cbranch_execz .LBB2_3024
; %bb.3006:                             ;   in Loop: Header=BB2_1216 Depth=3
	s_and_saveexec_b32 s17, s29
	s_xor_b32 s17, exec_lo, s17
	s_cbranch_execz .LBB2_3021
; %bb.3007:                             ;   in Loop: Header=BB2_1216 Depth=3
	s_and_saveexec_b32 s61, s11
	s_cbranch_execz .LBB2_3020
; %bb.3008:                             ;   in Loop: Header=BB2_1216 Depth=3
	s_mov_b32 s63, exec_lo
	s_mov_b32 s62, exec_lo
	v_mbcnt_lo_u32_b32 v8, s63, 0
	;;#ASMSTART
	s_waitcnt lgkmcnt(0) vmcnt(0)
	;;#ASMEND
	v_cmpx_eq_u32_e32 0, v8
	s_cbranch_execz .LBB2_3010
; %bb.3009:                             ;   in Loop: Header=BB2_1216 Depth=3
	s_bcnt1_i32_b32 s63, s63
	v_mov_b32_e32 v9, v2
	v_mov_b32_e32 v8, s63
	s_waitcnt vmcnt(0) lgkmcnt(0)
	s_waitcnt_vscnt null, 0x0
	ds_add_u64 v0, v[8:9]
	s_trap 2
.LBB2_3010:                             ;   in Loop: Header=BB2_1216 Depth=3
	s_or_b32 exec_lo, exec_lo, s62
	s_trap 2
	ds_read_b64 v[8:9], v0
	s_waitcnt vmcnt(0) lgkmcnt(0)
	buffer_gl0_inv
	v_add_co_u32 v12, vcc_lo, v12, v83
	v_add_co_ci_u32_e64 v13, null, 0, v13, vcc_lo
	s_mov_b32 s62, exec_lo
	v_cmpx_lt_u64_e64 v[8:9], v[12:13]
	s_cbranch_execz .LBB2_3019
; %bb.3011:                             ;   in Loop: Header=BB2_1216 Depth=3
	s_mov_b32 s63, 0
	s_mov_b32 s74, 0
                                        ; implicit-def: $sgpr72
                                        ; implicit-def: $sgpr73
	s_inst_prefetch 0x1
	s_branch .LBB2_3013
	.p2align	6
.LBB2_3012:                             ;   in Loop: Header=BB2_3013 Depth=4
	s_or_b32 exec_lo, exec_lo, s76
	s_and_b32 s75, exec_lo, s77
	s_or_b32 s63, s75, s63
	s_andn2_b32 s72, s72, exec_lo
	s_and_b32 s75, s73, exec_lo
	s_or_b32 s72, s72, s75
	s_andn2_b32 exec_lo, exec_lo, s63
	s_cbranch_execz .LBB2_3017
.LBB2_3013:                             ;   Parent Loop BB2_47 Depth=1
                                        ;     Parent Loop BB2_1213 Depth=2
                                        ;       Parent Loop BB2_1216 Depth=3
                                        ; =>      This Inner Loop Header: Depth=4
	s_add_i32 s74, s74, 1
	s_cmpk_lg_i32 s74, 0x2710
	s_cselect_b32 s75, -1, 0
	s_and_b32 vcc_lo, exec_lo, s75
	s_cbranch_vccz .LBB2_3015
; %bb.3014:                             ;   in Loop: Header=BB2_3013 Depth=4
	s_mov_b32 s77, -1
	s_or_b32 s73, s73, exec_lo
	s_and_saveexec_b32 s76, s75
	s_cbranch_execz .LBB2_3012
	s_branch .LBB2_3016
	.p2align	6
.LBB2_3015:                             ;   in Loop: Header=BB2_3013 Depth=4
	s_trap 2
	ds_read_b64 v[8:9], v0
	s_andn2_b32 s75, s75, exec_lo
	s_mov_b32 s74, 0
	s_waitcnt lgkmcnt(0)
	s_waitcnt_vscnt null, 0x0
	flat_load_dword v8, v[8:9] glc dlc
	s_waitcnt vmcnt(0) lgkmcnt(0)
	buffer_gl1_inv
	buffer_gl0_inv
	v_cmp_eq_u32_e32 vcc_lo, 0, v8
	s_and_b32 s76, vcc_lo, exec_lo
	s_or_b32 s75, s75, s76
	s_mov_b32 s77, -1
	s_or_b32 s73, s73, exec_lo
	s_and_saveexec_b32 s76, s75
	s_cbranch_execz .LBB2_3012
.LBB2_3016:                             ;   in Loop: Header=BB2_3013 Depth=4
	s_sleep 1
	s_trap 2
	ds_read_b64 v[8:9], v0
	s_waitcnt lgkmcnt(0)
	buffer_gl0_inv
	s_andn2_b32 s73, s73, exec_lo
	v_cmp_ge_u64_e32 vcc_lo, v[8:9], v[12:13]
	s_orn2_b32 s77, vcc_lo, exec_lo
	s_branch .LBB2_3012
.LBB2_3017:                             ;   in Loop: Header=BB2_1216 Depth=3
	s_inst_prefetch 0x2
	s_or_b32 exec_lo, exec_lo, s63
	s_and_saveexec_b32 s63, s72
	s_xor_b32 s63, exec_lo, s63
	s_cbranch_execz .LBB2_3019
; %bb.3018:                             ;   in Loop: Header=BB2_1216 Depth=3
	ds_write_b32 v0, v96
	s_trap 2
.LBB2_3019:                             ;   in Loop: Header=BB2_1216 Depth=3
	s_or_b32 exec_lo, exec_lo, s62
	;;#ASMSTART
	s_wakeup
	;;#ASMEND
.LBB2_3020:                             ;   in Loop: Header=BB2_1216 Depth=3
	s_or_b32 exec_lo, exec_lo, s61
.LBB2_3021:                             ;   in Loop: Header=BB2_1216 Depth=3
	s_andn2_saveexec_b32 s17, s17
	s_cbranch_execz .LBB2_3023
; %bb.3022:                             ;   in Loop: Header=BB2_1216 Depth=3
	;;#ASMSTART
	s_waitcnt lgkmcnt(0) vmcnt(0)
	;;#ASMEND
	s_barrier
.LBB2_3023:                             ;   in Loop: Header=BB2_1216 Depth=3
	s_or_b32 exec_lo, exec_lo, s17
.LBB2_3024:                             ;   in Loop: Header=BB2_1216 Depth=3
	s_or_b32 exec_lo, exec_lo, s16
	v_cmp_ne_u32_e32 vcc_lo, 0, v3
	s_xor_b32 s16, s7, -1
	s_and_b32 s17, vcc_lo, s16
	s_and_saveexec_b32 s16, s17
	s_cbranch_execz .LBB2_3026
; %bb.3025:                             ;   in Loop: Header=BB2_1216 Depth=3
	s_waitcnt vmcnt(0) lgkmcnt(0)
	s_waitcnt_vscnt null, 0x0
	flat_store_dword v[24:25], v96
.LBB2_3026:                             ;   in Loop: Header=BB2_1216 Depth=3
	s_or_b32 exec_lo, exec_lo, s16
	v_and_b32_e32 v3, 48, v81
	s_mov_b32 s16, exec_lo
	v_cmpx_ne_u32_e32 0, v3
	s_cbranch_execz .LBB2_1215
; %bb.3027:                             ;   in Loop: Header=BB2_1216 Depth=3
	v_add_co_u32 v38, vcc_lo, v38, 2
	v_add_co_ci_u32_e64 v39, null, 0, v39, vcc_lo
	s_waitcnt vmcnt(0) lgkmcnt(0)
	s_waitcnt_vscnt null, 0x0
	flat_store_dwordx2 v[20:21], v[38:39]
	s_branch .LBB2_1215
.LBB2_3028:                             ;   in Loop: Header=BB2_1213 Depth=2
	s_or_b32 exec_lo, exec_lo, s21
.LBB2_3029:                             ;   in Loop: Header=BB2_1213 Depth=2
	s_or_b32 exec_lo, exec_lo, s19
	s_mov_b32 s17, exec_lo
	v_cmpx_gt_i32_e32 2, v3
	s_cbranch_execz .LBB2_1212
; %bb.3030:                             ;   in Loop: Header=BB2_1213 Depth=2
	v_cmp_eq_u32_e64 s21, 0, v3
	s_mov_b32 s19, 0
	s_branch .LBB2_3032
.LBB2_3031:                             ;   in Loop: Header=BB2_3032 Depth=3
	s_or_b32 exec_lo, exec_lo, s16
	v_add_nc_u32_e32 v47, v50, v47
	s_mov_b32 s21, 0
	s_andn2_b32 exec_lo, exec_lo, s19
	s_cbranch_execz .LBB2_1211
.LBB2_3032:                             ;   Parent Loop BB2_47 Depth=1
                                        ;     Parent Loop BB2_1213 Depth=2
                                        ; =>    This Loop Header: Depth=3
                                        ;         Child Loop BB2_3038 Depth 4
                                        ;         Child Loop BB2_3066 Depth 4
	;; [unrolled: 1-line block ×3, first 2 shown]
	v_sub_nc_u32_e32 v3, v46, v47
	v_and_b32_e32 v8, 12, v81
	s_mov_b32 s22, exec_lo
	v_min_i32_e32 v50, v50, v3
	v_cmpx_ne_u32_e32 0, v8
	s_cbranch_execz .LBB2_3058
; %bb.3033:                             ;   in Loop: Header=BB2_3032 Depth=3
	v_and_b32_e32 v3, 8, v81
	s_mov_b32 s23, exec_lo
	s_waitcnt vmcnt(0) lgkmcnt(1)
	v_add_co_u32 v10, vcc_lo, v26, v3
	v_add_co_ci_u32_e64 v11, null, 0, v27, vcc_lo
	v_add_co_u32 v8, vcc_lo, v38, 2
	v_add_co_ci_u32_e64 v9, null, 0, v39, vcc_lo
	v_cmpx_lt_u64_e64 v[10:11], v[8:9]
	s_cbranch_execz .LBB2_3045
; %bb.3034:                             ;   in Loop: Header=BB2_3032 Depth=3
	v_and_b32_e32 v10, 64, v81
	s_mov_b32 s61, 0
	s_mov_b32 s73, 0
                                        ; implicit-def: $sgpr62
                                        ; implicit-def: $sgpr63
                                        ; implicit-def: $sgpr72
	v_cmp_eq_u32_e32 vcc_lo, 0, v10
	s_branch .LBB2_3038
.LBB2_3035:                             ;   in Loop: Header=BB2_3038 Depth=4
	s_waitcnt vmcnt(0) lgkmcnt(0)
	v_add_co_u32 v51, s16, v26, v3
	v_add_co_ci_u32_e64 v52, null, 0, v27, s16
	s_or_b32 s76, s76, exec_lo
	v_cmp_ge_u64_e64 s16, v[51:52], v[8:9]
	s_orn2_b32 s75, s16, exec_lo
.LBB2_3036:                             ;   in Loop: Header=BB2_3038 Depth=4
	s_or_b32 exec_lo, exec_lo, s78
	s_andn2_b32 s16, s72, exec_lo
	s_and_b32 s72, s76, exec_lo
	s_andn2_b32 s63, s63, exec_lo
	s_and_b32 s75, s75, exec_lo
	s_or_b32 s72, s16, s72
	s_or_b32 s63, s63, s75
.LBB2_3037:                             ;   in Loop: Header=BB2_3038 Depth=4
	s_or_b32 exec_lo, exec_lo, s74
	s_and_b32 s16, exec_lo, s63
	s_or_b32 s61, s16, s61
	s_andn2_b32 s16, s62, exec_lo
	s_and_b32 s62, s72, exec_lo
	s_or_b32 s62, s16, s62
	s_andn2_b32 exec_lo, exec_lo, s61
	s_cbranch_execz .LBB2_3042
.LBB2_3038:                             ;   Parent Loop BB2_47 Depth=1
                                        ;     Parent Loop BB2_1213 Depth=2
                                        ;       Parent Loop BB2_3032 Depth=3
                                        ; =>      This Inner Loop Header: Depth=4
	s_sleep 1
	s_waitcnt vmcnt(0) lgkmcnt(0)
	flat_load_dwordx2 v[26:27], v[20:21] glc dlc
	s_or_b32 s72, s72, exec_lo
	s_or_b32 s63, s63, exec_lo
                                        ; implicit-def: $vgpr10
	s_and_saveexec_b32 s74, vcc_lo
	s_cbranch_execz .LBB2_3037
; %bb.3039:                             ;   in Loop: Header=BB2_3038 Depth=4
	s_cmpk_lt_i32 s73, 0x270f
	s_mov_b32 s75, -1
	s_cselect_b32 s77, -1, 0
	s_cmpk_gt_i32 s73, 0x270e
	s_cbranch_scc0 .LBB2_3041
; %bb.3040:                             ;   in Loop: Header=BB2_3038 Depth=4
	s_trap 2
	ds_read_b64 v[10:11], v0
	s_andn2_b32 s73, s77, exec_lo
	s_mov_b32 s76, 0
	s_waitcnt vmcnt(0) lgkmcnt(0)
	s_waitcnt_vscnt null, 0x0
	flat_load_dword v10, v[10:11] glc dlc
	s_waitcnt vmcnt(0) lgkmcnt(0)
	buffer_gl1_inv
	buffer_gl0_inv
	v_cmp_eq_u32_e64 s16, 0, v10
	s_and_b32 s16, s16, exec_lo
	s_or_b32 s77, s73, s16
	s_mov_b32 s73, 0
	s_and_saveexec_b32 s78, s77
	s_cbranch_execz .LBB2_3036
	s_branch .LBB2_3035
.LBB2_3041:                             ;   in Loop: Header=BB2_3038 Depth=4
	s_add_i32 s73, s73, 1
	s_mov_b32 s76, -1
                                        ; implicit-def: $vgpr10
	s_and_saveexec_b32 s78, s77
	s_cbranch_execz .LBB2_3036
	s_branch .LBB2_3035
.LBB2_3042:                             ;   in Loop: Header=BB2_3032 Depth=3
	s_or_b32 exec_lo, exec_lo, s61
	s_xor_b32 s16, s62, -1
	s_and_saveexec_b32 s61, s16
	s_xor_b32 s16, exec_lo, s61
	s_cbranch_execz .LBB2_3044
; %bb.3043:                             ;   in Loop: Header=BB2_3032 Depth=3
	v_or_b32_e32 v81, 64, v81
	s_waitcnt vmcnt(0) lgkmcnt(0)
	s_waitcnt_vscnt null, 0x0
	ds_write_b32 v0, v10
	s_trap 2
.LBB2_3044:                             ;   in Loop: Header=BB2_3032 Depth=3
	s_or_b32 exec_lo, exec_lo, s16
.LBB2_3045:                             ;   in Loop: Header=BB2_3032 Depth=3
	s_or_b32 exec_lo, exec_lo, s23
	v_and_b32_e32 v10, 0x108, v81
	;;#ASMSTART
	s_wakeup
	;;#ASMEND
	v_cmp_ne_u32_e32 vcc_lo, 0x108, v10
                                        ; implicit-def: $vgpr10_vgpr11
	s_and_saveexec_b32 s16, vcc_lo
	s_xor_b32 s16, exec_lo, s16
; %bb.3046:                             ;   in Loop: Header=BB2_3032 Depth=3
	v_and_b32_e32 v10, 7, v38
	v_mov_b32_e32 v11, v2
                                        ; implicit-def: $vgpr38_vgpr39
; %bb.3047:                             ;   in Loop: Header=BB2_3032 Depth=3
	s_andn2_saveexec_b32 s16, s16
	s_cbranch_execz .LBB2_3049
; %bb.3048:                             ;   in Loop: Header=BB2_3032 Depth=3
	v_and_b32_e32 v10, 7, v38
	v_ashrrev_i32_e32 v51, 31, v50
	v_mov_b32_e32 v11, v2
	v_mad_u64_u32 v[38:39], null, v10, 24, v[6:7]
	flat_store_dwordx2 v[38:39], v[50:51] offset:8
.LBB2_3049:                             ;   in Loop: Header=BB2_3032 Depth=3
	s_or_b32 exec_lo, exec_lo, s16
	v_and_b32_e32 v38, 0x100, v81
	s_mov_b32 s16, -1
	v_cmp_ne_u32_e32 vcc_lo, 0, v38
                                        ; implicit-def: $vgpr38_vgpr39
	s_and_saveexec_b32 s23, vcc_lo
	s_cbranch_execz .LBB2_3053
; %bb.3050:                             ;   in Loop: Header=BB2_3032 Depth=3
	v_mad_u64_u32 v[51:52], null, v10, 24, v[6:7]
	v_mov_b32_e32 v38, v52
	v_mad_u64_u32 v[38:39], null, v11, 24, v[38:39]
	v_mov_b32_e32 v52, v38
	flat_load_dword v38, v[51:52]
	s_waitcnt vmcnt(0) lgkmcnt(0)
	v_cmp_eq_u32_e64 s16, 1, v38
	v_cmp_ne_u32_e32 vcc_lo, 1, v38
                                        ; implicit-def: $vgpr38_vgpr39
	s_and_saveexec_b32 s61, s16
	s_cbranch_execz .LBB2_3052
; %bb.3051:                             ;   in Loop: Header=BB2_3032 Depth=3
	flat_load_dword v38, v[51:52] offset:4 glc dlc
	s_waitcnt vmcnt(0) lgkmcnt(0)
	v_ashrrev_i32_e32 v39, 31, v38
.LBB2_3052:                             ;   in Loop: Header=BB2_3032 Depth=3
	s_or_b32 exec_lo, exec_lo, s61
	s_orn2_b32 s16, vcc_lo, exec_lo
.LBB2_3053:                             ;   in Loop: Header=BB2_3032 Depth=3
	s_or_b32 exec_lo, exec_lo, s23
	s_and_saveexec_b32 s23, s16
; %bb.3054:                             ;   in Loop: Header=BB2_3032 Depth=3
	v_mul_lo_u32 v11, v11, v82
	v_mul_lo_u32 v51, v10, v30
	v_mad_u64_u32 v[38:39], null, v10, v82, 0
	v_add3_u32 v39, v39, v51, v11
; %bb.3055:                             ;   in Loop: Header=BB2_3032 Depth=3
	s_or_b32 exec_lo, exec_lo, s23
	v_cmp_eq_u32_e32 vcc_lo, 0, v3
	v_and_b32_e32 v51, 0x2000, v81
	s_mov_b32 s16, exec_lo
	v_cndmask_b32_e32 v3, 0xc8, v102, vcc_lo
	v_add_co_u32 v10, vcc_lo, v22, v38
	v_add_co_ci_u32_e64 v11, null, v23, v39, vcc_lo
	v_add_nc_u32_e32 v3, v0, v3
	ds_write_b64 v3, v[10:11] offset:584
	v_cmpx_ne_u32_e32 0, v51
	s_cbranch_execz .LBB2_3057
; %bb.3056:                             ;   in Loop: Header=BB2_3032 Depth=3
	ds_read_b64 v[10:11], v0 offset:872
	s_waitcnt lgkmcnt(0)
	v_add_co_u32 v10, vcc_lo, v10, 1
	v_add_co_ci_u32_e64 v11, null, 0, v11, vcc_lo
	ds_write_b64 v0, v[10:11] offset:872
.LBB2_3057:                             ;   in Loop: Header=BB2_3032 Depth=3
	s_or_b32 exec_lo, exec_lo, s16
	v_mov_b32_e32 v39, v9
	v_mov_b32_e32 v38, v8
.LBB2_3058:                             ;   in Loop: Header=BB2_3032 Depth=3
	s_or_b32 exec_lo, exec_lo, s22
	s_xor_b32 s16, s21, -1
	s_and_b32 s16, exec_lo, s16
	s_or_b32 s19, s16, s19
	s_and_saveexec_b32 s16, s6
	s_cbranch_execz .LBB2_3077
; %bb.3059:                             ;   in Loop: Header=BB2_3032 Depth=3
	s_and_saveexec_b32 s21, s29
	s_xor_b32 s21, exec_lo, s21
	s_cbranch_execz .LBB2_3074
; %bb.3060:                             ;   in Loop: Header=BB2_3032 Depth=3
	s_and_saveexec_b32 s22, s11
	s_cbranch_execz .LBB2_3073
; %bb.3061:                             ;   in Loop: Header=BB2_3032 Depth=3
	s_mov_b32 s61, exec_lo
	s_mov_b32 s23, exec_lo
	v_mbcnt_lo_u32_b32 v3, s61, 0
	s_waitcnt vmcnt(0) lgkmcnt(0)
	s_waitcnt_vscnt null, 0x0
	buffer_gl1_inv
	buffer_gl0_inv
	v_cmpx_eq_u32_e32 0, v3
	s_cbranch_execz .LBB2_3063
; %bb.3062:                             ;   in Loop: Header=BB2_3032 Depth=3
	s_bcnt1_i32_b32 s61, s61
	v_mov_b32_e32 v9, v2
	v_mov_b32_e32 v8, s61
	ds_add_u64 v0, v[8:9]
	s_trap 2
.LBB2_3063:                             ;   in Loop: Header=BB2_3032 Depth=3
	s_or_b32 exec_lo, exec_lo, s23
	s_trap 2
	ds_read_b64 v[8:9], v0
	s_waitcnt lgkmcnt(0)
	buffer_gl0_inv
	v_add_co_u32 v12, vcc_lo, v12, v83
	v_add_co_ci_u32_e64 v13, null, 0, v13, vcc_lo
	s_mov_b32 s23, exec_lo
	v_cmpx_lt_u64_e64 v[8:9], v[12:13]
	s_cbranch_execz .LBB2_3072
; %bb.3064:                             ;   in Loop: Header=BB2_3032 Depth=3
	s_mov_b32 s61, 0
	s_mov_b32 s72, 0
                                        ; implicit-def: $sgpr62
                                        ; implicit-def: $sgpr63
	s_inst_prefetch 0x1
	s_branch .LBB2_3066
	.p2align	6
.LBB2_3065:                             ;   in Loop: Header=BB2_3066 Depth=4
	s_or_b32 exec_lo, exec_lo, s74
	s_and_b32 s73, exec_lo, s75
	s_or_b32 s61, s73, s61
	s_andn2_b32 s62, s62, exec_lo
	s_and_b32 s73, s63, exec_lo
	s_or_b32 s62, s62, s73
	s_andn2_b32 exec_lo, exec_lo, s61
	s_cbranch_execz .LBB2_3070
.LBB2_3066:                             ;   Parent Loop BB2_47 Depth=1
                                        ;     Parent Loop BB2_1213 Depth=2
                                        ;       Parent Loop BB2_3032 Depth=3
                                        ; =>      This Inner Loop Header: Depth=4
	s_add_i32 s72, s72, 1
	s_cmpk_lg_i32 s72, 0x2710
	s_cselect_b32 s73, -1, 0
	s_and_b32 vcc_lo, exec_lo, s73
	s_cbranch_vccz .LBB2_3068
; %bb.3067:                             ;   in Loop: Header=BB2_3066 Depth=4
	s_mov_b32 s75, -1
	s_or_b32 s63, s63, exec_lo
	s_and_saveexec_b32 s74, s73
	s_cbranch_execz .LBB2_3065
	s_branch .LBB2_3069
	.p2align	6
.LBB2_3068:                             ;   in Loop: Header=BB2_3066 Depth=4
	s_trap 2
	ds_read_b64 v[8:9], v0
	s_andn2_b32 s73, s73, exec_lo
	s_mov_b32 s72, 0
	s_waitcnt lgkmcnt(0)
	flat_load_dword v3, v[8:9] glc dlc
	s_waitcnt vmcnt(0) lgkmcnt(0)
	buffer_gl1_inv
	buffer_gl0_inv
	v_cmp_eq_u32_e32 vcc_lo, 0, v3
	s_and_b32 s74, vcc_lo, exec_lo
	s_or_b32 s73, s73, s74
	s_mov_b32 s75, -1
	s_or_b32 s63, s63, exec_lo
	s_and_saveexec_b32 s74, s73
	s_cbranch_execz .LBB2_3065
.LBB2_3069:                             ;   in Loop: Header=BB2_3066 Depth=4
	s_sleep 1
	s_trap 2
	ds_read_b64 v[8:9], v0
	s_waitcnt lgkmcnt(0)
	buffer_gl0_inv
	s_andn2_b32 s63, s63, exec_lo
	v_cmp_ge_u64_e32 vcc_lo, v[8:9], v[12:13]
	s_orn2_b32 s75, vcc_lo, exec_lo
	s_branch .LBB2_3065
.LBB2_3070:                             ;   in Loop: Header=BB2_3032 Depth=3
	s_inst_prefetch 0x2
	s_or_b32 exec_lo, exec_lo, s61
	s_and_saveexec_b32 s61, s62
	s_xor_b32 s61, exec_lo, s61
	s_cbranch_execz .LBB2_3072
; %bb.3071:                             ;   in Loop: Header=BB2_3032 Depth=3
	ds_write_b32 v0, v96
	s_trap 2
.LBB2_3072:                             ;   in Loop: Header=BB2_3032 Depth=3
	s_or_b32 exec_lo, exec_lo, s23
	;;#ASMSTART
	s_wakeup
	;;#ASMEND
.LBB2_3073:                             ;   in Loop: Header=BB2_3032 Depth=3
	s_or_b32 exec_lo, exec_lo, s22
.LBB2_3074:                             ;   in Loop: Header=BB2_3032 Depth=3
	s_andn2_saveexec_b32 s21, s21
	s_cbranch_execz .LBB2_3076
; %bb.3075:                             ;   in Loop: Header=BB2_3032 Depth=3
	s_waitcnt vmcnt(0) lgkmcnt(0)
	s_waitcnt_vscnt null, 0x0
	buffer_gl1_inv
	buffer_gl0_inv
	s_barrier
.LBB2_3076:                             ;   in Loop: Header=BB2_3032 Depth=3
	s_or_b32 exec_lo, exec_lo, s21
.LBB2_3077:                             ;   in Loop: Header=BB2_3032 Depth=3
	s_or_b32 exec_lo, exec_lo, s16
                                        ; implicit-def: $vgpr3
	s_and_saveexec_b32 s16, s47
	s_xor_b32 s16, exec_lo, s16
	s_cbranch_execz .LBB2_3089
; %bb.3078:                             ;   in Loop: Header=BB2_3032 Depth=3
	s_and_saveexec_b32 s21, s29
	s_xor_b32 s21, exec_lo, s21
	s_cbranch_execz .LBB2_3094
; %bb.3079:                             ;   in Loop: Header=BB2_3032 Depth=3
	s_and_saveexec_b32 s22, s11
	s_cbranch_execz .LBB2_3093
; %bb.3080:                             ;   in Loop: Header=BB2_3032 Depth=3
	s_mov_b32 s61, exec_lo
	s_mov_b32 s23, exec_lo
	v_mbcnt_lo_u32_b32 v3, s61, 0
	;;#ASMSTART
	s_waitcnt lgkmcnt(0) vmcnt(0)
	;;#ASMEND
	v_cmpx_eq_u32_e32 0, v3
	s_cbranch_execz .LBB2_3082
; %bb.3081:                             ;   in Loop: Header=BB2_3032 Depth=3
	s_bcnt1_i32_b32 s61, s61
	v_mov_b32_e32 v9, v2
	v_mov_b32_e32 v8, s61
	s_waitcnt vmcnt(0) lgkmcnt(0)
	s_waitcnt_vscnt null, 0x0
	ds_add_u64 v0, v[8:9]
	s_trap 2
.LBB2_3082:                             ;   in Loop: Header=BB2_3032 Depth=3
	s_or_b32 exec_lo, exec_lo, s23
	s_trap 2
	ds_read_b64 v[8:9], v0
	s_waitcnt vmcnt(0) lgkmcnt(0)
	buffer_gl0_inv
	v_add_co_u32 v12, vcc_lo, v12, v83
	v_add_co_ci_u32_e64 v13, null, 0, v13, vcc_lo
	s_mov_b32 s23, exec_lo
	v_cmpx_lt_u64_e64 v[8:9], v[12:13]
	s_cbranch_execz .LBB2_3092
; %bb.3083:                             ;   in Loop: Header=BB2_3032 Depth=3
	s_mov_b32 s61, 0
	s_mov_b32 s72, 0
                                        ; implicit-def: $sgpr62
                                        ; implicit-def: $sgpr63
	s_inst_prefetch 0x1
	s_branch .LBB2_3085
	.p2align	6
.LBB2_3084:                             ;   in Loop: Header=BB2_3085 Depth=4
	s_or_b32 exec_lo, exec_lo, s74
	s_and_b32 s73, exec_lo, s75
	s_or_b32 s61, s73, s61
	s_andn2_b32 s62, s62, exec_lo
	s_and_b32 s73, s63, exec_lo
	s_or_b32 s62, s62, s73
	s_andn2_b32 exec_lo, exec_lo, s61
	s_cbranch_execz .LBB2_3090
.LBB2_3085:                             ;   Parent Loop BB2_47 Depth=1
                                        ;     Parent Loop BB2_1213 Depth=2
                                        ;       Parent Loop BB2_3032 Depth=3
                                        ; =>      This Inner Loop Header: Depth=4
	s_add_i32 s72, s72, 1
	s_cmpk_lg_i32 s72, 0x2710
	s_cselect_b32 s73, -1, 0
	s_and_b32 vcc_lo, exec_lo, s73
	s_cbranch_vccz .LBB2_3087
; %bb.3086:                             ;   in Loop: Header=BB2_3085 Depth=4
	s_mov_b32 s75, -1
	s_or_b32 s63, s63, exec_lo
	s_and_saveexec_b32 s74, s73
	s_cbranch_execz .LBB2_3084
	s_branch .LBB2_3088
	.p2align	6
.LBB2_3087:                             ;   in Loop: Header=BB2_3085 Depth=4
	s_trap 2
	ds_read_b64 v[8:9], v0
	s_andn2_b32 s73, s73, exec_lo
	s_mov_b32 s72, 0
	s_waitcnt lgkmcnt(0)
	s_waitcnt_vscnt null, 0x0
	flat_load_dword v3, v[8:9] glc dlc
	s_waitcnt vmcnt(0) lgkmcnt(0)
	buffer_gl1_inv
	buffer_gl0_inv
	v_cmp_eq_u32_e32 vcc_lo, 0, v3
	s_and_b32 s74, vcc_lo, exec_lo
	s_or_b32 s73, s73, s74
	s_mov_b32 s75, -1
	s_or_b32 s63, s63, exec_lo
	s_and_saveexec_b32 s74, s73
	s_cbranch_execz .LBB2_3084
.LBB2_3088:                             ;   in Loop: Header=BB2_3085 Depth=4
	s_sleep 1
	s_trap 2
	ds_read_b64 v[8:9], v0
	s_waitcnt lgkmcnt(0)
	buffer_gl0_inv
	s_andn2_b32 s63, s63, exec_lo
	v_cmp_ge_u64_e32 vcc_lo, v[8:9], v[12:13]
	s_orn2_b32 s75, vcc_lo, exec_lo
	s_branch .LBB2_3084
.LBB2_3089:                             ;   in Loop: Header=BB2_3032 Depth=3
	s_andn2_saveexec_b32 s21, s16
	s_cbranch_execnz .LBB2_3097
	s_branch .LBB2_3100
.LBB2_3090:                             ;   in Loop: Header=BB2_3032 Depth=3
	s_inst_prefetch 0x2
	s_or_b32 exec_lo, exec_lo, s61
	s_and_saveexec_b32 s61, s62
	s_xor_b32 s61, exec_lo, s61
	s_cbranch_execz .LBB2_3092
; %bb.3091:                             ;   in Loop: Header=BB2_3032 Depth=3
	ds_write_b32 v0, v96
	s_trap 2
.LBB2_3092:                             ;   in Loop: Header=BB2_3032 Depth=3
	s_or_b32 exec_lo, exec_lo, s23
	;;#ASMSTART
	s_wakeup
	;;#ASMEND
.LBB2_3093:                             ;   in Loop: Header=BB2_3032 Depth=3
	s_or_b32 exec_lo, exec_lo, s22
.LBB2_3094:                             ;   in Loop: Header=BB2_3032 Depth=3
	s_andn2_saveexec_b32 s21, s21
	s_cbranch_execz .LBB2_3096
; %bb.3095:                             ;   in Loop: Header=BB2_3032 Depth=3
	;;#ASMSTART
	s_waitcnt lgkmcnt(0) vmcnt(0)
	;;#ASMEND
	s_barrier
.LBB2_3096:                             ;   in Loop: Header=BB2_3032 Depth=3
	s_or_b32 exec_lo, exec_lo, s21
	v_and_b32_e32 v3, 16, v81
	s_andn2_saveexec_b32 s21, s16
	s_cbranch_execz .LBB2_3100
.LBB2_3097:                             ;   in Loop: Header=BB2_3032 Depth=3
	s_trap 2
	ds_read_b32 v3, v0
	v_cmp_lt_i32_e32 vcc_lo, 0, v50
	s_waitcnt lgkmcnt(0)
	v_readfirstlane_b32 s16, v3
	v_and_b32_e32 v3, 16, v81
	s_cmp_eq_u32 s16, 0
	v_cmp_ne_u32_e64 s16, 0, v3
	s_cselect_b32 s22, -1, 0
	v_and_b32_e32 v3, 16, v81
	s_and_b32 s22, vcc_lo, s22
	s_and_b32 s22, s16, s22
	s_and_saveexec_b32 s16, s22
	s_cbranch_execz .LBB2_3099
; %bb.3098:                             ;   in Loop: Header=BB2_3032 Depth=3
	v_mov_b32_e32 v3, 1
	s_waitcnt vmcnt(0)
	s_waitcnt_vscnt null, 0x0
	buffer_gl1_inv
	buffer_gl0_inv
.LBB2_3099:                             ;   in Loop: Header=BB2_3032 Depth=3
	s_or_b32 exec_lo, exec_lo, s16
.LBB2_3100:                             ;   in Loop: Header=BB2_3032 Depth=3
	s_or_b32 exec_lo, exec_lo, s21
	v_cmp_ne_u32_e32 vcc_lo, 0, v3
	s_xor_b32 s16, s7, -1
	s_and_b32 s21, vcc_lo, s16
	s_and_saveexec_b32 s16, s21
	s_cbranch_execz .LBB2_3102
; %bb.3101:                             ;   in Loop: Header=BB2_3032 Depth=3
	s_waitcnt vmcnt(0) lgkmcnt(0)
	s_waitcnt_vscnt null, 0x0
	flat_store_dword v[24:25], v96
.LBB2_3102:                             ;   in Loop: Header=BB2_3032 Depth=3
	s_or_b32 exec_lo, exec_lo, s16
	v_and_b32_e32 v3, 48, v81
	s_mov_b32 s16, exec_lo
	v_cmpx_ne_u32_e32 0, v3
	s_cbranch_execz .LBB2_3031
; %bb.3103:                             ;   in Loop: Header=BB2_3032 Depth=3
	v_add_co_u32 v38, vcc_lo, v38, 2
	v_add_co_ci_u32_e64 v39, null, 0, v39, vcc_lo
	s_waitcnt vmcnt(0) lgkmcnt(0)
	s_waitcnt_vscnt null, 0x0
	flat_store_dwordx2 v[20:21], v[38:39]
	s_branch .LBB2_3031
.LBB2_3104:                             ;   in Loop: Header=BB2_47 Depth=1
	v_mul_lo_u32 v3, v37, s25
	v_mul_lo_u32 v10, v36, s28
	v_mad_u64_u32 v[8:9], null, v36, s25, 0
	v_mov_b32_e32 v55, 0
	v_add3_u32 v9, v9, v10, v3
	v_sub_co_u32 v10, vcc_lo, v48, v8
	v_sub_co_ci_u32_e64 v11, null, v49, v9, vcc_lo
	v_cmp_lt_i64_e32 vcc_lo, v[36:37], v[10:11]
	v_cndmask_b32_e32 v11, v10, v36, vcc_lo
	v_max_i32_e32 v3, 0, v11
	v_cmp_lt_i32_e32 vcc_lo, 0, v11
	v_add_nc_u32_e32 v10, 31, v3
	s_and_b32 s16, s57, vcc_lo
	v_lshrrev_b32_e32 v10, 1, v10
	v_and_b32_e32 v50, 0x3ffffff0, v10
	v_mov_b32_e32 v10, 0
	v_max_i32_e32 v50, s45, v50
	s_and_saveexec_b32 s21, s16
	s_cbranch_execz .LBB2_6627
; %bb.3105:                             ;   in Loop: Header=BB2_47 Depth=1
	v_add_co_u32 v70, vcc_lo, v8, v44
	v_add_co_ci_u32_e64 v71, null, v9, v45, vcc_lo
	v_mov_b32_e32 v55, 0
	s_mov_b32 s63, 1
	s_mov_b32 s62, -1
	s_mov_b32 s61, 0
	s_branch .LBB2_3107
.LBB2_3106:                             ;   in Loop: Header=BB2_3107 Depth=2
	s_or_b32 exec_lo, exec_lo, s16
	v_add_nc_u32_e32 v55, v50, v55
	s_xor_b32 s16, s62, -1
	v_mov_b32_e32 v10, s63
	s_mov_b32 s62, 0
	s_mov_b32 s63, 2
	v_cmp_ge_i32_e32 vcc_lo, v55, v3
	s_or_b32 s16, s16, vcc_lo
	s_and_b32 s16, exec_lo, s16
	s_or_b32 s61, s16, s61
	s_andn2_b32 exec_lo, exec_lo, s61
	s_cbranch_execz .LBB2_6626
.LBB2_3107:                             ;   Parent Loop BB2_47 Depth=1
                                        ; =>  This Loop Header: Depth=2
                                        ;       Child Loop BB2_3115 Depth 3
                                        ;       Child Loop BB2_3143 Depth 3
	;; [unrolled: 1-line block ×4, first 2 shown]
                                        ;         Child Loop BB2_3738 Depth 4
                                        ;       Child Loop BB2_3840 Depth 3
                                        ;         Child Loop BB2_4393 Depth 4
                                        ;       Child Loop BB2_4499 Depth 3
                                        ;       Child Loop BB2_4829 Depth 3
                                        ;         Child Loop BB2_4872 Depth 4
                                        ;       Child Loop BB2_4894 Depth 3
                                        ;       Child Loop BB2_5547 Depth 3
	;; [unrolled: 1-line block ×6, first 2 shown]
	s_and_saveexec_b32 s17, s4
	s_cbranch_execz .LBB2_3109
; %bb.3108:                             ;   in Loop: Header=BB2_3107 Depth=2
	s_trap 2
	ds_read2_b64 v[8:11], v0 offset1:1
	ds_read_b64 v[51:52], v0
	v_ashrrev_i32_e32 v53, 31, v55
	s_waitcnt lgkmcnt(1)
	v_add_co_u32 v8, vcc_lo, v8, v70
	v_add_co_ci_u32_e64 v9, null, v9, v71, vcc_lo
	v_add_co_u32 v10, vcc_lo, v10, v70
	v_add_co_ci_u32_e64 v11, null, v11, v71, vcc_lo
	s_waitcnt lgkmcnt(0)
	v_add_co_u32 v54, vcc_lo, v51, v70
	v_add_co_ci_u32_e64 v64, null, v52, v71, vcc_lo
	v_add_co_u32 v8, vcc_lo, v8, v55
	v_add_co_ci_u32_e64 v9, null, v9, v53, vcc_lo
	;; [unrolled: 2-line block ×3, first 2 shown]
	v_cmp_ne_u64_e32 vcc_lo, 0, v[51:52]
	v_add_co_u32 v10, s16, v10, v55
	v_add_co_ci_u32_e64 v11, null, v11, v53, s16
	v_cndmask_b32_e32 v52, 0, v64, vcc_lo
	v_cndmask_b32_e32 v51, 0, v54, vcc_lo
	ds_write_b64 v0, v[8:9]
	ds_write_b64 v0, v[10:11]
	;; [unrolled: 1-line block ×3, first 2 shown]
.LBB2_3109:                             ;   in Loop: Header=BB2_3107 Depth=2
	s_or_b32 exec_lo, exec_lo, s17
	v_sub_nc_u32_e32 v8, v3, v55
	v_and_b32_e32 v9, 12, v81
	s_mov_b32 s17, exec_lo
	v_min_i32_e32 v50, v50, v8
	v_cmpx_ne_u32_e32 0, v9
	s_cbranch_execz .LBB2_3135
; %bb.3110:                             ;   in Loop: Header=BB2_3107 Depth=2
	v_and_b32_e32 v53, 8, v81
	s_mov_b32 s18, exec_lo
	s_waitcnt vmcnt(0) lgkmcnt(1)
	v_add_co_u32 v10, vcc_lo, v26, v53
	v_add_co_ci_u32_e64 v11, null, 0, v27, vcc_lo
	v_add_co_u32 v8, vcc_lo, v38, 2
	v_add_co_ci_u32_e64 v9, null, 0, v39, vcc_lo
	v_cmpx_lt_u64_e64 v[10:11], v[8:9]
	s_cbranch_execz .LBB2_3122
; %bb.3111:                             ;   in Loop: Header=BB2_3107 Depth=2
	v_and_b32_e32 v10, 64, v81
	s_mov_b32 s19, 0
	s_mov_b32 s73, 0
                                        ; implicit-def: $sgpr22
                                        ; implicit-def: $sgpr23
                                        ; implicit-def: $sgpr72
	v_cmp_eq_u32_e32 vcc_lo, 0, v10
	s_branch .LBB2_3115
.LBB2_3112:                             ;   in Loop: Header=BB2_3115 Depth=3
	s_waitcnt vmcnt(0) lgkmcnt(0)
	v_add_co_u32 v51, s16, v26, v53
	v_add_co_ci_u32_e64 v52, null, 0, v27, s16
	s_or_b32 s76, s76, exec_lo
	v_cmp_ge_u64_e64 s16, v[51:52], v[8:9]
	s_orn2_b32 s75, s16, exec_lo
.LBB2_3113:                             ;   in Loop: Header=BB2_3115 Depth=3
	s_or_b32 exec_lo, exec_lo, s78
	s_andn2_b32 s16, s72, exec_lo
	s_and_b32 s72, s76, exec_lo
	s_andn2_b32 s23, s23, exec_lo
	s_and_b32 s75, s75, exec_lo
	s_or_b32 s72, s16, s72
	s_or_b32 s23, s23, s75
.LBB2_3114:                             ;   in Loop: Header=BB2_3115 Depth=3
	s_or_b32 exec_lo, exec_lo, s74
	s_and_b32 s16, exec_lo, s23
	s_or_b32 s19, s16, s19
	s_andn2_b32 s16, s22, exec_lo
	s_and_b32 s22, s72, exec_lo
	s_or_b32 s22, s16, s22
	s_andn2_b32 exec_lo, exec_lo, s19
	s_cbranch_execz .LBB2_3119
.LBB2_3115:                             ;   Parent Loop BB2_47 Depth=1
                                        ;     Parent Loop BB2_3107 Depth=2
                                        ; =>    This Inner Loop Header: Depth=3
	s_sleep 1
	s_waitcnt vmcnt(0) lgkmcnt(0)
	flat_load_dwordx2 v[26:27], v[20:21] glc dlc
	s_or_b32 s72, s72, exec_lo
	s_or_b32 s23, s23, exec_lo
                                        ; implicit-def: $vgpr10
	s_and_saveexec_b32 s74, vcc_lo
	s_cbranch_execz .LBB2_3114
; %bb.3116:                             ;   in Loop: Header=BB2_3115 Depth=3
	s_cmpk_lt_i32 s73, 0x270f
	s_mov_b32 s75, -1
	s_cselect_b32 s77, -1, 0
	s_cmpk_gt_i32 s73, 0x270e
	s_cbranch_scc0 .LBB2_3118
; %bb.3117:                             ;   in Loop: Header=BB2_3115 Depth=3
	s_trap 2
	ds_read_b64 v[10:11], v0
	s_andn2_b32 s73, s77, exec_lo
	s_mov_b32 s76, 0
	s_waitcnt vmcnt(0) lgkmcnt(0)
	s_waitcnt_vscnt null, 0x0
	flat_load_dword v10, v[10:11] glc dlc
	s_waitcnt vmcnt(0) lgkmcnt(0)
	buffer_gl1_inv
	buffer_gl0_inv
	v_cmp_eq_u32_e64 s16, 0, v10
	s_and_b32 s16, s16, exec_lo
	s_or_b32 s77, s73, s16
	s_mov_b32 s73, 0
	s_and_saveexec_b32 s78, s77
	s_cbranch_execz .LBB2_3113
	s_branch .LBB2_3112
.LBB2_3118:                             ;   in Loop: Header=BB2_3115 Depth=3
	s_add_i32 s73, s73, 1
	s_mov_b32 s76, -1
                                        ; implicit-def: $vgpr10
	s_and_saveexec_b32 s78, s77
	s_cbranch_execz .LBB2_3113
	s_branch .LBB2_3112
.LBB2_3119:                             ;   in Loop: Header=BB2_3107 Depth=2
	s_or_b32 exec_lo, exec_lo, s19
	s_xor_b32 s16, s22, -1
	s_and_saveexec_b32 s19, s16
	s_xor_b32 s16, exec_lo, s19
	s_cbranch_execz .LBB2_3121
; %bb.3120:                             ;   in Loop: Header=BB2_3107 Depth=2
	v_or_b32_e32 v81, 64, v81
	s_waitcnt vmcnt(0) lgkmcnt(0)
	s_waitcnt_vscnt null, 0x0
	ds_write_b32 v0, v10
	s_trap 2
.LBB2_3121:                             ;   in Loop: Header=BB2_3107 Depth=2
	s_or_b32 exec_lo, exec_lo, s16
.LBB2_3122:                             ;   in Loop: Header=BB2_3107 Depth=2
	s_or_b32 exec_lo, exec_lo, s18
	v_and_b32_e32 v10, 0x108, v81
	;;#ASMSTART
	s_wakeup
	;;#ASMEND
	v_cmp_ne_u32_e32 vcc_lo, 0x108, v10
                                        ; implicit-def: $vgpr10_vgpr11
	s_and_saveexec_b32 s16, vcc_lo
	s_xor_b32 s16, exec_lo, s16
; %bb.3123:                             ;   in Loop: Header=BB2_3107 Depth=2
	v_and_b32_e32 v10, 7, v38
	v_mov_b32_e32 v11, v2
                                        ; implicit-def: $vgpr38_vgpr39
; %bb.3124:                             ;   in Loop: Header=BB2_3107 Depth=2
	s_andn2_saveexec_b32 s16, s16
	s_cbranch_execz .LBB2_3126
; %bb.3125:                             ;   in Loop: Header=BB2_3107 Depth=2
	v_and_b32_e32 v10, 7, v38
	v_ashrrev_i32_e32 v51, 31, v50
	v_mov_b32_e32 v11, v2
	v_mad_u64_u32 v[38:39], null, v10, 24, v[6:7]
	flat_store_dwordx2 v[38:39], v[50:51] offset:8
.LBB2_3126:                             ;   in Loop: Header=BB2_3107 Depth=2
	s_or_b32 exec_lo, exec_lo, s16
	v_and_b32_e32 v38, 0x100, v81
	s_mov_b32 s16, -1
	v_cmp_ne_u32_e32 vcc_lo, 0, v38
                                        ; implicit-def: $vgpr38_vgpr39
	s_and_saveexec_b32 s18, vcc_lo
	s_cbranch_execz .LBB2_3130
; %bb.3127:                             ;   in Loop: Header=BB2_3107 Depth=2
	v_mad_u64_u32 v[51:52], null, v10, 24, v[6:7]
	v_mov_b32_e32 v38, v52
	v_mad_u64_u32 v[38:39], null, v11, 24, v[38:39]
	v_mov_b32_e32 v52, v38
	flat_load_dword v38, v[51:52]
	s_waitcnt vmcnt(0) lgkmcnt(0)
	v_cmp_eq_u32_e64 s16, 1, v38
	v_cmp_ne_u32_e32 vcc_lo, 1, v38
                                        ; implicit-def: $vgpr38_vgpr39
	s_and_saveexec_b32 s19, s16
	s_cbranch_execz .LBB2_3129
; %bb.3128:                             ;   in Loop: Header=BB2_3107 Depth=2
	flat_load_dword v38, v[51:52] offset:4 glc dlc
	s_waitcnt vmcnt(0) lgkmcnt(0)
	v_ashrrev_i32_e32 v39, 31, v38
.LBB2_3129:                             ;   in Loop: Header=BB2_3107 Depth=2
	s_or_b32 exec_lo, exec_lo, s19
	s_orn2_b32 s16, vcc_lo, exec_lo
.LBB2_3130:                             ;   in Loop: Header=BB2_3107 Depth=2
	s_or_b32 exec_lo, exec_lo, s18
	s_and_saveexec_b32 s18, s16
; %bb.3131:                             ;   in Loop: Header=BB2_3107 Depth=2
	v_mul_lo_u32 v11, v11, v82
	v_mul_lo_u32 v51, v10, v30
	v_mad_u64_u32 v[38:39], null, v10, v82, 0
	v_add3_u32 v39, v39, v51, v11
; %bb.3132:                             ;   in Loop: Header=BB2_3107 Depth=2
	s_or_b32 exec_lo, exec_lo, s18
	v_cmp_eq_u32_e32 vcc_lo, 0, v53
	v_and_b32_e32 v52, 0x2000, v81
	s_mov_b32 s16, exec_lo
	v_cndmask_b32_e32 v51, 0xd0, v102, vcc_lo
	v_add_co_u32 v10, vcc_lo, v22, v38
	v_add_co_ci_u32_e64 v11, null, v23, v39, vcc_lo
	v_add_nc_u32_e32 v38, v0, v51
	ds_write_b64 v38, v[10:11] offset:584
	v_cmpx_ne_u32_e32 0, v52
	s_cbranch_execz .LBB2_3134
; %bb.3133:                             ;   in Loop: Header=BB2_3107 Depth=2
	ds_read_b64 v[10:11], v0 offset:872
	s_waitcnt lgkmcnt(0)
	v_add_co_u32 v10, vcc_lo, v10, 1
	v_add_co_ci_u32_e64 v11, null, 0, v11, vcc_lo
	ds_write_b64 v0, v[10:11] offset:872
.LBB2_3134:                             ;   in Loop: Header=BB2_3107 Depth=2
	s_or_b32 exec_lo, exec_lo, s16
	v_mov_b32_e32 v39, v9
	v_mov_b32_e32 v38, v8
.LBB2_3135:                             ;   in Loop: Header=BB2_3107 Depth=2
	s_or_b32 exec_lo, exec_lo, s17
	s_and_saveexec_b32 s16, s6
	s_cbranch_execz .LBB2_3154
; %bb.3136:                             ;   in Loop: Header=BB2_3107 Depth=2
	s_and_saveexec_b32 s17, s29
	s_xor_b32 s17, exec_lo, s17
	s_cbranch_execz .LBB2_3151
; %bb.3137:                             ;   in Loop: Header=BB2_3107 Depth=2
	s_and_saveexec_b32 s18, s11
	s_cbranch_execz .LBB2_3150
; %bb.3138:                             ;   in Loop: Header=BB2_3107 Depth=2
	s_mov_b32 s22, exec_lo
	s_mov_b32 s19, exec_lo
	v_mbcnt_lo_u32_b32 v8, s22, 0
	s_waitcnt vmcnt(0) lgkmcnt(0)
	s_waitcnt_vscnt null, 0x0
	buffer_gl1_inv
	buffer_gl0_inv
	v_cmpx_eq_u32_e32 0, v8
	s_cbranch_execz .LBB2_3140
; %bb.3139:                             ;   in Loop: Header=BB2_3107 Depth=2
	s_bcnt1_i32_b32 s22, s22
	v_mov_b32_e32 v9, v2
	v_mov_b32_e32 v8, s22
	ds_add_u64 v0, v[8:9]
	s_trap 2
.LBB2_3140:                             ;   in Loop: Header=BB2_3107 Depth=2
	s_or_b32 exec_lo, exec_lo, s19
	s_trap 2
	ds_read_b64 v[8:9], v0
	s_waitcnt lgkmcnt(0)
	buffer_gl0_inv
	v_add_co_u32 v12, vcc_lo, v12, v83
	v_add_co_ci_u32_e64 v13, null, 0, v13, vcc_lo
	s_mov_b32 s19, exec_lo
	v_cmpx_lt_u64_e64 v[8:9], v[12:13]
	s_cbranch_execz .LBB2_3149
; %bb.3141:                             ;   in Loop: Header=BB2_3107 Depth=2
	s_mov_b32 s22, 0
	s_mov_b32 s73, 0
                                        ; implicit-def: $sgpr23
                                        ; implicit-def: $sgpr72
	s_inst_prefetch 0x1
	s_branch .LBB2_3143
	.p2align	6
.LBB2_3142:                             ;   in Loop: Header=BB2_3143 Depth=3
	s_or_b32 exec_lo, exec_lo, s75
	s_and_b32 s74, exec_lo, s76
	s_or_b32 s22, s74, s22
	s_andn2_b32 s23, s23, exec_lo
	s_and_b32 s74, s72, exec_lo
	s_or_b32 s23, s23, s74
	s_andn2_b32 exec_lo, exec_lo, s22
	s_cbranch_execz .LBB2_3147
.LBB2_3143:                             ;   Parent Loop BB2_47 Depth=1
                                        ;     Parent Loop BB2_3107 Depth=2
                                        ; =>    This Inner Loop Header: Depth=3
	s_add_i32 s73, s73, 1
	s_cmpk_lg_i32 s73, 0x2710
	s_cselect_b32 s74, -1, 0
	s_and_b32 vcc_lo, exec_lo, s74
	s_cbranch_vccz .LBB2_3145
; %bb.3144:                             ;   in Loop: Header=BB2_3143 Depth=3
	s_mov_b32 s76, -1
	s_or_b32 s72, s72, exec_lo
	s_and_saveexec_b32 s75, s74
	s_cbranch_execz .LBB2_3142
	s_branch .LBB2_3146
	.p2align	6
.LBB2_3145:                             ;   in Loop: Header=BB2_3143 Depth=3
	s_trap 2
	ds_read_b64 v[8:9], v0
	s_andn2_b32 s74, s74, exec_lo
	s_mov_b32 s73, 0
	s_waitcnt lgkmcnt(0)
	flat_load_dword v8, v[8:9] glc dlc
	s_waitcnt vmcnt(0) lgkmcnt(0)
	buffer_gl1_inv
	buffer_gl0_inv
	v_cmp_eq_u32_e32 vcc_lo, 0, v8
	s_and_b32 s75, vcc_lo, exec_lo
	s_or_b32 s74, s74, s75
	s_mov_b32 s76, -1
	s_or_b32 s72, s72, exec_lo
	s_and_saveexec_b32 s75, s74
	s_cbranch_execz .LBB2_3142
.LBB2_3146:                             ;   in Loop: Header=BB2_3143 Depth=3
	s_sleep 1
	s_trap 2
	ds_read_b64 v[8:9], v0
	s_waitcnt lgkmcnt(0)
	buffer_gl0_inv
	s_andn2_b32 s72, s72, exec_lo
	v_cmp_ge_u64_e32 vcc_lo, v[8:9], v[12:13]
	s_orn2_b32 s76, vcc_lo, exec_lo
	s_branch .LBB2_3142
.LBB2_3147:                             ;   in Loop: Header=BB2_3107 Depth=2
	s_inst_prefetch 0x2
	s_or_b32 exec_lo, exec_lo, s22
	s_and_saveexec_b32 s22, s23
	s_xor_b32 s22, exec_lo, s22
	s_cbranch_execz .LBB2_3149
; %bb.3148:                             ;   in Loop: Header=BB2_3107 Depth=2
	ds_write_b32 v0, v96
	s_trap 2
.LBB2_3149:                             ;   in Loop: Header=BB2_3107 Depth=2
	s_or_b32 exec_lo, exec_lo, s19
	;;#ASMSTART
	s_wakeup
	;;#ASMEND
.LBB2_3150:                             ;   in Loop: Header=BB2_3107 Depth=2
	s_or_b32 exec_lo, exec_lo, s18
.LBB2_3151:                             ;   in Loop: Header=BB2_3107 Depth=2
	s_andn2_saveexec_b32 s17, s17
	s_cbranch_execz .LBB2_3153
; %bb.3152:                             ;   in Loop: Header=BB2_3107 Depth=2
	s_waitcnt vmcnt(0) lgkmcnt(0)
	s_waitcnt_vscnt null, 0x0
	buffer_gl1_inv
	buffer_gl0_inv
	s_barrier
.LBB2_3153:                             ;   in Loop: Header=BB2_3107 Depth=2
	s_or_b32 exec_lo, exec_lo, s17
.LBB2_3154:                             ;   in Loop: Header=BB2_3107 Depth=2
	s_or_b32 exec_lo, exec_lo, s16
	s_trap 2
	ds_read_b32 v8, v0
	v_and_b32_e32 v9, 0x4000, v81
	s_xor_b32 s16, s5, -1
	v_cmp_ne_u32_e32 vcc_lo, 0, v9
	s_and_b32 s17, s16, vcc_lo
	s_and_saveexec_b32 s16, s17
	s_cbranch_execz .LBB2_3173
; %bb.3155:                             ;   in Loop: Header=BB2_3107 Depth=2
	s_and_saveexec_b32 s17, s29
	s_xor_b32 s17, exec_lo, s17
	s_cbranch_execz .LBB2_3170
; %bb.3156:                             ;   in Loop: Header=BB2_3107 Depth=2
	s_and_saveexec_b32 s18, s11
	s_cbranch_execz .LBB2_3169
; %bb.3157:                             ;   in Loop: Header=BB2_3107 Depth=2
	s_mov_b32 s22, exec_lo
	s_mov_b32 s19, exec_lo
	v_mbcnt_lo_u32_b32 v9, s22, 0
	s_waitcnt vmcnt(0) lgkmcnt(0)
	s_waitcnt_vscnt null, 0x0
	buffer_gl1_inv
	buffer_gl0_inv
	v_cmpx_eq_u32_e32 0, v9
	s_cbranch_execz .LBB2_3159
; %bb.3158:                             ;   in Loop: Header=BB2_3107 Depth=2
	s_bcnt1_i32_b32 s22, s22
	v_mov_b32_e32 v10, v2
	v_mov_b32_e32 v9, s22
	ds_add_u64 v0, v[9:10]
	s_trap 2
.LBB2_3159:                             ;   in Loop: Header=BB2_3107 Depth=2
	s_or_b32 exec_lo, exec_lo, s19
	s_trap 2
	ds_read_b64 v[9:10], v0
	s_waitcnt lgkmcnt(0)
	buffer_gl0_inv
	v_add_co_u32 v12, vcc_lo, v12, v83
	v_add_co_ci_u32_e64 v13, null, 0, v13, vcc_lo
	s_mov_b32 s19, exec_lo
	v_cmpx_lt_u64_e64 v[9:10], v[12:13]
	s_cbranch_execz .LBB2_3168
; %bb.3160:                             ;   in Loop: Header=BB2_3107 Depth=2
	s_mov_b32 s22, 0
	s_mov_b32 s73, 0
                                        ; implicit-def: $sgpr23
                                        ; implicit-def: $sgpr72
	s_inst_prefetch 0x1
	s_branch .LBB2_3162
	.p2align	6
.LBB2_3161:                             ;   in Loop: Header=BB2_3162 Depth=3
	s_or_b32 exec_lo, exec_lo, s75
	s_and_b32 s74, exec_lo, s76
	s_or_b32 s22, s74, s22
	s_andn2_b32 s23, s23, exec_lo
	s_and_b32 s74, s72, exec_lo
	s_or_b32 s23, s23, s74
	s_andn2_b32 exec_lo, exec_lo, s22
	s_cbranch_execz .LBB2_3166
.LBB2_3162:                             ;   Parent Loop BB2_47 Depth=1
                                        ;     Parent Loop BB2_3107 Depth=2
                                        ; =>    This Inner Loop Header: Depth=3
	s_add_i32 s73, s73, 1
	s_cmpk_lg_i32 s73, 0x2710
	s_cselect_b32 s74, -1, 0
	s_and_b32 vcc_lo, exec_lo, s74
	s_cbranch_vccz .LBB2_3164
; %bb.3163:                             ;   in Loop: Header=BB2_3162 Depth=3
	s_mov_b32 s76, -1
	s_or_b32 s72, s72, exec_lo
	s_and_saveexec_b32 s75, s74
	s_cbranch_execz .LBB2_3161
	s_branch .LBB2_3165
	.p2align	6
.LBB2_3164:                             ;   in Loop: Header=BB2_3162 Depth=3
	s_trap 2
	ds_read_b64 v[9:10], v0
	s_andn2_b32 s74, s74, exec_lo
	s_mov_b32 s73, 0
	s_waitcnt lgkmcnt(0)
	flat_load_dword v9, v[9:10] glc dlc
	s_waitcnt vmcnt(0) lgkmcnt(0)
	buffer_gl1_inv
	buffer_gl0_inv
	v_cmp_eq_u32_e32 vcc_lo, 0, v9
	s_and_b32 s75, vcc_lo, exec_lo
	s_or_b32 s74, s74, s75
	s_mov_b32 s76, -1
	s_or_b32 s72, s72, exec_lo
	s_and_saveexec_b32 s75, s74
	s_cbranch_execz .LBB2_3161
.LBB2_3165:                             ;   in Loop: Header=BB2_3162 Depth=3
	s_sleep 1
	s_trap 2
	ds_read_b64 v[9:10], v0
	s_waitcnt lgkmcnt(0)
	buffer_gl0_inv
	s_andn2_b32 s72, s72, exec_lo
	v_cmp_ge_u64_e32 vcc_lo, v[9:10], v[12:13]
	s_orn2_b32 s76, vcc_lo, exec_lo
	s_branch .LBB2_3161
.LBB2_3166:                             ;   in Loop: Header=BB2_3107 Depth=2
	s_inst_prefetch 0x2
	s_or_b32 exec_lo, exec_lo, s22
	s_and_saveexec_b32 s22, s23
	s_xor_b32 s22, exec_lo, s22
	s_cbranch_execz .LBB2_3168
; %bb.3167:                             ;   in Loop: Header=BB2_3107 Depth=2
	ds_write_b32 v0, v96
	s_trap 2
.LBB2_3168:                             ;   in Loop: Header=BB2_3107 Depth=2
	s_or_b32 exec_lo, exec_lo, s19
	;;#ASMSTART
	s_wakeup
	;;#ASMEND
.LBB2_3169:                             ;   in Loop: Header=BB2_3107 Depth=2
	s_or_b32 exec_lo, exec_lo, s18
.LBB2_3170:                             ;   in Loop: Header=BB2_3107 Depth=2
	s_andn2_saveexec_b32 s17, s17
	s_cbranch_execz .LBB2_3172
; %bb.3171:                             ;   in Loop: Header=BB2_3107 Depth=2
	s_waitcnt vmcnt(0) lgkmcnt(0)
	s_waitcnt_vscnt null, 0x0
	buffer_gl1_inv
	buffer_gl0_inv
	s_barrier
.LBB2_3172:                             ;   in Loop: Header=BB2_3107 Depth=2
	s_or_b32 exec_lo, exec_lo, s17
.LBB2_3173:                             ;   in Loop: Header=BB2_3107 Depth=2
	s_or_b32 exec_lo, exec_lo, s16
	s_trap 2
	ds_read_b64 v[51:52], v0
	s_waitcnt lgkmcnt(0)
	v_cmp_eq_u64_e32 vcc_lo, 0, v[51:52]
	s_cbranch_vccnz .LBB2_3182
; %bb.3174:                             ;   in Loop: Header=BB2_3107 Depth=2
	s_trap 2
	ds_read_b64 v[53:54], v0
	s_waitcnt lgkmcnt(0)
	v_cmp_eq_u64_e32 vcc_lo, 0, v[53:54]
	s_cbranch_vccnz .LBB2_3182
; %bb.3175:                             ;   in Loop: Header=BB2_3107 Depth=2
	s_trap 2
	ds_read_b64 v[64:65], v0
	v_cmp_eq_u32_e64 s16, 0, v8
	v_cndmask_b32_e64 v46, 0, v50, s16
	s_mov_b32 s16, -1
	s_waitcnt lgkmcnt(0)
	v_cmp_ne_u64_e32 vcc_lo, 0, v[64:65]
	s_cbranch_vccz .LBB2_4881
; %bb.3176:                             ;   in Loop: Header=BB2_3107 Depth=2
	s_and_saveexec_b32 s17, s14
	s_cbranch_execz .LBB2_3178
; %bb.3177:                             ;   in Loop: Header=BB2_3107 Depth=2
	ds_read_b32 v8, v0 offset:720
	s_waitcnt lgkmcnt(0)
	v_and_b32_e32 v8, 15, v8
	v_cmp_eq_u32_e32 vcc_lo, 0, v8
	s_orn2_b32 s16, vcc_lo, exec_lo
.LBB2_3178:                             ;   in Loop: Header=BB2_3107 Depth=2
	s_or_b32 exec_lo, exec_lo, s17
	s_and_saveexec_b32 s17, s14
	s_cbranch_execz .LBB2_3180
; %bb.3179:                             ;   in Loop: Header=BB2_3107 Depth=2
	ds_read_b32 v8, v0 offset:784
	s_waitcnt lgkmcnt(0)
	v_and_b32_e32 v8, 15, v8
	v_cmp_eq_u32_e32 vcc_lo, 0, v8
	s_and_b32 s18, s16, vcc_lo
	s_andn2_b32 s16, s16, exec_lo
	s_and_b32 s18, s18, exec_lo
	s_or_b32 s16, s16, s18
.LBB2_3180:                             ;   in Loop: Header=BB2_3107 Depth=2
	s_or_b32 exec_lo, exec_lo, s17
	s_xor_b32 s16, s16, -1
	v_mov_b32_e32 v59, 0
	v_cndmask_b32_e64 v8, 0, 1, s16
	v_mov_b32_e32 v61, v46
	v_mov_b32_e32 v60, v0
	s_mov_b32 s17, -1
	v_cmp_ne_u32_e32 vcc_lo, 0, v8
	s_cbranch_vccz .LBB2_3183
; %bb.3181:                             ;   in Loop: Header=BB2_3107 Depth=2
	s_and_saveexec_b32 s22, s17
	s_cbranch_execz .LBB2_4880
	s_branch .LBB2_4494
.LBB2_3182:                             ;   in Loop: Header=BB2_3107 Depth=2
	s_mov_b32 s16, 0
	s_and_saveexec_b32 s17, s6
	s_cbranch_execz .LBB2_6599
	s_branch .LBB2_6581
.LBB2_3183:                             ;   in Loop: Header=BB2_3107 Depth=2
	v_ashrrev_i32_e32 v8, 31, v46
	v_sub_nc_u32_e32 v56, v46, v87
	s_mov_b32 s19, exec_lo
	v_lshrrev_b32_e32 v8, 23, v8
	v_add_nc_u32_e32 v8, v46, v8
	v_and_b32_e32 v47, 0xfffffe00, v8
	v_ashrrev_i32_e32 v8, 9, v8
	v_sub_nc_u32_e32 v57, v46, v47
	v_sub_nc_u32_e32 v8, v8, v85
	v_cmp_lt_i32_e64 s16, 15, v57
	v_add_co_ci_u32_e64 v58, null, 0, v8, s16
	v_cmpx_lt_i32_e32 15, v56
	s_cbranch_execz .LBB2_3837
; %bb.3184:                             ;   in Loop: Header=BB2_3107 Depth=2
	s_trap 2
	ds_read_b64 v[8:9], v0
	v_add_co_u32 v59, vcc_lo, v53, v87
	v_add_co_ci_u32_e64 v60, null, 0, v54, vcc_lo
	v_add_co_u32 v61, vcc_lo, v64, v87
	v_add_co_ci_u32_e64 v62, null, 0, v65, vcc_lo
	;; [unrolled: 2-line block ×3, first 2 shown]
	s_waitcnt lgkmcnt(0)
	v_readfirstlane_b32 s17, v8
	v_add_co_u32 v68, vcc_lo, v8, v87
	v_add_co_ci_u32_e64 v69, null, 0, v9, vcc_lo
	s_and_b32 s18, s17, 3
	s_bfe_u32 s72, s17, 0x50002
	s_flbit_i32_b32 s22, s18
	s_min_u32 s22, s22, 32
	s_sub_i32 s23, s22, 29
	s_sub_i32 s22, 30, s22
	s_lshl_b32 s23, s17, s23
	s_and_b32 s23, s23, 3
	s_cmp_eq_u32 s72, 0
	s_cselect_b32 s22, s22, s72
	s_cselect_b32 s18, s23, s18
	s_lshl_b32 s23, s17, 24
	s_lshl_b32 s22, s22, 23
	s_and_b32 s23, s23, 0x80000000
	s_add_i32 s22, s22, 0x37800000
	s_lshl_b32 s18, s18, 21
	s_or_b32 s22, s23, s22
	s_mov_b32 s72, 0
	s_or_b32 s73, s22, s18
	s_and_b32 s74, s17, 0xff
.LBB2_3185:                             ;   Parent Loop BB2_47 Depth=1
                                        ;     Parent Loop BB2_3107 Depth=2
                                        ; =>    This Loop Header: Depth=3
                                        ;         Child Loop BB2_3738 Depth 4
	s_cmpk_lt_i32 s74, 0x80
	s_cbranch_scc1 .LBB2_3189
; %bb.3186:                             ;   in Loop: Header=BB2_3185 Depth=3
	s_and_b32 s17, 0xffff, s74
	s_cmpk_eq_i32 s17, 0x80
	s_mov_b32 s17, -1
	s_cbranch_scc0 .LBB2_3188
; %bb.3187:                             ;   in Loop: Header=BB2_3185 Depth=3
	s_mov_b32 s17, 0
.LBB2_3188:                             ;   in Loop: Header=BB2_3185 Depth=3
	s_mov_b32 s18, 0x7f800001
	s_branch .LBB2_3191
.LBB2_3189:                             ;   in Loop: Header=BB2_3185 Depth=3
	s_mov_b32 s17, 0
	s_mov_b32 s18, 0x7f800001
	s_cbranch_execz .LBB2_3191
; %bb.3190:                             ;   in Loop: Header=BB2_3185 Depth=3
	s_and_b32 s17, 0xffff, s74
	s_mov_b32 s18, 0
	s_cmp_lg_u32 s17, 0
	s_cselect_b32 s17, -1, 0
.LBB2_3191:                             ;   in Loop: Header=BB2_3185 Depth=3
	s_andn2_b32 vcc_lo, exec_lo, s17
	s_cbranch_vccnz .LBB2_3193
; %bb.3192:                             ;   in Loop: Header=BB2_3185 Depth=3
	s_mov_b32 s18, s73
.LBB2_3193:                             ;   in Loop: Header=BB2_3185 Depth=3
	global_load_dwordx4 v[8:11], v[66:67], off slc
	s_mov_b32 s17, 0
	s_waitcnt vmcnt(0)
	v_cmp_gt_i16_sdwa s22, v8, v97 src0_sel:BYTE_0 src1_sel:DWORD
	s_and_saveexec_b32 s23, s22
	s_xor_b32 s22, exec_lo, s23
	s_cbranch_execz .LBB2_3740
; %bb.3194:                             ;   in Loop: Header=BB2_3185 Depth=3
	v_cmp_eq_u16_sdwa s75, v8, v98 src0_sel:BYTE_0 src1_sel:DWORD
	s_mov_b32 s17, -1
	s_and_saveexec_b32 s23, s75
; %bb.3195:                             ;   in Loop: Header=BB2_3185 Depth=3
	s_xor_b32 s17, exec_lo, -1
; %bb.3196:                             ;   in Loop: Header=BB2_3185 Depth=3
	s_or_b32 exec_lo, exec_lo, s23
	s_and_b32 s17, s17, exec_lo
	s_or_saveexec_b32 s22, s22
	v_mov_b32_e32 v63, 0x7f800001
	s_xor_b32 exec_lo, exec_lo, s22
	s_cbranch_execnz .LBB2_3741
.LBB2_3197:                             ;   in Loop: Header=BB2_3185 Depth=3
	s_or_b32 exec_lo, exec_lo, s22
	s_and_saveexec_b32 s22, s17
	s_cbranch_execz .LBB2_3199
.LBB2_3198:                             ;   in Loop: Header=BB2_3185 Depth=3
	v_and_b32_e32 v63, 3, v8
	v_bfe_u32 v74, v8, 2, 5
	v_lshlrev_b32_e32 v75, 24, v8
	v_ffbh_u32_e32 v72, v63
	v_cmp_eq_u32_e32 vcc_lo, 0, v74
	v_min_u32_e32 v72, 32, v72
	v_subrev_nc_u32_e32 v73, 29, v72
	v_sub_nc_u32_e32 v72, 30, v72
	v_lshlrev_b32_e32 v73, v73, v8
	v_cndmask_b32_e32 v72, v74, v72, vcc_lo
	v_and_b32_e32 v73, 3, v73
	v_lshl_add_u32 v72, v72, 23, 0x37800000
	v_cndmask_b32_e32 v63, v63, v73, vcc_lo
	v_and_b32_e32 v73, 0x80000000, v75
	v_lshlrev_b32_e32 v63, 21, v63
	v_or3_b32 v63, v73, v72, v63
.LBB2_3199:                             ;   in Loop: Header=BB2_3185 Depth=3
	s_or_b32 exec_lo, exec_lo, s22
	v_mul_f32_e32 v72, s18, v63
	v_and_b32_e32 v63, 0x7f800000, v72
	v_cmp_ne_u32_e32 vcc_lo, 0x7f800000, v63
	v_mov_b32_e32 v63, 0x80
	s_and_saveexec_b32 s22, vcc_lo
	s_cbranch_execz .LBB2_3207
; %bb.3200:                             ;   in Loop: Header=BB2_3185 Depth=3
	v_mov_b32_e32 v63, 0
	s_mov_b32 s23, exec_lo
	v_cmpx_ne_u32_e32 0, v72
	s_cbranch_execz .LBB2_3206
; %bb.3201:                             ;   in Loop: Header=BB2_3185 Depth=3
	v_bfe_u32 v63, v72, 23, 8
	v_and_b32_e32 v73, 0x7fffff, v72
	v_sub_nc_u32_e32 v74, 0x70, v63
	v_cmp_gt_u32_e32 vcc_lo, 0x71, v63
	v_or_b32_e32 v75, 0x800000, v73
	v_cndmask_b32_e32 v74, 0, v74, vcc_lo
	v_cmp_eq_u32_e32 vcc_lo, 0, v63
	v_add_nc_u32_e32 v63, 0xffffff91, v63
	v_cndmask_b32_e64 v74, v74, 0x6f, vcc_lo
	v_cndmask_b32_e32 v73, v75, v73, vcc_lo
	v_cndmask_b32_e64 v63, v63, 0xffffff92, vcc_lo
	v_lshl_add_u32 v75, 0x200000, v74, -1
	v_lshrrev_b32_e32 v76, v74, v73
	v_lshlrev_b32_e64 v78, v74, 0x100000
	v_add_nc_u32_e32 v74, v74, v63
	v_and_b32_e32 v73, v75, v73
	v_bfe_u32 v77, v76, 21, 1
	v_cmp_eq_u32_e64 s17, v73, v78
	v_add_nc_u32_e32 v75, -1, v77
	v_cndmask_b32_e64 v73, 0, v75, s17
	v_lshrrev_b32_e32 v75, 23, v76
	s_mov_b32 s17, exec_lo
	v_add_nc_u32_e32 v73, v73, v76
	v_xor_b32_e32 v75, 1, v75
	v_and_b32_e32 v63, 0x1fffff, v73
	v_add_nc_u32_e32 v73, v63, v76
                                        ; implicit-def: $vgpr63
	v_cmpx_ne_u32_e64 v74, v75
	s_xor_b32 s17, exec_lo, s17
; %bb.3202:                             ;   in Loop: Header=BB2_3185 Depth=3
	v_cmp_lt_u32_e32 vcc_lo, 0xffffff, v73
	v_sub_nc_u32_e32 v63, v74, v75
	v_cndmask_b32_e64 v74, 0, 1, vcc_lo
	v_add_co_ci_u32_e64 v63, null, 0, v63, vcc_lo
	v_lshrrev_b32_e32 v73, v74, v73
; %bb.3203:                             ;   in Loop: Header=BB2_3185 Depth=3
	s_andn2_saveexec_b32 s17, s17
; %bb.3204:                             ;   in Loop: Header=BB2_3185 Depth=3
	v_bfe_u32 v63, v73, 23, 1
; %bb.3205:                             ;   in Loop: Header=BB2_3185 Depth=3
	s_or_b32 exec_lo, exec_lo, s17
	v_lshrrev_b32_e32 v73, 21, v73
	v_min_i32_e32 v74, 31, v63
	v_cmp_gt_i32_e32 vcc_lo, 32, v63
	v_and_b32_sdwa v72, v72, v98 dst_sel:DWORD dst_unused:UNUSED_PAD src0_sel:BYTE_3 src1_sel:DWORD
	v_lshlrev_b32_e32 v74, 2, v74
	v_cndmask_b32_e32 v73, 3, v73, vcc_lo
	v_and_b32_e32 v74, 0xfc, v74
	v_and_b32_e32 v75, 3, v73
	v_or_b32_e32 v63, v63, v73
	v_or3_b32 v72, v74, v72, v75
	v_cmp_ne_u32_e32 vcc_lo, 0, v63
	v_cndmask_b32_e32 v63, 0, v72, vcc_lo
.LBB2_3206:                             ;   in Loop: Header=BB2_3185 Depth=3
	s_or_b32 exec_lo, exec_lo, s23
.LBB2_3207:                             ;   in Loop: Header=BB2_3185 Depth=3
	s_or_b32 exec_lo, exec_lo, s22
	v_cmp_gt_i16_sdwa s22, v8, v97 src0_sel:BYTE_1 src1_sel:DWORD
	s_mov_b32 s17, 0
	s_and_saveexec_b32 s23, s22
	s_xor_b32 s22, exec_lo, s23
	s_cbranch_execz .LBB2_3742
; %bb.3208:                             ;   in Loop: Header=BB2_3185 Depth=3
	v_cmp_eq_u16_sdwa s75, v8, v98 src0_sel:BYTE_1 src1_sel:DWORD
	s_mov_b32 s17, -1
	s_and_saveexec_b32 s23, s75
; %bb.3209:                             ;   in Loop: Header=BB2_3185 Depth=3
	s_xor_b32 s17, exec_lo, -1
; %bb.3210:                             ;   in Loop: Header=BB2_3185 Depth=3
	s_or_b32 exec_lo, exec_lo, s23
	s_and_b32 s17, s17, exec_lo
	s_or_saveexec_b32 s22, s22
	v_mov_b32_e32 v72, 0x7f800001
	s_xor_b32 exec_lo, exec_lo, s22
	s_cbranch_execnz .LBB2_3743
.LBB2_3211:                             ;   in Loop: Header=BB2_3185 Depth=3
	s_or_b32 exec_lo, exec_lo, s22
	s_and_saveexec_b32 s22, s17
	s_cbranch_execz .LBB2_3213
.LBB2_3212:                             ;   in Loop: Header=BB2_3185 Depth=3
	v_and_b32_sdwa v72, v99, v8 dst_sel:DWORD dst_unused:UNUSED_PAD src0_sel:DWORD src1_sel:BYTE_1
	v_and_b32_e32 v73, 3, v72
	v_bfe_u32 v76, v72, 2, 5
	v_ffbh_u32_e32 v74, v73
	v_cmp_eq_u32_e32 vcc_lo, 0, v76
	v_min_u32_e32 v74, 32, v74
	v_subrev_nc_u32_e32 v75, 29, v74
	v_sub_nc_u32_e32 v74, 30, v74
	v_lshlrev_b32_e32 v72, v75, v72
	v_lshlrev_b32_sdwa v75, v100, v8 dst_sel:DWORD dst_unused:UNUSED_PAD src0_sel:DWORD src1_sel:BYTE_1
	v_cndmask_b32_e32 v74, v76, v74, vcc_lo
	v_and_b32_e32 v72, 3, v72
	v_lshl_add_u32 v74, v74, 23, 0x37800000
	v_cndmask_b32_e32 v72, v73, v72, vcc_lo
	v_and_b32_e32 v73, 0x80000000, v75
	v_lshlrev_b32_e32 v72, 21, v72
	v_or3_b32 v72, v73, v74, v72
.LBB2_3213:                             ;   in Loop: Header=BB2_3185 Depth=3
	s_or_b32 exec_lo, exec_lo, s22
	v_mul_f32_e32 v72, s18, v72
	v_mov_b32_e32 v74, 0x8000
	s_mov_b32 s22, exec_lo
	v_and_b32_e32 v73, 0x7f800000, v72
	v_cmpx_ne_u32_e32 0x7f800000, v73
	s_cbranch_execz .LBB2_3221
; %bb.3214:                             ;   in Loop: Header=BB2_3185 Depth=3
	v_mov_b32_e32 v74, 0
	s_mov_b32 s23, exec_lo
	v_cmpx_ne_u32_e32 0, v72
	s_cbranch_execz .LBB2_3220
; %bb.3215:                             ;   in Loop: Header=BB2_3185 Depth=3
	v_bfe_u32 v73, v72, 23, 8
	v_and_b32_e32 v74, 0x7fffff, v72
	v_sub_nc_u32_e32 v75, 0x70, v73
	v_cmp_gt_u32_e32 vcc_lo, 0x71, v73
	v_or_b32_e32 v76, 0x800000, v74
	v_cndmask_b32_e32 v75, 0, v75, vcc_lo
	v_cmp_eq_u32_e32 vcc_lo, 0, v73
	v_add_nc_u32_e32 v73, 0xffffff91, v73
	v_cndmask_b32_e64 v75, v75, 0x6f, vcc_lo
	v_cndmask_b32_e32 v74, v76, v74, vcc_lo
	v_cndmask_b32_e64 v73, v73, 0xffffff92, vcc_lo
	v_lshl_add_u32 v76, 0x200000, v75, -1
	v_lshrrev_b32_e32 v77, v75, v74
	v_lshlrev_b32_e64 v79, v75, 0x100000
	v_add_nc_u32_e32 v75, v75, v73
	v_and_b32_e32 v74, v76, v74
	v_bfe_u32 v78, v77, 21, 1
	v_cmp_eq_u32_e64 s17, v74, v79
	v_add_nc_u32_e32 v76, -1, v78
	v_cndmask_b32_e64 v74, 0, v76, s17
	v_lshrrev_b32_e32 v76, 23, v77
	s_mov_b32 s17, exec_lo
	v_add_nc_u32_e32 v74, v74, v77
	v_xor_b32_e32 v76, 1, v76
	v_and_b32_e32 v73, 0x1fffff, v74
	v_add_nc_u32_e32 v74, v73, v77
                                        ; implicit-def: $vgpr73
	v_cmpx_ne_u32_e64 v75, v76
	s_xor_b32 s17, exec_lo, s17
; %bb.3216:                             ;   in Loop: Header=BB2_3185 Depth=3
	v_cmp_lt_u32_e32 vcc_lo, 0xffffff, v74
	v_sub_nc_u32_e32 v73, v75, v76
	v_cndmask_b32_e64 v75, 0, 1, vcc_lo
	v_add_co_ci_u32_e64 v73, null, 0, v73, vcc_lo
	v_lshrrev_b32_e32 v74, v75, v74
; %bb.3217:                             ;   in Loop: Header=BB2_3185 Depth=3
	s_andn2_saveexec_b32 s17, s17
; %bb.3218:                             ;   in Loop: Header=BB2_3185 Depth=3
	v_bfe_u32 v73, v74, 23, 1
; %bb.3219:                             ;   in Loop: Header=BB2_3185 Depth=3
	s_or_b32 exec_lo, exec_lo, s17
	v_lshrrev_b32_e32 v74, 21, v74
	v_min_i32_e32 v75, 31, v73
	v_cmp_gt_i32_e32 vcc_lo, 32, v73
	v_and_b32_sdwa v72, v72, v98 dst_sel:DWORD dst_unused:UNUSED_PAD src0_sel:BYTE_3 src1_sel:DWORD
	v_lshlrev_b32_e32 v75, 2, v75
	v_cndmask_b32_e32 v74, 3, v74, vcc_lo
	v_and_b32_e32 v75, 0xfc, v75
	v_and_b32_e32 v76, 3, v74
	v_or_b32_e32 v73, v73, v74
	v_or3_b32 v72, v72, v75, v76
	v_cmp_ne_u32_e32 vcc_lo, 0, v73
	v_lshlrev_b32_e32 v72, 8, v72
	v_cndmask_b32_e32 v74, 0, v72, vcc_lo
.LBB2_3220:                             ;   in Loop: Header=BB2_3185 Depth=3
	s_or_b32 exec_lo, exec_lo, s23
.LBB2_3221:                             ;   in Loop: Header=BB2_3185 Depth=3
	s_or_b32 exec_lo, exec_lo, s22
	v_and_b32_sdwa v73, v8, v101 dst_sel:DWORD dst_unused:UNUSED_PAD src0_sel:WORD_1 src1_sel:DWORD
	s_mov_b32 s17, 0
	s_mov_b32 s22, exec_lo
	v_cmpx_lt_i16_e32 0x7f, v73
	s_xor_b32 s22, exec_lo, s22
	s_cbranch_execz .LBB2_3744
; %bb.3222:                             ;   in Loop: Header=BB2_3185 Depth=3
	s_mov_b32 s17, -1
	s_mov_b32 s23, exec_lo
	v_cmpx_eq_u16_e32 0x80, v73
; %bb.3223:                             ;   in Loop: Header=BB2_3185 Depth=3
	s_xor_b32 s17, exec_lo, -1
; %bb.3224:                             ;   in Loop: Header=BB2_3185 Depth=3
	s_or_b32 exec_lo, exec_lo, s23
	s_and_b32 s17, s17, exec_lo
                                        ; implicit-def: $vgpr73
	s_or_saveexec_b32 s22, s22
	v_mov_b32_e32 v72, 0x7f800001
	s_xor_b32 exec_lo, exec_lo, s22
	s_cbranch_execnz .LBB2_3745
.LBB2_3225:                             ;   in Loop: Header=BB2_3185 Depth=3
	s_or_b32 exec_lo, exec_lo, s22
	s_and_saveexec_b32 s22, s17
	s_cbranch_execz .LBB2_3227
.LBB2_3226:                             ;   in Loop: Header=BB2_3185 Depth=3
	v_bfe_u32 v72, v8, 16, 2
	v_bfe_u32 v76, v8, 18, 5
	v_lshlrev_b32_e32 v77, 8, v8
	v_ffbh_u32_e32 v73, v72
	v_cmp_eq_u32_e32 vcc_lo, 0, v76
	v_min_u32_e32 v73, 32, v73
	v_subrev_nc_u32_e32 v75, 29, v73
	v_sub_nc_u32_e32 v73, 30, v73
	v_lshlrev_b32_sdwa v75, v75, v8 dst_sel:DWORD dst_unused:UNUSED_PAD src0_sel:DWORD src1_sel:WORD_1
	v_cndmask_b32_e32 v73, v76, v73, vcc_lo
	v_and_b32_e32 v75, 3, v75
	v_lshl_add_u32 v73, v73, 23, 0x37800000
	v_cndmask_b32_e32 v72, v72, v75, vcc_lo
	v_and_b32_e32 v75, 0x80000000, v77
	v_lshlrev_b32_e32 v72, 21, v72
	v_or3_b32 v72, v75, v73, v72
.LBB2_3227:                             ;   in Loop: Header=BB2_3185 Depth=3
	s_or_b32 exec_lo, exec_lo, s22
	v_mul_f32_e32 v72, s18, v72
	v_mov_b32_e32 v79, 0x80
	s_mov_b32 s22, exec_lo
	v_and_b32_e32 v73, 0x7f800000, v72
	v_cmpx_ne_u32_e32 0x7f800000, v73
	s_cbranch_execz .LBB2_3235
; %bb.3228:                             ;   in Loop: Header=BB2_3185 Depth=3
	v_mov_b32_e32 v79, 0
	s_mov_b32 s23, exec_lo
	v_cmpx_ne_u32_e32 0, v72
	s_cbranch_execz .LBB2_3234
; %bb.3229:                             ;   in Loop: Header=BB2_3185 Depth=3
	v_bfe_u32 v73, v72, 23, 8
	v_and_b32_e32 v75, 0x7fffff, v72
	v_sub_nc_u32_e32 v76, 0x70, v73
	v_cmp_gt_u32_e32 vcc_lo, 0x71, v73
	v_or_b32_e32 v77, 0x800000, v75
	v_cndmask_b32_e32 v76, 0, v76, vcc_lo
	v_cmp_eq_u32_e32 vcc_lo, 0, v73
	v_add_nc_u32_e32 v73, 0xffffff91, v73
	v_cndmask_b32_e64 v76, v76, 0x6f, vcc_lo
	v_cndmask_b32_e32 v75, v77, v75, vcc_lo
	v_cndmask_b32_e64 v73, v73, 0xffffff92, vcc_lo
	v_lshl_add_u32 v77, 0x200000, v76, -1
	v_lshrrev_b32_e32 v78, v76, v75
	v_lshlrev_b32_e64 v88, v76, 0x100000
	v_add_nc_u32_e32 v76, v76, v73
	v_and_b32_e32 v75, v77, v75
	v_bfe_u32 v79, v78, 21, 1
	v_cmp_eq_u32_e64 s17, v75, v88
	v_add_nc_u32_e32 v77, -1, v79
	v_cndmask_b32_e64 v75, 0, v77, s17
	v_lshrrev_b32_e32 v77, 23, v78
	s_mov_b32 s17, exec_lo
	v_add_nc_u32_e32 v75, v75, v78
	v_xor_b32_e32 v77, 1, v77
	v_and_b32_e32 v73, 0x1fffff, v75
	v_add_nc_u32_e32 v75, v73, v78
                                        ; implicit-def: $vgpr73
	v_cmpx_ne_u32_e64 v76, v77
	s_xor_b32 s17, exec_lo, s17
; %bb.3230:                             ;   in Loop: Header=BB2_3185 Depth=3
	v_cmp_lt_u32_e32 vcc_lo, 0xffffff, v75
	v_sub_nc_u32_e32 v73, v76, v77
	v_cndmask_b32_e64 v76, 0, 1, vcc_lo
	v_add_co_ci_u32_e64 v73, null, 0, v73, vcc_lo
	v_lshrrev_b32_e32 v75, v76, v75
; %bb.3231:                             ;   in Loop: Header=BB2_3185 Depth=3
	s_andn2_saveexec_b32 s17, s17
; %bb.3232:                             ;   in Loop: Header=BB2_3185 Depth=3
	v_bfe_u32 v73, v75, 23, 1
; %bb.3233:                             ;   in Loop: Header=BB2_3185 Depth=3
	s_or_b32 exec_lo, exec_lo, s17
	v_lshrrev_b32_e32 v75, 21, v75
	v_min_i32_e32 v76, 31, v73
	v_cmp_gt_i32_e32 vcc_lo, 32, v73
	v_and_b32_sdwa v72, v72, v98 dst_sel:DWORD dst_unused:UNUSED_PAD src0_sel:BYTE_3 src1_sel:DWORD
	v_lshlrev_b32_e32 v76, 2, v76
	v_cndmask_b32_e32 v75, 3, v75, vcc_lo
	v_and_b32_e32 v76, 0xfc, v76
	v_and_b32_e32 v77, 3, v75
	v_or_b32_e32 v73, v73, v75
	v_or3_b32 v72, v76, v72, v77
	v_cmp_ne_u32_e32 vcc_lo, 0, v73
	v_cndmask_b32_e32 v79, 0, v72, vcc_lo
.LBB2_3234:                             ;   in Loop: Header=BB2_3185 Depth=3
	s_or_b32 exec_lo, exec_lo, s23
.LBB2_3235:                             ;   in Loop: Header=BB2_3185 Depth=3
	s_or_b32 exec_lo, exec_lo, s22
	v_cmp_gt_i16_sdwa s22, v8, v97 src0_sel:BYTE_3 src1_sel:DWORD
	s_mov_b32 s17, 0
	s_and_saveexec_b32 s23, s22
	s_xor_b32 s22, exec_lo, s23
	s_cbranch_execz .LBB2_3746
; %bb.3236:                             ;   in Loop: Header=BB2_3185 Depth=3
	v_cmp_eq_u16_sdwa s75, v8, v98 src0_sel:BYTE_3 src1_sel:DWORD
	s_mov_b32 s17, -1
	s_and_saveexec_b32 s23, s75
; %bb.3237:                             ;   in Loop: Header=BB2_3185 Depth=3
	s_xor_b32 s17, exec_lo, -1
; %bb.3238:                             ;   in Loop: Header=BB2_3185 Depth=3
	s_or_b32 exec_lo, exec_lo, s23
	s_and_b32 s17, s17, exec_lo
	s_or_saveexec_b32 s22, s22
	v_mov_b32_e32 v72, 0x7f800001
	s_xor_b32 exec_lo, exec_lo, s22
	s_cbranch_execnz .LBB2_3747
.LBB2_3239:                             ;   in Loop: Header=BB2_3185 Depth=3
	s_or_b32 exec_lo, exec_lo, s22
	s_and_saveexec_b32 s22, s17
	s_cbranch_execz .LBB2_3241
.LBB2_3240:                             ;   in Loop: Header=BB2_3185 Depth=3
	v_bfe_u32 v72, v8, 24, 2
	v_bfe_u32 v76, v8, 26, 5
	v_ffbh_u32_e32 v73, v72
	v_cmp_eq_u32_e32 vcc_lo, 0, v76
	v_min_u32_e32 v73, 32, v73
	v_subrev_nc_u32_e32 v75, 29, v73
	v_sub_nc_u32_e32 v73, 30, v73
	v_lshlrev_b32_sdwa v75, v75, v8 dst_sel:DWORD dst_unused:UNUSED_PAD src0_sel:DWORD src1_sel:BYTE_3
	v_cndmask_b32_e32 v73, v76, v73, vcc_lo
	v_and_b32_e32 v8, 0x80000000, v8
	v_and_b32_e32 v75, 3, v75
	v_lshl_add_u32 v73, v73, 23, 0x37800000
	v_cndmask_b32_e32 v72, v72, v75, vcc_lo
	v_lshlrev_b32_e32 v72, 21, v72
	v_or3_b32 v72, v8, v73, v72
.LBB2_3241:                             ;   in Loop: Header=BB2_3185 Depth=3
	s_or_b32 exec_lo, exec_lo, s22
	v_mul_f32_e32 v8, s18, v72
	v_mov_b32_e32 v94, 0x8000
	s_mov_b32 s22, exec_lo
	v_and_b32_e32 v72, 0x7f800000, v8
	v_cmpx_ne_u32_e32 0x7f800000, v72
	s_cbranch_execz .LBB2_3249
; %bb.3242:                             ;   in Loop: Header=BB2_3185 Depth=3
	v_mov_b32_e32 v94, 0
	s_mov_b32 s23, exec_lo
	v_cmpx_ne_u32_e32 0, v8
	s_cbranch_execz .LBB2_3248
; %bb.3243:                             ;   in Loop: Header=BB2_3185 Depth=3
	v_bfe_u32 v72, v8, 23, 8
	v_and_b32_e32 v73, 0x7fffff, v8
	v_sub_nc_u32_e32 v75, 0x70, v72
	v_cmp_gt_u32_e32 vcc_lo, 0x71, v72
	v_or_b32_e32 v76, 0x800000, v73
	v_cndmask_b32_e32 v75, 0, v75, vcc_lo
	v_cmp_eq_u32_e32 vcc_lo, 0, v72
	v_add_nc_u32_e32 v72, 0xffffff91, v72
	v_cndmask_b32_e64 v75, v75, 0x6f, vcc_lo
	v_cndmask_b32_e32 v73, v76, v73, vcc_lo
	v_cndmask_b32_e64 v72, v72, 0xffffff92, vcc_lo
	v_lshl_add_u32 v76, 0x200000, v75, -1
	v_lshrrev_b32_e32 v77, v75, v73
	v_lshlrev_b32_e64 v88, v75, 0x100000
	v_add_nc_u32_e32 v75, v75, v72
	v_and_b32_e32 v73, v76, v73
	v_bfe_u32 v78, v77, 21, 1
	v_cmp_eq_u32_e64 s17, v73, v88
	v_add_nc_u32_e32 v76, -1, v78
	v_cndmask_b32_e64 v73, 0, v76, s17
	v_lshrrev_b32_e32 v76, 23, v77
	s_mov_b32 s17, exec_lo
	v_add_nc_u32_e32 v73, v73, v77
	v_xor_b32_e32 v76, 1, v76
	v_and_b32_e32 v72, 0x1fffff, v73
	v_add_nc_u32_e32 v73, v72, v77
                                        ; implicit-def: $vgpr72
	v_cmpx_ne_u32_e64 v75, v76
	s_xor_b32 s17, exec_lo, s17
; %bb.3244:                             ;   in Loop: Header=BB2_3185 Depth=3
	v_cmp_lt_u32_e32 vcc_lo, 0xffffff, v73
	v_sub_nc_u32_e32 v72, v75, v76
	v_cndmask_b32_e64 v75, 0, 1, vcc_lo
	v_add_co_ci_u32_e64 v72, null, 0, v72, vcc_lo
	v_lshrrev_b32_e32 v73, v75, v73
; %bb.3245:                             ;   in Loop: Header=BB2_3185 Depth=3
	s_andn2_saveexec_b32 s17, s17
; %bb.3246:                             ;   in Loop: Header=BB2_3185 Depth=3
	v_bfe_u32 v72, v73, 23, 1
; %bb.3247:                             ;   in Loop: Header=BB2_3185 Depth=3
	s_or_b32 exec_lo, exec_lo, s17
	v_lshrrev_b32_e32 v73, 21, v73
	v_min_i32_e32 v75, 31, v72
	v_cmp_gt_i32_e32 vcc_lo, 32, v72
	v_and_b32_sdwa v8, v8, v98 dst_sel:DWORD dst_unused:UNUSED_PAD src0_sel:BYTE_3 src1_sel:DWORD
	v_lshlrev_b32_e32 v75, 2, v75
	v_cndmask_b32_e32 v73, 3, v73, vcc_lo
	v_and_b32_e32 v75, 0xfc, v75
	v_and_b32_e32 v76, 3, v73
	v_or_b32_e32 v72, v72, v73
	v_or3_b32 v8, v8, v75, v76
	v_cmp_ne_u32_e32 vcc_lo, 0, v72
	v_lshlrev_b32_e32 v8, 8, v8
	v_cndmask_b32_e32 v94, 0, v8, vcc_lo
.LBB2_3248:                             ;   in Loop: Header=BB2_3185 Depth=3
	s_or_b32 exec_lo, exec_lo, s23
.LBB2_3249:                             ;   in Loop: Header=BB2_3185 Depth=3
	s_or_b32 exec_lo, exec_lo, s22
	v_cmp_gt_i16_sdwa s22, v9, v97 src0_sel:BYTE_0 src1_sel:DWORD
	s_mov_b32 s17, 0
	s_and_saveexec_b32 s23, s22
	s_xor_b32 s22, exec_lo, s23
	s_cbranch_execz .LBB2_3748
; %bb.3250:                             ;   in Loop: Header=BB2_3185 Depth=3
	v_cmp_eq_u16_sdwa s75, v9, v98 src0_sel:BYTE_0 src1_sel:DWORD
	s_mov_b32 s17, -1
	s_and_saveexec_b32 s23, s75
; %bb.3251:                             ;   in Loop: Header=BB2_3185 Depth=3
	s_xor_b32 s17, exec_lo, -1
; %bb.3252:                             ;   in Loop: Header=BB2_3185 Depth=3
	s_or_b32 exec_lo, exec_lo, s23
	s_and_b32 s17, s17, exec_lo
	s_or_saveexec_b32 s22, s22
	v_mov_b32_e32 v8, 0x7f800001
	s_xor_b32 exec_lo, exec_lo, s22
	s_cbranch_execnz .LBB2_3749
.LBB2_3253:                             ;   in Loop: Header=BB2_3185 Depth=3
	s_or_b32 exec_lo, exec_lo, s22
	s_and_saveexec_b32 s22, s17
	s_cbranch_execz .LBB2_3255
.LBB2_3254:                             ;   in Loop: Header=BB2_3185 Depth=3
	v_and_b32_e32 v8, 3, v9
	v_bfe_u32 v75, v9, 2, 5
	v_lshlrev_b32_e32 v76, 24, v9
	v_ffbh_u32_e32 v72, v8
	v_cmp_eq_u32_e32 vcc_lo, 0, v75
	v_min_u32_e32 v72, 32, v72
	v_subrev_nc_u32_e32 v73, 29, v72
	v_sub_nc_u32_e32 v72, 30, v72
	v_lshlrev_b32_e32 v73, v73, v9
	v_cndmask_b32_e32 v72, v75, v72, vcc_lo
	v_and_b32_e32 v73, 3, v73
	v_lshl_add_u32 v72, v72, 23, 0x37800000
	v_cndmask_b32_e32 v8, v8, v73, vcc_lo
	v_and_b32_e32 v73, 0x80000000, v76
	v_lshlrev_b32_e32 v8, 21, v8
	v_or3_b32 v8, v73, v72, v8
.LBB2_3255:                             ;   in Loop: Header=BB2_3185 Depth=3
	s_or_b32 exec_lo, exec_lo, s22
	v_mul_f32_e32 v8, s18, v8
	v_mov_b32_e32 v91, 0x80
	s_mov_b32 s22, exec_lo
	v_and_b32_e32 v72, 0x7f800000, v8
	v_cmpx_ne_u32_e32 0x7f800000, v72
	s_cbranch_execz .LBB2_3263
; %bb.3256:                             ;   in Loop: Header=BB2_3185 Depth=3
	v_mov_b32_e32 v91, 0
	s_mov_b32 s23, exec_lo
	v_cmpx_ne_u32_e32 0, v8
	s_cbranch_execz .LBB2_3262
; %bb.3257:                             ;   in Loop: Header=BB2_3185 Depth=3
	v_bfe_u32 v72, v8, 23, 8
	v_and_b32_e32 v73, 0x7fffff, v8
	v_sub_nc_u32_e32 v75, 0x70, v72
	v_cmp_gt_u32_e32 vcc_lo, 0x71, v72
	v_or_b32_e32 v76, 0x800000, v73
	v_cndmask_b32_e32 v75, 0, v75, vcc_lo
	v_cmp_eq_u32_e32 vcc_lo, 0, v72
	v_add_nc_u32_e32 v72, 0xffffff91, v72
	v_cndmask_b32_e64 v75, v75, 0x6f, vcc_lo
	v_cndmask_b32_e32 v73, v76, v73, vcc_lo
	v_cndmask_b32_e64 v72, v72, 0xffffff92, vcc_lo
	v_lshl_add_u32 v76, 0x200000, v75, -1
	v_lshrrev_b32_e32 v77, v75, v73
	v_lshlrev_b32_e64 v88, v75, 0x100000
	v_add_nc_u32_e32 v75, v75, v72
	v_and_b32_e32 v73, v76, v73
	v_bfe_u32 v78, v77, 21, 1
	v_cmp_eq_u32_e64 s17, v73, v88
	v_add_nc_u32_e32 v76, -1, v78
	v_cndmask_b32_e64 v73, 0, v76, s17
	v_lshrrev_b32_e32 v76, 23, v77
	s_mov_b32 s17, exec_lo
	v_add_nc_u32_e32 v73, v73, v77
	v_xor_b32_e32 v76, 1, v76
	v_and_b32_e32 v72, 0x1fffff, v73
	v_add_nc_u32_e32 v73, v72, v77
                                        ; implicit-def: $vgpr72
	v_cmpx_ne_u32_e64 v75, v76
	s_xor_b32 s17, exec_lo, s17
; %bb.3258:                             ;   in Loop: Header=BB2_3185 Depth=3
	v_cmp_lt_u32_e32 vcc_lo, 0xffffff, v73
	v_sub_nc_u32_e32 v72, v75, v76
	v_cndmask_b32_e64 v75, 0, 1, vcc_lo
	v_add_co_ci_u32_e64 v72, null, 0, v72, vcc_lo
	v_lshrrev_b32_e32 v73, v75, v73
; %bb.3259:                             ;   in Loop: Header=BB2_3185 Depth=3
	s_andn2_saveexec_b32 s17, s17
; %bb.3260:                             ;   in Loop: Header=BB2_3185 Depth=3
	v_bfe_u32 v72, v73, 23, 1
; %bb.3261:                             ;   in Loop: Header=BB2_3185 Depth=3
	s_or_b32 exec_lo, exec_lo, s17
	v_lshrrev_b32_e32 v73, 21, v73
	v_min_i32_e32 v75, 31, v72
	v_cmp_gt_i32_e32 vcc_lo, 32, v72
	v_and_b32_sdwa v8, v8, v98 dst_sel:DWORD dst_unused:UNUSED_PAD src0_sel:BYTE_3 src1_sel:DWORD
	v_lshlrev_b32_e32 v75, 2, v75
	v_cndmask_b32_e32 v73, 3, v73, vcc_lo
	v_and_b32_e32 v75, 0xfc, v75
	v_and_b32_e32 v76, 3, v73
	v_or_b32_e32 v72, v72, v73
	v_or3_b32 v8, v75, v8, v76
	v_cmp_ne_u32_e32 vcc_lo, 0, v72
	v_cndmask_b32_e32 v91, 0, v8, vcc_lo
.LBB2_3262:                             ;   in Loop: Header=BB2_3185 Depth=3
	s_or_b32 exec_lo, exec_lo, s23
.LBB2_3263:                             ;   in Loop: Header=BB2_3185 Depth=3
	s_or_b32 exec_lo, exec_lo, s22
	v_cmp_gt_i16_sdwa s22, v9, v97 src0_sel:BYTE_1 src1_sel:DWORD
	s_mov_b32 s17, 0
	s_and_saveexec_b32 s23, s22
	s_xor_b32 s22, exec_lo, s23
	s_cbranch_execz .LBB2_3750
; %bb.3264:                             ;   in Loop: Header=BB2_3185 Depth=3
	v_cmp_eq_u16_sdwa s75, v9, v98 src0_sel:BYTE_1 src1_sel:DWORD
	s_mov_b32 s17, -1
	s_and_saveexec_b32 s23, s75
; %bb.3265:                             ;   in Loop: Header=BB2_3185 Depth=3
	s_xor_b32 s17, exec_lo, -1
; %bb.3266:                             ;   in Loop: Header=BB2_3185 Depth=3
	s_or_b32 exec_lo, exec_lo, s23
	s_and_b32 s17, s17, exec_lo
	s_or_saveexec_b32 s22, s22
	v_mov_b32_e32 v8, 0x7f800001
	s_xor_b32 exec_lo, exec_lo, s22
	s_cbranch_execnz .LBB2_3751
.LBB2_3267:                             ;   in Loop: Header=BB2_3185 Depth=3
	s_or_b32 exec_lo, exec_lo, s22
	s_and_saveexec_b32 s22, s17
	s_cbranch_execz .LBB2_3269
.LBB2_3268:                             ;   in Loop: Header=BB2_3185 Depth=3
	v_and_b32_sdwa v8, v99, v9 dst_sel:DWORD dst_unused:UNUSED_PAD src0_sel:DWORD src1_sel:BYTE_1
	v_and_b32_e32 v72, 3, v8
	v_bfe_u32 v76, v8, 2, 5
	v_ffbh_u32_e32 v73, v72
	v_cmp_eq_u32_e32 vcc_lo, 0, v76
	v_min_u32_e32 v73, 32, v73
	v_subrev_nc_u32_e32 v75, 29, v73
	v_sub_nc_u32_e32 v73, 30, v73
	v_lshlrev_b32_e32 v8, v75, v8
	v_lshlrev_b32_sdwa v75, v100, v9 dst_sel:DWORD dst_unused:UNUSED_PAD src0_sel:DWORD src1_sel:BYTE_1
	v_cndmask_b32_e32 v73, v76, v73, vcc_lo
	v_and_b32_e32 v8, 3, v8
	v_lshl_add_u32 v73, v73, 23, 0x37800000
	v_cndmask_b32_e32 v8, v72, v8, vcc_lo
	v_and_b32_e32 v72, 0x80000000, v75
	v_lshlrev_b32_e32 v8, 21, v8
	v_or3_b32 v8, v72, v73, v8
.LBB2_3269:                             ;   in Loop: Header=BB2_3185 Depth=3
	s_or_b32 exec_lo, exec_lo, s22
	v_mul_f32_e32 v8, s18, v8
	v_mov_b32_e32 v93, 0x8000
	s_mov_b32 s22, exec_lo
	v_and_b32_e32 v72, 0x7f800000, v8
	v_cmpx_ne_u32_e32 0x7f800000, v72
	s_cbranch_execz .LBB2_3277
; %bb.3270:                             ;   in Loop: Header=BB2_3185 Depth=3
	v_mov_b32_e32 v93, 0
	s_mov_b32 s23, exec_lo
	v_cmpx_ne_u32_e32 0, v8
	s_cbranch_execz .LBB2_3276
; %bb.3271:                             ;   in Loop: Header=BB2_3185 Depth=3
	v_bfe_u32 v72, v8, 23, 8
	v_and_b32_e32 v73, 0x7fffff, v8
	v_sub_nc_u32_e32 v75, 0x70, v72
	v_cmp_gt_u32_e32 vcc_lo, 0x71, v72
	v_or_b32_e32 v76, 0x800000, v73
	v_cndmask_b32_e32 v75, 0, v75, vcc_lo
	v_cmp_eq_u32_e32 vcc_lo, 0, v72
	v_add_nc_u32_e32 v72, 0xffffff91, v72
	v_cndmask_b32_e64 v75, v75, 0x6f, vcc_lo
	v_cndmask_b32_e32 v73, v76, v73, vcc_lo
	v_cndmask_b32_e64 v72, v72, 0xffffff92, vcc_lo
	v_lshl_add_u32 v76, 0x200000, v75, -1
	v_lshrrev_b32_e32 v77, v75, v73
	v_lshlrev_b32_e64 v88, v75, 0x100000
	v_add_nc_u32_e32 v75, v75, v72
	v_and_b32_e32 v73, v76, v73
	v_bfe_u32 v78, v77, 21, 1
	v_cmp_eq_u32_e64 s17, v73, v88
	v_add_nc_u32_e32 v76, -1, v78
	v_cndmask_b32_e64 v73, 0, v76, s17
	v_lshrrev_b32_e32 v76, 23, v77
	s_mov_b32 s17, exec_lo
	v_add_nc_u32_e32 v73, v73, v77
	v_xor_b32_e32 v76, 1, v76
	v_and_b32_e32 v72, 0x1fffff, v73
	v_add_nc_u32_e32 v73, v72, v77
                                        ; implicit-def: $vgpr72
	v_cmpx_ne_u32_e64 v75, v76
	s_xor_b32 s17, exec_lo, s17
; %bb.3272:                             ;   in Loop: Header=BB2_3185 Depth=3
	v_cmp_lt_u32_e32 vcc_lo, 0xffffff, v73
	v_sub_nc_u32_e32 v72, v75, v76
	v_cndmask_b32_e64 v75, 0, 1, vcc_lo
	v_add_co_ci_u32_e64 v72, null, 0, v72, vcc_lo
	v_lshrrev_b32_e32 v73, v75, v73
; %bb.3273:                             ;   in Loop: Header=BB2_3185 Depth=3
	s_andn2_saveexec_b32 s17, s17
; %bb.3274:                             ;   in Loop: Header=BB2_3185 Depth=3
	v_bfe_u32 v72, v73, 23, 1
; %bb.3275:                             ;   in Loop: Header=BB2_3185 Depth=3
	s_or_b32 exec_lo, exec_lo, s17
	v_lshrrev_b32_e32 v73, 21, v73
	v_min_i32_e32 v75, 31, v72
	v_cmp_gt_i32_e32 vcc_lo, 32, v72
	v_and_b32_sdwa v8, v8, v98 dst_sel:DWORD dst_unused:UNUSED_PAD src0_sel:BYTE_3 src1_sel:DWORD
	v_lshlrev_b32_e32 v75, 2, v75
	v_cndmask_b32_e32 v73, 3, v73, vcc_lo
	v_and_b32_e32 v75, 0xfc, v75
	v_and_b32_e32 v76, 3, v73
	v_or_b32_e32 v72, v72, v73
	v_or3_b32 v8, v8, v75, v76
	v_cmp_ne_u32_e32 vcc_lo, 0, v72
	v_lshlrev_b32_e32 v8, 8, v8
	v_cndmask_b32_e32 v93, 0, v8, vcc_lo
.LBB2_3276:                             ;   in Loop: Header=BB2_3185 Depth=3
	s_or_b32 exec_lo, exec_lo, s23
.LBB2_3277:                             ;   in Loop: Header=BB2_3185 Depth=3
	s_or_b32 exec_lo, exec_lo, s22
	v_and_b32_sdwa v72, v9, v101 dst_sel:DWORD dst_unused:UNUSED_PAD src0_sel:WORD_1 src1_sel:DWORD
	s_mov_b32 s17, 0
	s_mov_b32 s22, exec_lo
	v_cmpx_lt_i16_e32 0x7f, v72
	s_xor_b32 s22, exec_lo, s22
	s_cbranch_execz .LBB2_3752
; %bb.3278:                             ;   in Loop: Header=BB2_3185 Depth=3
	s_mov_b32 s17, -1
	s_mov_b32 s23, exec_lo
	v_cmpx_eq_u16_e32 0x80, v72
; %bb.3279:                             ;   in Loop: Header=BB2_3185 Depth=3
	s_xor_b32 s17, exec_lo, -1
; %bb.3280:                             ;   in Loop: Header=BB2_3185 Depth=3
	s_or_b32 exec_lo, exec_lo, s23
	s_and_b32 s17, s17, exec_lo
                                        ; implicit-def: $vgpr72
	s_or_saveexec_b32 s22, s22
	v_mov_b32_e32 v8, 0x7f800001
	s_xor_b32 exec_lo, exec_lo, s22
	s_cbranch_execnz .LBB2_3753
.LBB2_3281:                             ;   in Loop: Header=BB2_3185 Depth=3
	s_or_b32 exec_lo, exec_lo, s22
	s_and_saveexec_b32 s22, s17
	s_cbranch_execz .LBB2_3283
.LBB2_3282:                             ;   in Loop: Header=BB2_3185 Depth=3
	v_bfe_u32 v8, v9, 16, 2
	v_bfe_u32 v75, v9, 18, 5
	v_lshlrev_b32_e32 v76, 8, v9
	v_ffbh_u32_e32 v72, v8
	v_cmp_eq_u32_e32 vcc_lo, 0, v75
	v_min_u32_e32 v72, 32, v72
	v_subrev_nc_u32_e32 v73, 29, v72
	v_sub_nc_u32_e32 v72, 30, v72
	v_lshlrev_b32_sdwa v73, v73, v9 dst_sel:DWORD dst_unused:UNUSED_PAD src0_sel:DWORD src1_sel:WORD_1
	v_cndmask_b32_e32 v72, v75, v72, vcc_lo
	v_and_b32_e32 v73, 3, v73
	v_lshl_add_u32 v72, v72, 23, 0x37800000
	v_cndmask_b32_e32 v8, v8, v73, vcc_lo
	v_and_b32_e32 v73, 0x80000000, v76
	v_lshlrev_b32_e32 v8, 21, v8
	v_or3_b32 v8, v73, v72, v8
.LBB2_3283:                             ;   in Loop: Header=BB2_3185 Depth=3
	s_or_b32 exec_lo, exec_lo, s22
	v_mul_f32_e32 v8, s18, v8
	v_mov_b32_e32 v89, 0x80
	s_mov_b32 s22, exec_lo
	v_and_b32_e32 v72, 0x7f800000, v8
	v_cmpx_ne_u32_e32 0x7f800000, v72
	s_cbranch_execz .LBB2_3291
; %bb.3284:                             ;   in Loop: Header=BB2_3185 Depth=3
	v_mov_b32_e32 v89, 0
	s_mov_b32 s23, exec_lo
	v_cmpx_ne_u32_e32 0, v8
	s_cbranch_execz .LBB2_3290
; %bb.3285:                             ;   in Loop: Header=BB2_3185 Depth=3
	v_bfe_u32 v72, v8, 23, 8
	v_and_b32_e32 v73, 0x7fffff, v8
	v_sub_nc_u32_e32 v75, 0x70, v72
	v_cmp_gt_u32_e32 vcc_lo, 0x71, v72
	v_or_b32_e32 v76, 0x800000, v73
	v_cndmask_b32_e32 v75, 0, v75, vcc_lo
	v_cmp_eq_u32_e32 vcc_lo, 0, v72
	v_add_nc_u32_e32 v72, 0xffffff91, v72
	v_cndmask_b32_e64 v75, v75, 0x6f, vcc_lo
	v_cndmask_b32_e32 v73, v76, v73, vcc_lo
	v_cndmask_b32_e64 v72, v72, 0xffffff92, vcc_lo
	v_lshl_add_u32 v76, 0x200000, v75, -1
	v_lshrrev_b32_e32 v77, v75, v73
	v_lshlrev_b32_e64 v88, v75, 0x100000
	v_add_nc_u32_e32 v75, v75, v72
	v_and_b32_e32 v73, v76, v73
	v_bfe_u32 v78, v77, 21, 1
	v_cmp_eq_u32_e64 s17, v73, v88
	v_add_nc_u32_e32 v76, -1, v78
	v_cndmask_b32_e64 v73, 0, v76, s17
	v_lshrrev_b32_e32 v76, 23, v77
	s_mov_b32 s17, exec_lo
	v_add_nc_u32_e32 v73, v73, v77
	v_xor_b32_e32 v76, 1, v76
	v_and_b32_e32 v72, 0x1fffff, v73
	v_add_nc_u32_e32 v73, v72, v77
                                        ; implicit-def: $vgpr72
	v_cmpx_ne_u32_e64 v75, v76
	s_xor_b32 s17, exec_lo, s17
; %bb.3286:                             ;   in Loop: Header=BB2_3185 Depth=3
	v_cmp_lt_u32_e32 vcc_lo, 0xffffff, v73
	v_sub_nc_u32_e32 v72, v75, v76
	v_cndmask_b32_e64 v75, 0, 1, vcc_lo
	v_add_co_ci_u32_e64 v72, null, 0, v72, vcc_lo
	v_lshrrev_b32_e32 v73, v75, v73
; %bb.3287:                             ;   in Loop: Header=BB2_3185 Depth=3
	s_andn2_saveexec_b32 s17, s17
; %bb.3288:                             ;   in Loop: Header=BB2_3185 Depth=3
	v_bfe_u32 v72, v73, 23, 1
; %bb.3289:                             ;   in Loop: Header=BB2_3185 Depth=3
	s_or_b32 exec_lo, exec_lo, s17
	v_lshrrev_b32_e32 v73, 21, v73
	v_min_i32_e32 v75, 31, v72
	v_cmp_gt_i32_e32 vcc_lo, 32, v72
	v_and_b32_sdwa v8, v8, v98 dst_sel:DWORD dst_unused:UNUSED_PAD src0_sel:BYTE_3 src1_sel:DWORD
	v_lshlrev_b32_e32 v75, 2, v75
	v_cndmask_b32_e32 v73, 3, v73, vcc_lo
	v_and_b32_e32 v75, 0xfc, v75
	v_and_b32_e32 v76, 3, v73
	v_or_b32_e32 v72, v72, v73
	v_or3_b32 v8, v75, v8, v76
	v_cmp_ne_u32_e32 vcc_lo, 0, v72
	v_cndmask_b32_e32 v89, 0, v8, vcc_lo
.LBB2_3290:                             ;   in Loop: Header=BB2_3185 Depth=3
	s_or_b32 exec_lo, exec_lo, s23
.LBB2_3291:                             ;   in Loop: Header=BB2_3185 Depth=3
	s_or_b32 exec_lo, exec_lo, s22
	v_cmp_gt_i16_sdwa s22, v9, v97 src0_sel:BYTE_3 src1_sel:DWORD
	s_mov_b32 s17, 0
	s_and_saveexec_b32 s23, s22
	s_xor_b32 s22, exec_lo, s23
	s_cbranch_execz .LBB2_3754
; %bb.3292:                             ;   in Loop: Header=BB2_3185 Depth=3
	v_cmp_eq_u16_sdwa s75, v9, v98 src0_sel:BYTE_3 src1_sel:DWORD
	s_mov_b32 s17, -1
	s_and_saveexec_b32 s23, s75
; %bb.3293:                             ;   in Loop: Header=BB2_3185 Depth=3
	s_xor_b32 s17, exec_lo, -1
; %bb.3294:                             ;   in Loop: Header=BB2_3185 Depth=3
	s_or_b32 exec_lo, exec_lo, s23
	s_and_b32 s17, s17, exec_lo
	s_or_saveexec_b32 s22, s22
	v_mov_b32_e32 v8, 0x7f800001
	s_xor_b32 exec_lo, exec_lo, s22
	s_cbranch_execnz .LBB2_3755
.LBB2_3295:                             ;   in Loop: Header=BB2_3185 Depth=3
	s_or_b32 exec_lo, exec_lo, s22
	s_and_saveexec_b32 s22, s17
	s_cbranch_execz .LBB2_3297
.LBB2_3296:                             ;   in Loop: Header=BB2_3185 Depth=3
	v_bfe_u32 v8, v9, 24, 2
	v_bfe_u32 v75, v9, 26, 5
	v_ffbh_u32_e32 v72, v8
	v_cmp_eq_u32_e32 vcc_lo, 0, v75
	v_min_u32_e32 v72, 32, v72
	v_subrev_nc_u32_e32 v73, 29, v72
	v_sub_nc_u32_e32 v72, 30, v72
	v_lshlrev_b32_sdwa v73, v73, v9 dst_sel:DWORD dst_unused:UNUSED_PAD src0_sel:DWORD src1_sel:BYTE_3
	v_cndmask_b32_e32 v72, v75, v72, vcc_lo
	v_and_b32_e32 v9, 0x80000000, v9
	v_and_b32_e32 v73, 3, v73
	v_lshl_add_u32 v72, v72, 23, 0x37800000
	v_cndmask_b32_e32 v8, v8, v73, vcc_lo
	v_lshlrev_b32_e32 v8, 21, v8
	v_or3_b32 v8, v9, v72, v8
.LBB2_3297:                             ;   in Loop: Header=BB2_3185 Depth=3
	s_or_b32 exec_lo, exec_lo, s22
	v_mul_f32_e32 v8, s18, v8
	v_mov_b32_e32 v92, 0x8000
	s_mov_b32 s22, exec_lo
	v_and_b32_e32 v9, 0x7f800000, v8
	v_cmpx_ne_u32_e32 0x7f800000, v9
	s_cbranch_execz .LBB2_3305
; %bb.3298:                             ;   in Loop: Header=BB2_3185 Depth=3
	v_mov_b32_e32 v92, 0
	s_mov_b32 s23, exec_lo
	v_cmpx_ne_u32_e32 0, v8
	s_cbranch_execz .LBB2_3304
; %bb.3299:                             ;   in Loop: Header=BB2_3185 Depth=3
	v_bfe_u32 v9, v8, 23, 8
	v_and_b32_e32 v72, 0x7fffff, v8
	v_sub_nc_u32_e32 v73, 0x70, v9
	v_cmp_gt_u32_e32 vcc_lo, 0x71, v9
	v_or_b32_e32 v75, 0x800000, v72
	v_cndmask_b32_e32 v73, 0, v73, vcc_lo
	v_cmp_eq_u32_e32 vcc_lo, 0, v9
	v_add_nc_u32_e32 v9, 0xffffff91, v9
	v_cndmask_b32_e64 v73, v73, 0x6f, vcc_lo
	v_cndmask_b32_e32 v72, v75, v72, vcc_lo
	v_cndmask_b32_e64 v9, v9, 0xffffff92, vcc_lo
	v_lshl_add_u32 v75, 0x200000, v73, -1
	v_lshrrev_b32_e32 v76, v73, v72
	v_lshlrev_b32_e64 v78, v73, 0x100000
	v_add_nc_u32_e32 v73, v73, v9
	v_and_b32_e32 v72, v75, v72
	v_bfe_u32 v77, v76, 21, 1
	v_cmp_eq_u32_e64 s17, v72, v78
	v_add_nc_u32_e32 v75, -1, v77
	v_cndmask_b32_e64 v72, 0, v75, s17
	v_lshrrev_b32_e32 v75, 23, v76
	s_mov_b32 s17, exec_lo
	v_add_nc_u32_e32 v72, v72, v76
	v_xor_b32_e32 v75, 1, v75
	v_and_b32_e32 v9, 0x1fffff, v72
	v_add_nc_u32_e32 v72, v9, v76
                                        ; implicit-def: $vgpr9
	v_cmpx_ne_u32_e64 v73, v75
	s_xor_b32 s17, exec_lo, s17
; %bb.3300:                             ;   in Loop: Header=BB2_3185 Depth=3
	v_cmp_lt_u32_e32 vcc_lo, 0xffffff, v72
	v_sub_nc_u32_e32 v9, v73, v75
	v_cndmask_b32_e64 v73, 0, 1, vcc_lo
	v_add_co_ci_u32_e64 v9, null, 0, v9, vcc_lo
	v_lshrrev_b32_e32 v72, v73, v72
; %bb.3301:                             ;   in Loop: Header=BB2_3185 Depth=3
	s_andn2_saveexec_b32 s17, s17
; %bb.3302:                             ;   in Loop: Header=BB2_3185 Depth=3
	v_bfe_u32 v9, v72, 23, 1
; %bb.3303:                             ;   in Loop: Header=BB2_3185 Depth=3
	s_or_b32 exec_lo, exec_lo, s17
	v_lshrrev_b32_e32 v72, 21, v72
	v_min_i32_e32 v73, 31, v9
	v_cmp_gt_i32_e32 vcc_lo, 32, v9
	v_and_b32_sdwa v8, v8, v98 dst_sel:DWORD dst_unused:UNUSED_PAD src0_sel:BYTE_3 src1_sel:DWORD
	v_lshlrev_b32_e32 v73, 2, v73
	v_cndmask_b32_e32 v72, 3, v72, vcc_lo
	v_and_b32_e32 v73, 0xfc, v73
	v_and_b32_e32 v75, 3, v72
	v_or_b32_e32 v9, v9, v72
	v_or3_b32 v8, v8, v73, v75
	v_cmp_ne_u32_e32 vcc_lo, 0, v9
	v_lshlrev_b32_e32 v8, 8, v8
	v_cndmask_b32_e32 v92, 0, v8, vcc_lo
.LBB2_3304:                             ;   in Loop: Header=BB2_3185 Depth=3
	s_or_b32 exec_lo, exec_lo, s23
.LBB2_3305:                             ;   in Loop: Header=BB2_3185 Depth=3
	s_or_b32 exec_lo, exec_lo, s22
	v_cmp_gt_i16_sdwa s22, v10, v97 src0_sel:BYTE_0 src1_sel:DWORD
	s_mov_b32 s17, 0
	s_and_saveexec_b32 s23, s22
	s_xor_b32 s22, exec_lo, s23
	s_cbranch_execz .LBB2_3756
; %bb.3306:                             ;   in Loop: Header=BB2_3185 Depth=3
	v_cmp_eq_u16_sdwa s75, v10, v98 src0_sel:BYTE_0 src1_sel:DWORD
	s_mov_b32 s17, -1
	s_and_saveexec_b32 s23, s75
; %bb.3307:                             ;   in Loop: Header=BB2_3185 Depth=3
	s_xor_b32 s17, exec_lo, -1
; %bb.3308:                             ;   in Loop: Header=BB2_3185 Depth=3
	s_or_b32 exec_lo, exec_lo, s23
	s_and_b32 s17, s17, exec_lo
	s_or_saveexec_b32 s22, s22
	v_mov_b32_e32 v8, 0x7f800001
	s_xor_b32 exec_lo, exec_lo, s22
	s_cbranch_execnz .LBB2_3757
.LBB2_3309:                             ;   in Loop: Header=BB2_3185 Depth=3
	s_or_b32 exec_lo, exec_lo, s22
	s_and_saveexec_b32 s22, s17
	s_cbranch_execz .LBB2_3311
.LBB2_3310:                             ;   in Loop: Header=BB2_3185 Depth=3
	v_and_b32_e32 v8, 3, v10
	v_bfe_u32 v73, v10, 2, 5
	v_lshlrev_b32_e32 v75, 24, v10
	v_ffbh_u32_e32 v9, v8
	v_cmp_eq_u32_e32 vcc_lo, 0, v73
	v_min_u32_e32 v9, 32, v9
	v_subrev_nc_u32_e32 v72, 29, v9
	v_sub_nc_u32_e32 v9, 30, v9
	v_lshlrev_b32_e32 v72, v72, v10
	v_cndmask_b32_e32 v9, v73, v9, vcc_lo
	v_and_b32_e32 v72, 3, v72
	v_lshl_add_u32 v9, v9, 23, 0x37800000
	v_cndmask_b32_e32 v8, v8, v72, vcc_lo
	v_and_b32_e32 v72, 0x80000000, v75
	v_lshlrev_b32_e32 v8, 21, v8
	v_or3_b32 v8, v72, v9, v8
.LBB2_3311:                             ;   in Loop: Header=BB2_3185 Depth=3
	s_or_b32 exec_lo, exec_lo, s22
	v_mul_f32_e32 v8, s18, v8
	v_mov_b32_e32 v78, 0x80
	s_mov_b32 s22, exec_lo
	v_and_b32_e32 v9, 0x7f800000, v8
	v_cmpx_ne_u32_e32 0x7f800000, v9
	s_cbranch_execz .LBB2_3319
; %bb.3312:                             ;   in Loop: Header=BB2_3185 Depth=3
	v_mov_b32_e32 v78, 0
	s_mov_b32 s23, exec_lo
	v_cmpx_ne_u32_e32 0, v8
	s_cbranch_execz .LBB2_3318
; %bb.3313:                             ;   in Loop: Header=BB2_3185 Depth=3
	v_bfe_u32 v9, v8, 23, 8
	v_and_b32_e32 v72, 0x7fffff, v8
	v_sub_nc_u32_e32 v73, 0x70, v9
	v_cmp_gt_u32_e32 vcc_lo, 0x71, v9
	v_or_b32_e32 v75, 0x800000, v72
	v_cndmask_b32_e32 v73, 0, v73, vcc_lo
	v_cmp_eq_u32_e32 vcc_lo, 0, v9
	v_add_nc_u32_e32 v9, 0xffffff91, v9
	v_cndmask_b32_e64 v73, v73, 0x6f, vcc_lo
	v_cndmask_b32_e32 v72, v75, v72, vcc_lo
	v_cndmask_b32_e64 v9, v9, 0xffffff92, vcc_lo
	v_lshl_add_u32 v75, 0x200000, v73, -1
	v_lshrrev_b32_e32 v76, v73, v72
	v_lshlrev_b32_e64 v78, v73, 0x100000
	v_add_nc_u32_e32 v73, v73, v9
	v_and_b32_e32 v72, v75, v72
	v_bfe_u32 v77, v76, 21, 1
	v_cmp_eq_u32_e64 s17, v72, v78
	v_add_nc_u32_e32 v75, -1, v77
	v_cndmask_b32_e64 v72, 0, v75, s17
	v_lshrrev_b32_e32 v75, 23, v76
	s_mov_b32 s17, exec_lo
	v_add_nc_u32_e32 v72, v72, v76
	v_xor_b32_e32 v75, 1, v75
	v_and_b32_e32 v9, 0x1fffff, v72
	v_add_nc_u32_e32 v72, v9, v76
                                        ; implicit-def: $vgpr9
	v_cmpx_ne_u32_e64 v73, v75
	s_xor_b32 s17, exec_lo, s17
; %bb.3314:                             ;   in Loop: Header=BB2_3185 Depth=3
	v_cmp_lt_u32_e32 vcc_lo, 0xffffff, v72
	v_sub_nc_u32_e32 v9, v73, v75
	v_cndmask_b32_e64 v73, 0, 1, vcc_lo
	v_add_co_ci_u32_e64 v9, null, 0, v9, vcc_lo
	v_lshrrev_b32_e32 v72, v73, v72
; %bb.3315:                             ;   in Loop: Header=BB2_3185 Depth=3
	s_andn2_saveexec_b32 s17, s17
; %bb.3316:                             ;   in Loop: Header=BB2_3185 Depth=3
	v_bfe_u32 v9, v72, 23, 1
; %bb.3317:                             ;   in Loop: Header=BB2_3185 Depth=3
	s_or_b32 exec_lo, exec_lo, s17
	v_lshrrev_b32_e32 v72, 21, v72
	v_min_i32_e32 v73, 31, v9
	v_cmp_gt_i32_e32 vcc_lo, 32, v9
	v_and_b32_sdwa v8, v8, v98 dst_sel:DWORD dst_unused:UNUSED_PAD src0_sel:BYTE_3 src1_sel:DWORD
	v_lshlrev_b32_e32 v73, 2, v73
	v_cndmask_b32_e32 v72, 3, v72, vcc_lo
	v_and_b32_e32 v73, 0xfc, v73
	v_and_b32_e32 v75, 3, v72
	v_or_b32_e32 v9, v9, v72
	v_or3_b32 v8, v73, v8, v75
	v_cmp_ne_u32_e32 vcc_lo, 0, v9
	v_cndmask_b32_e32 v78, 0, v8, vcc_lo
.LBB2_3318:                             ;   in Loop: Header=BB2_3185 Depth=3
	s_or_b32 exec_lo, exec_lo, s23
.LBB2_3319:                             ;   in Loop: Header=BB2_3185 Depth=3
	s_or_b32 exec_lo, exec_lo, s22
	v_cmp_gt_i16_sdwa s22, v10, v97 src0_sel:BYTE_1 src1_sel:DWORD
	s_mov_b32 s17, 0
	s_and_saveexec_b32 s23, s22
	s_xor_b32 s22, exec_lo, s23
	s_cbranch_execz .LBB2_3758
; %bb.3320:                             ;   in Loop: Header=BB2_3185 Depth=3
	v_cmp_eq_u16_sdwa s75, v10, v98 src0_sel:BYTE_1 src1_sel:DWORD
	s_mov_b32 s17, -1
	s_and_saveexec_b32 s23, s75
; %bb.3321:                             ;   in Loop: Header=BB2_3185 Depth=3
	s_xor_b32 s17, exec_lo, -1
; %bb.3322:                             ;   in Loop: Header=BB2_3185 Depth=3
	s_or_b32 exec_lo, exec_lo, s23
	s_and_b32 s17, s17, exec_lo
	s_or_saveexec_b32 s22, s22
	v_mov_b32_e32 v8, 0x7f800001
	s_xor_b32 exec_lo, exec_lo, s22
	s_cbranch_execnz .LBB2_3759
.LBB2_3323:                             ;   in Loop: Header=BB2_3185 Depth=3
	s_or_b32 exec_lo, exec_lo, s22
	s_and_saveexec_b32 s22, s17
	s_cbranch_execz .LBB2_3325
.LBB2_3324:                             ;   in Loop: Header=BB2_3185 Depth=3
	v_and_b32_sdwa v8, v99, v10 dst_sel:DWORD dst_unused:UNUSED_PAD src0_sel:DWORD src1_sel:BYTE_1
	v_and_b32_e32 v9, 3, v8
	v_bfe_u32 v75, v8, 2, 5
	v_ffbh_u32_e32 v72, v9
	v_cmp_eq_u32_e32 vcc_lo, 0, v75
	v_min_u32_e32 v72, 32, v72
	v_subrev_nc_u32_e32 v73, 29, v72
	v_sub_nc_u32_e32 v72, 30, v72
	v_lshlrev_b32_e32 v8, v73, v8
	v_lshlrev_b32_sdwa v73, v100, v10 dst_sel:DWORD dst_unused:UNUSED_PAD src0_sel:DWORD src1_sel:BYTE_1
	v_cndmask_b32_e32 v72, v75, v72, vcc_lo
	v_and_b32_e32 v8, 3, v8
	v_lshl_add_u32 v72, v72, 23, 0x37800000
	v_cndmask_b32_e32 v8, v9, v8, vcc_lo
	v_and_b32_e32 v9, 0x80000000, v73
	v_lshlrev_b32_e32 v8, 21, v8
	v_or3_b32 v8, v9, v72, v8
.LBB2_3325:                             ;   in Loop: Header=BB2_3185 Depth=3
	s_or_b32 exec_lo, exec_lo, s22
	v_mul_f32_e32 v8, s18, v8
	v_mov_b32_e32 v90, 0x8000
	s_mov_b32 s22, exec_lo
	v_and_b32_e32 v9, 0x7f800000, v8
	v_cmpx_ne_u32_e32 0x7f800000, v9
	s_cbranch_execz .LBB2_3333
; %bb.3326:                             ;   in Loop: Header=BB2_3185 Depth=3
	v_mov_b32_e32 v90, 0
	s_mov_b32 s23, exec_lo
	v_cmpx_ne_u32_e32 0, v8
	s_cbranch_execz .LBB2_3332
; %bb.3327:                             ;   in Loop: Header=BB2_3185 Depth=3
	v_bfe_u32 v9, v8, 23, 8
	v_and_b32_e32 v72, 0x7fffff, v8
	v_sub_nc_u32_e32 v73, 0x70, v9
	v_cmp_gt_u32_e32 vcc_lo, 0x71, v9
	v_or_b32_e32 v75, 0x800000, v72
	v_cndmask_b32_e32 v73, 0, v73, vcc_lo
	v_cmp_eq_u32_e32 vcc_lo, 0, v9
	v_add_nc_u32_e32 v9, 0xffffff91, v9
	v_cndmask_b32_e64 v73, v73, 0x6f, vcc_lo
	v_cndmask_b32_e32 v72, v75, v72, vcc_lo
	v_cndmask_b32_e64 v9, v9, 0xffffff92, vcc_lo
	v_lshl_add_u32 v75, 0x200000, v73, -1
	v_lshrrev_b32_e32 v76, v73, v72
	v_lshlrev_b32_e64 v88, v73, 0x100000
	v_add_nc_u32_e32 v73, v73, v9
	v_and_b32_e32 v72, v75, v72
	v_bfe_u32 v77, v76, 21, 1
	v_cmp_eq_u32_e64 s17, v72, v88
	v_add_nc_u32_e32 v75, -1, v77
	v_cndmask_b32_e64 v72, 0, v75, s17
	v_lshrrev_b32_e32 v75, 23, v76
	s_mov_b32 s17, exec_lo
	v_add_nc_u32_e32 v72, v72, v76
	v_xor_b32_e32 v75, 1, v75
	v_and_b32_e32 v9, 0x1fffff, v72
	v_add_nc_u32_e32 v72, v9, v76
                                        ; implicit-def: $vgpr9
	v_cmpx_ne_u32_e64 v73, v75
	s_xor_b32 s17, exec_lo, s17
; %bb.3328:                             ;   in Loop: Header=BB2_3185 Depth=3
	v_cmp_lt_u32_e32 vcc_lo, 0xffffff, v72
	v_sub_nc_u32_e32 v9, v73, v75
	v_cndmask_b32_e64 v73, 0, 1, vcc_lo
	v_add_co_ci_u32_e64 v9, null, 0, v9, vcc_lo
	v_lshrrev_b32_e32 v72, v73, v72
; %bb.3329:                             ;   in Loop: Header=BB2_3185 Depth=3
	s_andn2_saveexec_b32 s17, s17
; %bb.3330:                             ;   in Loop: Header=BB2_3185 Depth=3
	v_bfe_u32 v9, v72, 23, 1
; %bb.3331:                             ;   in Loop: Header=BB2_3185 Depth=3
	s_or_b32 exec_lo, exec_lo, s17
	v_lshrrev_b32_e32 v72, 21, v72
	v_min_i32_e32 v73, 31, v9
	v_cmp_gt_i32_e32 vcc_lo, 32, v9
	v_and_b32_sdwa v8, v8, v98 dst_sel:DWORD dst_unused:UNUSED_PAD src0_sel:BYTE_3 src1_sel:DWORD
	v_lshlrev_b32_e32 v73, 2, v73
	v_cndmask_b32_e32 v72, 3, v72, vcc_lo
	v_and_b32_e32 v73, 0xfc, v73
	v_and_b32_e32 v75, 3, v72
	v_or_b32_e32 v9, v9, v72
	v_or3_b32 v8, v8, v73, v75
	v_cmp_ne_u32_e32 vcc_lo, 0, v9
	v_lshlrev_b32_e32 v8, 8, v8
	v_cndmask_b32_e32 v90, 0, v8, vcc_lo
.LBB2_3332:                             ;   in Loop: Header=BB2_3185 Depth=3
	s_or_b32 exec_lo, exec_lo, s23
.LBB2_3333:                             ;   in Loop: Header=BB2_3185 Depth=3
	s_or_b32 exec_lo, exec_lo, s22
	v_and_b32_sdwa v9, v10, v101 dst_sel:DWORD dst_unused:UNUSED_PAD src0_sel:WORD_1 src1_sel:DWORD
	s_mov_b32 s17, 0
	s_mov_b32 s22, exec_lo
	v_cmpx_lt_i16_e32 0x7f, v9
	s_xor_b32 s22, exec_lo, s22
	s_cbranch_execz .LBB2_3760
; %bb.3334:                             ;   in Loop: Header=BB2_3185 Depth=3
	s_mov_b32 s17, -1
	s_mov_b32 s23, exec_lo
	v_cmpx_eq_u16_e32 0x80, v9
; %bb.3335:                             ;   in Loop: Header=BB2_3185 Depth=3
	s_xor_b32 s17, exec_lo, -1
; %bb.3336:                             ;   in Loop: Header=BB2_3185 Depth=3
	s_or_b32 exec_lo, exec_lo, s23
	s_and_b32 s17, s17, exec_lo
                                        ; implicit-def: $vgpr9
	s_or_saveexec_b32 s22, s22
	v_mov_b32_e32 v8, 0x7f800001
	s_xor_b32 exec_lo, exec_lo, s22
	s_cbranch_execnz .LBB2_3761
.LBB2_3337:                             ;   in Loop: Header=BB2_3185 Depth=3
	s_or_b32 exec_lo, exec_lo, s22
	s_and_saveexec_b32 s22, s17
	s_cbranch_execz .LBB2_3339
.LBB2_3338:                             ;   in Loop: Header=BB2_3185 Depth=3
	v_bfe_u32 v8, v10, 16, 2
	v_bfe_u32 v73, v10, 18, 5
	v_lshlrev_b32_e32 v75, 8, v10
	v_ffbh_u32_e32 v9, v8
	v_cmp_eq_u32_e32 vcc_lo, 0, v73
	v_min_u32_e32 v9, 32, v9
	v_subrev_nc_u32_e32 v72, 29, v9
	v_sub_nc_u32_e32 v9, 30, v9
	v_lshlrev_b32_sdwa v72, v72, v10 dst_sel:DWORD dst_unused:UNUSED_PAD src0_sel:DWORD src1_sel:WORD_1
	v_cndmask_b32_e32 v9, v73, v9, vcc_lo
	v_and_b32_e32 v72, 3, v72
	v_lshl_add_u32 v9, v9, 23, 0x37800000
	v_cndmask_b32_e32 v8, v8, v72, vcc_lo
	v_and_b32_e32 v72, 0x80000000, v75
	v_lshlrev_b32_e32 v8, 21, v8
	v_or3_b32 v8, v72, v9, v8
.LBB2_3339:                             ;   in Loop: Header=BB2_3185 Depth=3
	s_or_b32 exec_lo, exec_lo, s22
	v_mul_f32_e32 v8, s18, v8
	v_mov_b32_e32 v76, 0x80
	s_mov_b32 s22, exec_lo
	v_and_b32_e32 v9, 0x7f800000, v8
	v_cmpx_ne_u32_e32 0x7f800000, v9
	s_cbranch_execz .LBB2_3347
; %bb.3340:                             ;   in Loop: Header=BB2_3185 Depth=3
	v_mov_b32_e32 v76, 0
	s_mov_b32 s23, exec_lo
	v_cmpx_ne_u32_e32 0, v8
	s_cbranch_execz .LBB2_3346
; %bb.3341:                             ;   in Loop: Header=BB2_3185 Depth=3
	v_bfe_u32 v9, v8, 23, 8
	v_and_b32_e32 v72, 0x7fffff, v8
	v_sub_nc_u32_e32 v73, 0x70, v9
	v_cmp_gt_u32_e32 vcc_lo, 0x71, v9
	v_or_b32_e32 v75, 0x800000, v72
	v_cndmask_b32_e32 v73, 0, v73, vcc_lo
	v_cmp_eq_u32_e32 vcc_lo, 0, v9
	v_add_nc_u32_e32 v9, 0xffffff91, v9
	v_cndmask_b32_e64 v73, v73, 0x6f, vcc_lo
	v_cndmask_b32_e32 v72, v75, v72, vcc_lo
	v_cndmask_b32_e64 v9, v9, 0xffffff92, vcc_lo
	v_lshl_add_u32 v75, 0x200000, v73, -1
	v_lshrrev_b32_e32 v76, v73, v72
	v_lshlrev_b32_e64 v88, v73, 0x100000
	v_add_nc_u32_e32 v73, v73, v9
	v_and_b32_e32 v72, v75, v72
	v_bfe_u32 v77, v76, 21, 1
	v_cmp_eq_u32_e64 s17, v72, v88
	v_add_nc_u32_e32 v75, -1, v77
	v_cndmask_b32_e64 v72, 0, v75, s17
	v_lshrrev_b32_e32 v75, 23, v76
	s_mov_b32 s17, exec_lo
	v_add_nc_u32_e32 v72, v72, v76
	v_xor_b32_e32 v75, 1, v75
	v_and_b32_e32 v9, 0x1fffff, v72
	v_add_nc_u32_e32 v72, v9, v76
                                        ; implicit-def: $vgpr9
	v_cmpx_ne_u32_e64 v73, v75
	s_xor_b32 s17, exec_lo, s17
; %bb.3342:                             ;   in Loop: Header=BB2_3185 Depth=3
	v_cmp_lt_u32_e32 vcc_lo, 0xffffff, v72
	v_sub_nc_u32_e32 v9, v73, v75
	v_cndmask_b32_e64 v73, 0, 1, vcc_lo
	v_add_co_ci_u32_e64 v9, null, 0, v9, vcc_lo
	v_lshrrev_b32_e32 v72, v73, v72
; %bb.3343:                             ;   in Loop: Header=BB2_3185 Depth=3
	s_andn2_saveexec_b32 s17, s17
; %bb.3344:                             ;   in Loop: Header=BB2_3185 Depth=3
	v_bfe_u32 v9, v72, 23, 1
; %bb.3345:                             ;   in Loop: Header=BB2_3185 Depth=3
	s_or_b32 exec_lo, exec_lo, s17
	v_lshrrev_b32_e32 v72, 21, v72
	v_min_i32_e32 v73, 31, v9
	v_cmp_gt_i32_e32 vcc_lo, 32, v9
	v_and_b32_sdwa v8, v8, v98 dst_sel:DWORD dst_unused:UNUSED_PAD src0_sel:BYTE_3 src1_sel:DWORD
	v_lshlrev_b32_e32 v73, 2, v73
	v_cndmask_b32_e32 v72, 3, v72, vcc_lo
	v_and_b32_e32 v73, 0xfc, v73
	v_and_b32_e32 v75, 3, v72
	v_or_b32_e32 v9, v9, v72
	v_or3_b32 v8, v73, v8, v75
	v_cmp_ne_u32_e32 vcc_lo, 0, v9
	v_cndmask_b32_e32 v76, 0, v8, vcc_lo
.LBB2_3346:                             ;   in Loop: Header=BB2_3185 Depth=3
	s_or_b32 exec_lo, exec_lo, s23
.LBB2_3347:                             ;   in Loop: Header=BB2_3185 Depth=3
	s_or_b32 exec_lo, exec_lo, s22
	v_cmp_gt_i16_sdwa s22, v10, v97 src0_sel:BYTE_3 src1_sel:DWORD
	s_mov_b32 s17, 0
	s_and_saveexec_b32 s23, s22
	s_xor_b32 s22, exec_lo, s23
	s_cbranch_execz .LBB2_3762
; %bb.3348:                             ;   in Loop: Header=BB2_3185 Depth=3
	v_cmp_eq_u16_sdwa s75, v10, v98 src0_sel:BYTE_3 src1_sel:DWORD
	s_mov_b32 s17, -1
	s_and_saveexec_b32 s23, s75
; %bb.3349:                             ;   in Loop: Header=BB2_3185 Depth=3
	s_xor_b32 s17, exec_lo, -1
; %bb.3350:                             ;   in Loop: Header=BB2_3185 Depth=3
	s_or_b32 exec_lo, exec_lo, s23
	s_and_b32 s17, s17, exec_lo
	s_or_saveexec_b32 s22, s22
	v_mov_b32_e32 v8, 0x7f800001
	s_xor_b32 exec_lo, exec_lo, s22
	s_cbranch_execnz .LBB2_3763
.LBB2_3351:                             ;   in Loop: Header=BB2_3185 Depth=3
	s_or_b32 exec_lo, exec_lo, s22
	s_and_saveexec_b32 s22, s17
	s_cbranch_execz .LBB2_3353
.LBB2_3352:                             ;   in Loop: Header=BB2_3185 Depth=3
	v_bfe_u32 v8, v10, 24, 2
	v_bfe_u32 v73, v10, 26, 5
	v_ffbh_u32_e32 v9, v8
	v_cmp_eq_u32_e32 vcc_lo, 0, v73
	v_min_u32_e32 v9, 32, v9
	v_subrev_nc_u32_e32 v72, 29, v9
	v_sub_nc_u32_e32 v9, 30, v9
	v_lshlrev_b32_sdwa v72, v72, v10 dst_sel:DWORD dst_unused:UNUSED_PAD src0_sel:DWORD src1_sel:BYTE_3
	v_cndmask_b32_e32 v9, v73, v9, vcc_lo
	v_and_b32_e32 v10, 0x80000000, v10
	v_and_b32_e32 v72, 3, v72
	v_lshl_add_u32 v9, v9, 23, 0x37800000
	v_cndmask_b32_e32 v8, v8, v72, vcc_lo
	v_lshlrev_b32_e32 v8, 21, v8
	v_or3_b32 v8, v10, v9, v8
.LBB2_3353:                             ;   in Loop: Header=BB2_3185 Depth=3
	s_or_b32 exec_lo, exec_lo, s22
	v_mul_f32_e32 v8, s18, v8
	v_mov_b32_e32 v88, 0x8000
	s_mov_b32 s22, exec_lo
	v_and_b32_e32 v9, 0x7f800000, v8
	v_cmpx_ne_u32_e32 0x7f800000, v9
	s_cbranch_execz .LBB2_3361
; %bb.3354:                             ;   in Loop: Header=BB2_3185 Depth=3
	v_mov_b32_e32 v88, 0
	s_mov_b32 s23, exec_lo
	v_cmpx_ne_u32_e32 0, v8
	s_cbranch_execz .LBB2_3360
; %bb.3355:                             ;   in Loop: Header=BB2_3185 Depth=3
	v_bfe_u32 v9, v8, 23, 8
	v_and_b32_e32 v10, 0x7fffff, v8
	v_sub_nc_u32_e32 v72, 0x70, v9
	v_cmp_gt_u32_e32 vcc_lo, 0x71, v9
	v_or_b32_e32 v73, 0x800000, v10
	v_cndmask_b32_e32 v72, 0, v72, vcc_lo
	v_cmp_eq_u32_e32 vcc_lo, 0, v9
	v_add_nc_u32_e32 v9, 0xffffff91, v9
	v_cndmask_b32_e64 v72, v72, 0x6f, vcc_lo
	v_cndmask_b32_e32 v10, v73, v10, vcc_lo
	v_cndmask_b32_e64 v9, v9, 0xffffff92, vcc_lo
	v_lshl_add_u32 v73, 0x200000, v72, -1
	v_lshrrev_b32_e32 v75, v72, v10
	v_lshlrev_b32_e64 v88, v72, 0x100000
	v_add_nc_u32_e32 v72, v72, v9
	v_and_b32_e32 v10, v73, v10
	v_bfe_u32 v77, v75, 21, 1
	v_cmp_eq_u32_e64 s17, v10, v88
	v_add_nc_u32_e32 v73, -1, v77
	v_cndmask_b32_e64 v10, 0, v73, s17
	v_lshrrev_b32_e32 v73, 23, v75
	s_mov_b32 s17, exec_lo
	v_add_nc_u32_e32 v10, v10, v75
	v_xor_b32_e32 v73, 1, v73
	v_and_b32_e32 v9, 0x1fffff, v10
	v_add_nc_u32_e32 v10, v9, v75
                                        ; implicit-def: $vgpr9
	v_cmpx_ne_u32_e64 v72, v73
	s_xor_b32 s17, exec_lo, s17
; %bb.3356:                             ;   in Loop: Header=BB2_3185 Depth=3
	v_cmp_lt_u32_e32 vcc_lo, 0xffffff, v10
	v_sub_nc_u32_e32 v9, v72, v73
	v_cndmask_b32_e64 v72, 0, 1, vcc_lo
	v_add_co_ci_u32_e64 v9, null, 0, v9, vcc_lo
	v_lshrrev_b32_e32 v10, v72, v10
; %bb.3357:                             ;   in Loop: Header=BB2_3185 Depth=3
	s_andn2_saveexec_b32 s17, s17
; %bb.3358:                             ;   in Loop: Header=BB2_3185 Depth=3
	v_bfe_u32 v9, v10, 23, 1
; %bb.3359:                             ;   in Loop: Header=BB2_3185 Depth=3
	s_or_b32 exec_lo, exec_lo, s17
	v_lshrrev_b32_e32 v10, 21, v10
	v_min_i32_e32 v72, 31, v9
	v_cmp_gt_i32_e32 vcc_lo, 32, v9
	v_and_b32_sdwa v8, v8, v98 dst_sel:DWORD dst_unused:UNUSED_PAD src0_sel:BYTE_3 src1_sel:DWORD
	v_lshlrev_b32_e32 v72, 2, v72
	v_cndmask_b32_e32 v10, 3, v10, vcc_lo
	v_and_b32_e32 v72, 0xfc, v72
	v_and_b32_e32 v73, 3, v10
	v_or_b32_e32 v9, v9, v10
	v_or3_b32 v8, v8, v72, v73
	v_cmp_ne_u32_e32 vcc_lo, 0, v9
	v_lshlrev_b32_e32 v8, 8, v8
	v_cndmask_b32_e32 v88, 0, v8, vcc_lo
.LBB2_3360:                             ;   in Loop: Header=BB2_3185 Depth=3
	s_or_b32 exec_lo, exec_lo, s23
.LBB2_3361:                             ;   in Loop: Header=BB2_3185 Depth=3
	s_or_b32 exec_lo, exec_lo, s22
	v_cmp_gt_i16_sdwa s22, v11, v97 src0_sel:BYTE_0 src1_sel:DWORD
	s_mov_b32 s17, 0
	s_and_saveexec_b32 s23, s22
	s_xor_b32 s22, exec_lo, s23
	s_cbranch_execz .LBB2_3764
; %bb.3362:                             ;   in Loop: Header=BB2_3185 Depth=3
	v_cmp_eq_u16_sdwa s75, v11, v98 src0_sel:BYTE_0 src1_sel:DWORD
	s_mov_b32 s17, -1
	s_and_saveexec_b32 s23, s75
; %bb.3363:                             ;   in Loop: Header=BB2_3185 Depth=3
	s_xor_b32 s17, exec_lo, -1
; %bb.3364:                             ;   in Loop: Header=BB2_3185 Depth=3
	s_or_b32 exec_lo, exec_lo, s23
	s_and_b32 s17, s17, exec_lo
	s_or_saveexec_b32 s22, s22
	v_mov_b32_e32 v8, 0x7f800001
	s_xor_b32 exec_lo, exec_lo, s22
	s_cbranch_execnz .LBB2_3765
.LBB2_3365:                             ;   in Loop: Header=BB2_3185 Depth=3
	s_or_b32 exec_lo, exec_lo, s22
	s_and_saveexec_b32 s22, s17
	s_cbranch_execz .LBB2_3367
.LBB2_3366:                             ;   in Loop: Header=BB2_3185 Depth=3
	v_and_b32_e32 v8, 3, v11
	v_bfe_u32 v72, v11, 2, 5
	v_lshlrev_b32_e32 v73, 24, v11
	v_ffbh_u32_e32 v9, v8
	v_cmp_eq_u32_e32 vcc_lo, 0, v72
	v_min_u32_e32 v9, 32, v9
	v_subrev_nc_u32_e32 v10, 29, v9
	v_sub_nc_u32_e32 v9, 30, v9
	v_lshlrev_b32_e32 v10, v10, v11
	v_cndmask_b32_e32 v9, v72, v9, vcc_lo
	v_and_b32_e32 v10, 3, v10
	v_lshl_add_u32 v9, v9, 23, 0x37800000
	v_cndmask_b32_e32 v8, v8, v10, vcc_lo
	v_and_b32_e32 v10, 0x80000000, v73
	v_lshlrev_b32_e32 v8, 21, v8
	v_or3_b32 v8, v10, v9, v8
.LBB2_3367:                             ;   in Loop: Header=BB2_3185 Depth=3
	s_or_b32 exec_lo, exec_lo, s22
	v_mul_f32_e32 v8, s18, v8
	v_mov_b32_e32 v73, 0x80
	s_mov_b32 s22, exec_lo
	v_and_b32_e32 v9, 0x7f800000, v8
	v_cmpx_ne_u32_e32 0x7f800000, v9
	s_cbranch_execz .LBB2_3375
; %bb.3368:                             ;   in Loop: Header=BB2_3185 Depth=3
	v_mov_b32_e32 v73, 0
	s_mov_b32 s23, exec_lo
	v_cmpx_ne_u32_e32 0, v8
	s_cbranch_execz .LBB2_3374
; %bb.3369:                             ;   in Loop: Header=BB2_3185 Depth=3
	v_bfe_u32 v9, v8, 23, 8
	v_and_b32_e32 v10, 0x7fffff, v8
	v_sub_nc_u32_e32 v72, 0x70, v9
	v_cmp_gt_u32_e32 vcc_lo, 0x71, v9
	v_or_b32_e32 v73, 0x800000, v10
	v_cndmask_b32_e32 v72, 0, v72, vcc_lo
	v_cmp_eq_u32_e32 vcc_lo, 0, v9
	v_add_nc_u32_e32 v9, 0xffffff91, v9
	v_cndmask_b32_e64 v72, v72, 0x6f, vcc_lo
	v_cndmask_b32_e32 v10, v73, v10, vcc_lo
	v_cndmask_b32_e64 v9, v9, 0xffffff92, vcc_lo
	v_lshl_add_u32 v73, 0x200000, v72, -1
	v_lshrrev_b32_e32 v75, v72, v10
	v_lshlrev_b32_e64 v95, v72, 0x100000
	v_add_nc_u32_e32 v72, v72, v9
	v_and_b32_e32 v10, v73, v10
	v_bfe_u32 v77, v75, 21, 1
	v_cmp_eq_u32_e64 s17, v10, v95
	v_add_nc_u32_e32 v73, -1, v77
	v_cndmask_b32_e64 v10, 0, v73, s17
	v_lshrrev_b32_e32 v73, 23, v75
	s_mov_b32 s17, exec_lo
	v_add_nc_u32_e32 v10, v10, v75
	v_xor_b32_e32 v73, 1, v73
	v_and_b32_e32 v9, 0x1fffff, v10
	v_add_nc_u32_e32 v10, v9, v75
                                        ; implicit-def: $vgpr9
	v_cmpx_ne_u32_e64 v72, v73
	s_xor_b32 s17, exec_lo, s17
; %bb.3370:                             ;   in Loop: Header=BB2_3185 Depth=3
	v_cmp_lt_u32_e32 vcc_lo, 0xffffff, v10
	v_sub_nc_u32_e32 v9, v72, v73
	v_cndmask_b32_e64 v72, 0, 1, vcc_lo
	v_add_co_ci_u32_e64 v9, null, 0, v9, vcc_lo
	v_lshrrev_b32_e32 v10, v72, v10
; %bb.3371:                             ;   in Loop: Header=BB2_3185 Depth=3
	s_andn2_saveexec_b32 s17, s17
; %bb.3372:                             ;   in Loop: Header=BB2_3185 Depth=3
	v_bfe_u32 v9, v10, 23, 1
; %bb.3373:                             ;   in Loop: Header=BB2_3185 Depth=3
	s_or_b32 exec_lo, exec_lo, s17
	v_lshrrev_b32_e32 v10, 21, v10
	v_min_i32_e32 v72, 31, v9
	v_cmp_gt_i32_e32 vcc_lo, 32, v9
	v_and_b32_sdwa v8, v8, v98 dst_sel:DWORD dst_unused:UNUSED_PAD src0_sel:BYTE_3 src1_sel:DWORD
	v_lshlrev_b32_e32 v72, 2, v72
	v_cndmask_b32_e32 v10, 3, v10, vcc_lo
	v_and_b32_e32 v72, 0xfc, v72
	v_and_b32_e32 v73, 3, v10
	v_or_b32_e32 v9, v9, v10
	v_or3_b32 v8, v72, v8, v73
	v_cmp_ne_u32_e32 vcc_lo, 0, v9
	v_cndmask_b32_e32 v73, 0, v8, vcc_lo
.LBB2_3374:                             ;   in Loop: Header=BB2_3185 Depth=3
	s_or_b32 exec_lo, exec_lo, s23
.LBB2_3375:                             ;   in Loop: Header=BB2_3185 Depth=3
	s_or_b32 exec_lo, exec_lo, s22
	v_cmp_gt_i16_sdwa s22, v11, v97 src0_sel:BYTE_1 src1_sel:DWORD
	s_mov_b32 s17, 0
	s_and_saveexec_b32 s23, s22
	s_xor_b32 s22, exec_lo, s23
	s_cbranch_execz .LBB2_3766
; %bb.3376:                             ;   in Loop: Header=BB2_3185 Depth=3
	v_cmp_eq_u16_sdwa s75, v11, v98 src0_sel:BYTE_1 src1_sel:DWORD
	s_mov_b32 s17, -1
	s_and_saveexec_b32 s23, s75
; %bb.3377:                             ;   in Loop: Header=BB2_3185 Depth=3
	s_xor_b32 s17, exec_lo, -1
; %bb.3378:                             ;   in Loop: Header=BB2_3185 Depth=3
	s_or_b32 exec_lo, exec_lo, s23
	s_and_b32 s17, s17, exec_lo
	s_or_saveexec_b32 s22, s22
	v_mov_b32_e32 v8, 0x7f800001
	s_xor_b32 exec_lo, exec_lo, s22
	s_cbranch_execnz .LBB2_3767
.LBB2_3379:                             ;   in Loop: Header=BB2_3185 Depth=3
	s_or_b32 exec_lo, exec_lo, s22
	s_and_saveexec_b32 s22, s17
	s_cbranch_execz .LBB2_3381
.LBB2_3380:                             ;   in Loop: Header=BB2_3185 Depth=3
	v_and_b32_sdwa v8, v99, v11 dst_sel:DWORD dst_unused:UNUSED_PAD src0_sel:DWORD src1_sel:BYTE_1
	v_and_b32_e32 v9, 3, v8
	v_bfe_u32 v75, v8, 2, 5
	v_ffbh_u32_e32 v10, v9
	v_cmp_eq_u32_e32 vcc_lo, 0, v75
	v_min_u32_e32 v10, 32, v10
	v_subrev_nc_u32_e32 v72, 29, v10
	v_sub_nc_u32_e32 v10, 30, v10
	v_lshlrev_b32_e32 v8, v72, v8
	v_lshlrev_b32_sdwa v72, v100, v11 dst_sel:DWORD dst_unused:UNUSED_PAD src0_sel:DWORD src1_sel:BYTE_1
	v_cndmask_b32_e32 v10, v75, v10, vcc_lo
	v_and_b32_e32 v8, 3, v8
	v_lshl_add_u32 v10, v10, 23, 0x37800000
	v_cndmask_b32_e32 v8, v9, v8, vcc_lo
	v_and_b32_e32 v9, 0x80000000, v72
	v_lshlrev_b32_e32 v8, 21, v8
	v_or3_b32 v8, v9, v10, v8
.LBB2_3381:                             ;   in Loop: Header=BB2_3185 Depth=3
	s_or_b32 exec_lo, exec_lo, s22
	v_mul_f32_e32 v8, s18, v8
	v_mov_b32_e32 v77, 0x8000
	s_mov_b32 s22, exec_lo
	v_and_b32_e32 v9, 0x7f800000, v8
	v_cmpx_ne_u32_e32 0x7f800000, v9
	s_cbranch_execz .LBB2_3389
; %bb.3382:                             ;   in Loop: Header=BB2_3185 Depth=3
	v_mov_b32_e32 v77, 0
	s_mov_b32 s23, exec_lo
	v_cmpx_ne_u32_e32 0, v8
	s_cbranch_execz .LBB2_3388
; %bb.3383:                             ;   in Loop: Header=BB2_3185 Depth=3
	v_bfe_u32 v9, v8, 23, 8
	v_and_b32_e32 v10, 0x7fffff, v8
	v_sub_nc_u32_e32 v72, 0x70, v9
	v_cmp_gt_u32_e32 vcc_lo, 0x71, v9
	v_or_b32_e32 v75, 0x800000, v10
	v_cndmask_b32_e32 v72, 0, v72, vcc_lo
	v_cmp_eq_u32_e32 vcc_lo, 0, v9
	v_add_nc_u32_e32 v9, 0xffffff91, v9
	v_cndmask_b32_e64 v72, v72, 0x6f, vcc_lo
	v_cndmask_b32_e32 v10, v75, v10, vcc_lo
	v_cndmask_b32_e64 v9, v9, 0xffffff92, vcc_lo
	v_lshl_add_u32 v75, 0x200000, v72, -1
	v_lshrrev_b32_e32 v77, v72, v10
	v_lshlrev_b32_e64 v104, v72, 0x100000
	v_add_nc_u32_e32 v72, v72, v9
	v_and_b32_e32 v10, v75, v10
	v_bfe_u32 v95, v77, 21, 1
	v_cmp_eq_u32_e64 s17, v10, v104
	v_add_nc_u32_e32 v75, -1, v95
	v_cndmask_b32_e64 v10, 0, v75, s17
	v_lshrrev_b32_e32 v75, 23, v77
	s_mov_b32 s17, exec_lo
	v_add_nc_u32_e32 v10, v10, v77
	v_xor_b32_e32 v75, 1, v75
	v_and_b32_e32 v9, 0x1fffff, v10
	v_add_nc_u32_e32 v10, v9, v77
                                        ; implicit-def: $vgpr9
	v_cmpx_ne_u32_e64 v72, v75
	s_xor_b32 s17, exec_lo, s17
; %bb.3384:                             ;   in Loop: Header=BB2_3185 Depth=3
	v_cmp_lt_u32_e32 vcc_lo, 0xffffff, v10
	v_sub_nc_u32_e32 v9, v72, v75
	v_cndmask_b32_e64 v72, 0, 1, vcc_lo
	v_add_co_ci_u32_e64 v9, null, 0, v9, vcc_lo
	v_lshrrev_b32_e32 v10, v72, v10
; %bb.3385:                             ;   in Loop: Header=BB2_3185 Depth=3
	s_andn2_saveexec_b32 s17, s17
; %bb.3386:                             ;   in Loop: Header=BB2_3185 Depth=3
	v_bfe_u32 v9, v10, 23, 1
; %bb.3387:                             ;   in Loop: Header=BB2_3185 Depth=3
	s_or_b32 exec_lo, exec_lo, s17
	v_lshrrev_b32_e32 v10, 21, v10
	v_min_i32_e32 v72, 31, v9
	v_cmp_gt_i32_e32 vcc_lo, 32, v9
	v_and_b32_sdwa v8, v8, v98 dst_sel:DWORD dst_unused:UNUSED_PAD src0_sel:BYTE_3 src1_sel:DWORD
	v_lshlrev_b32_e32 v72, 2, v72
	v_cndmask_b32_e32 v10, 3, v10, vcc_lo
	v_and_b32_e32 v72, 0xfc, v72
	v_and_b32_e32 v75, 3, v10
	v_or_b32_e32 v9, v9, v10
	v_or3_b32 v8, v8, v72, v75
	v_cmp_ne_u32_e32 vcc_lo, 0, v9
	v_lshlrev_b32_e32 v8, 8, v8
	v_cndmask_b32_e32 v77, 0, v8, vcc_lo
.LBB2_3388:                             ;   in Loop: Header=BB2_3185 Depth=3
	s_or_b32 exec_lo, exec_lo, s23
.LBB2_3389:                             ;   in Loop: Header=BB2_3185 Depth=3
	s_or_b32 exec_lo, exec_lo, s22
	v_and_b32_sdwa v9, v11, v101 dst_sel:DWORD dst_unused:UNUSED_PAD src0_sel:WORD_1 src1_sel:DWORD
	s_mov_b32 s17, 0
	s_mov_b32 s22, exec_lo
	v_cmpx_lt_i16_e32 0x7f, v9
	s_xor_b32 s22, exec_lo, s22
	s_cbranch_execz .LBB2_3768
; %bb.3390:                             ;   in Loop: Header=BB2_3185 Depth=3
	s_mov_b32 s17, -1
	s_mov_b32 s23, exec_lo
	v_cmpx_eq_u16_e32 0x80, v9
; %bb.3391:                             ;   in Loop: Header=BB2_3185 Depth=3
	s_xor_b32 s17, exec_lo, -1
; %bb.3392:                             ;   in Loop: Header=BB2_3185 Depth=3
	s_or_b32 exec_lo, exec_lo, s23
	s_and_b32 s17, s17, exec_lo
                                        ; implicit-def: $vgpr9
	s_or_saveexec_b32 s22, s22
	v_mov_b32_e32 v8, 0x7f800001
	s_xor_b32 exec_lo, exec_lo, s22
	s_cbranch_execnz .LBB2_3769
.LBB2_3393:                             ;   in Loop: Header=BB2_3185 Depth=3
	s_or_b32 exec_lo, exec_lo, s22
	s_and_saveexec_b32 s22, s17
	s_cbranch_execz .LBB2_3395
.LBB2_3394:                             ;   in Loop: Header=BB2_3185 Depth=3
	v_bfe_u32 v8, v11, 16, 2
	v_bfe_u32 v72, v11, 18, 5
	v_lshlrev_b32_e32 v75, 8, v11
	v_ffbh_u32_e32 v9, v8
	v_cmp_eq_u32_e32 vcc_lo, 0, v72
	v_min_u32_e32 v9, 32, v9
	v_subrev_nc_u32_e32 v10, 29, v9
	v_sub_nc_u32_e32 v9, 30, v9
	v_lshlrev_b32_sdwa v10, v10, v11 dst_sel:DWORD dst_unused:UNUSED_PAD src0_sel:DWORD src1_sel:WORD_1
	v_cndmask_b32_e32 v9, v72, v9, vcc_lo
	v_and_b32_e32 v10, 3, v10
	v_lshl_add_u32 v9, v9, 23, 0x37800000
	v_cndmask_b32_e32 v8, v8, v10, vcc_lo
	v_and_b32_e32 v10, 0x80000000, v75
	v_lshlrev_b32_e32 v8, 21, v8
	v_or3_b32 v8, v10, v9, v8
.LBB2_3395:                             ;   in Loop: Header=BB2_3185 Depth=3
	s_or_b32 exec_lo, exec_lo, s22
	v_mul_f32_e32 v8, s18, v8
	v_mov_b32_e32 v72, 0x80
	s_mov_b32 s22, exec_lo
	v_and_b32_e32 v9, 0x7f800000, v8
	v_cmpx_ne_u32_e32 0x7f800000, v9
	s_cbranch_execz .LBB2_3403
; %bb.3396:                             ;   in Loop: Header=BB2_3185 Depth=3
	v_mov_b32_e32 v72, 0
	s_mov_b32 s23, exec_lo
	v_cmpx_ne_u32_e32 0, v8
	s_cbranch_execz .LBB2_3402
; %bb.3397:                             ;   in Loop: Header=BB2_3185 Depth=3
	v_bfe_u32 v9, v8, 23, 8
	v_and_b32_e32 v10, 0x7fffff, v8
	v_sub_nc_u32_e32 v72, 0x70, v9
	v_cmp_gt_u32_e32 vcc_lo, 0x71, v9
	v_or_b32_e32 v75, 0x800000, v10
	v_cndmask_b32_e32 v72, 0, v72, vcc_lo
	v_cmp_eq_u32_e32 vcc_lo, 0, v9
	v_add_nc_u32_e32 v9, 0xffffff91, v9
	v_cndmask_b32_e64 v72, v72, 0x6f, vcc_lo
	v_cndmask_b32_e32 v10, v75, v10, vcc_lo
	v_cndmask_b32_e64 v9, v9, 0xffffff92, vcc_lo
	v_lshl_add_u32 v75, 0x200000, v72, -1
	v_lshrrev_b32_e32 v95, v72, v10
	v_lshlrev_b32_e64 v105, v72, 0x100000
	v_add_nc_u32_e32 v72, v72, v9
	v_and_b32_e32 v10, v75, v10
	v_bfe_u32 v104, v95, 21, 1
	v_cmp_eq_u32_e64 s17, v10, v105
	v_add_nc_u32_e32 v75, -1, v104
	v_cndmask_b32_e64 v10, 0, v75, s17
	v_lshrrev_b32_e32 v75, 23, v95
	s_mov_b32 s17, exec_lo
	v_add_nc_u32_e32 v10, v10, v95
	v_xor_b32_e32 v75, 1, v75
	v_and_b32_e32 v9, 0x1fffff, v10
	v_add_nc_u32_e32 v10, v9, v95
                                        ; implicit-def: $vgpr9
	v_cmpx_ne_u32_e64 v72, v75
	s_xor_b32 s17, exec_lo, s17
; %bb.3398:                             ;   in Loop: Header=BB2_3185 Depth=3
	v_cmp_lt_u32_e32 vcc_lo, 0xffffff, v10
	v_sub_nc_u32_e32 v9, v72, v75
	v_cndmask_b32_e64 v72, 0, 1, vcc_lo
	v_add_co_ci_u32_e64 v9, null, 0, v9, vcc_lo
	v_lshrrev_b32_e32 v10, v72, v10
; %bb.3399:                             ;   in Loop: Header=BB2_3185 Depth=3
	s_andn2_saveexec_b32 s17, s17
; %bb.3400:                             ;   in Loop: Header=BB2_3185 Depth=3
	v_bfe_u32 v9, v10, 23, 1
; %bb.3401:                             ;   in Loop: Header=BB2_3185 Depth=3
	s_or_b32 exec_lo, exec_lo, s17
	v_lshrrev_b32_e32 v10, 21, v10
	v_min_i32_e32 v72, 31, v9
	v_cmp_gt_i32_e32 vcc_lo, 32, v9
	v_and_b32_sdwa v8, v8, v98 dst_sel:DWORD dst_unused:UNUSED_PAD src0_sel:BYTE_3 src1_sel:DWORD
	v_lshlrev_b32_e32 v72, 2, v72
	v_cndmask_b32_e32 v10, 3, v10, vcc_lo
	v_and_b32_e32 v72, 0xfc, v72
	v_and_b32_e32 v75, 3, v10
	v_or_b32_e32 v9, v9, v10
	v_or3_b32 v8, v72, v8, v75
	v_cmp_ne_u32_e32 vcc_lo, 0, v9
	v_cndmask_b32_e32 v72, 0, v8, vcc_lo
.LBB2_3402:                             ;   in Loop: Header=BB2_3185 Depth=3
	s_or_b32 exec_lo, exec_lo, s23
.LBB2_3403:                             ;   in Loop: Header=BB2_3185 Depth=3
	s_or_b32 exec_lo, exec_lo, s22
	v_cmp_gt_i16_sdwa s22, v11, v97 src0_sel:BYTE_3 src1_sel:DWORD
	s_mov_b32 s17, 0
	s_and_saveexec_b32 s23, s22
	s_xor_b32 s22, exec_lo, s23
	s_cbranch_execz .LBB2_3770
; %bb.3404:                             ;   in Loop: Header=BB2_3185 Depth=3
	v_cmp_eq_u16_sdwa s75, v11, v98 src0_sel:BYTE_3 src1_sel:DWORD
	s_mov_b32 s17, -1
	s_and_saveexec_b32 s23, s75
; %bb.3405:                             ;   in Loop: Header=BB2_3185 Depth=3
	s_xor_b32 s17, exec_lo, -1
; %bb.3406:                             ;   in Loop: Header=BB2_3185 Depth=3
	s_or_b32 exec_lo, exec_lo, s23
	s_and_b32 s17, s17, exec_lo
	s_or_saveexec_b32 s22, s22
	v_mov_b32_e32 v8, 0x7f800001
	s_xor_b32 exec_lo, exec_lo, s22
	s_cbranch_execnz .LBB2_3771
.LBB2_3407:                             ;   in Loop: Header=BB2_3185 Depth=3
	s_or_b32 exec_lo, exec_lo, s22
	s_and_saveexec_b32 s22, s17
	s_cbranch_execz .LBB2_3409
.LBB2_3408:                             ;   in Loop: Header=BB2_3185 Depth=3
	v_bfe_u32 v8, v11, 24, 2
	v_bfe_u32 v75, v11, 26, 5
	v_ffbh_u32_e32 v9, v8
	v_cmp_eq_u32_e32 vcc_lo, 0, v75
	v_min_u32_e32 v9, 32, v9
	v_subrev_nc_u32_e32 v10, 29, v9
	v_sub_nc_u32_e32 v9, 30, v9
	v_lshlrev_b32_sdwa v10, v10, v11 dst_sel:DWORD dst_unused:UNUSED_PAD src0_sel:DWORD src1_sel:BYTE_3
	v_cndmask_b32_e32 v9, v75, v9, vcc_lo
	v_and_b32_e32 v10, 3, v10
	v_lshl_add_u32 v9, v9, 23, 0x37800000
	v_cndmask_b32_e32 v8, v8, v10, vcc_lo
	v_and_b32_e32 v10, 0x80000000, v11
	v_lshlrev_b32_e32 v8, 21, v8
	v_or3_b32 v8, v10, v9, v8
.LBB2_3409:                             ;   in Loop: Header=BB2_3185 Depth=3
	s_or_b32 exec_lo, exec_lo, s22
	v_mul_f32_e32 v8, s18, v8
	v_mov_b32_e32 v75, 0x8000
	s_mov_b32 s18, exec_lo
	v_and_b32_e32 v9, 0x7f800000, v8
	v_cmpx_ne_u32_e32 0x7f800000, v9
	s_cbranch_execz .LBB2_3417
; %bb.3410:                             ;   in Loop: Header=BB2_3185 Depth=3
	v_mov_b32_e32 v75, 0
	s_mov_b32 s22, exec_lo
	v_cmpx_ne_u32_e32 0, v8
	s_cbranch_execz .LBB2_3416
; %bb.3411:                             ;   in Loop: Header=BB2_3185 Depth=3
	v_bfe_u32 v9, v8, 23, 8
	v_and_b32_e32 v10, 0x7fffff, v8
	v_sub_nc_u32_e32 v11, 0x70, v9
	v_cmp_gt_u32_e32 vcc_lo, 0x71, v9
	v_or_b32_e32 v75, 0x800000, v10
	v_cndmask_b32_e32 v11, 0, v11, vcc_lo
	v_cmp_eq_u32_e32 vcc_lo, 0, v9
	v_add_nc_u32_e32 v9, 0xffffff91, v9
	v_cndmask_b32_e64 v11, v11, 0x6f, vcc_lo
	v_cndmask_b32_e32 v10, v75, v10, vcc_lo
	v_cndmask_b32_e64 v9, v9, 0xffffff92, vcc_lo
	v_lshl_add_u32 v75, 0x200000, v11, -1
	v_lshrrev_b32_e32 v95, v11, v10
	v_lshlrev_b32_e64 v105, v11, 0x100000
	v_add_nc_u32_e32 v11, v11, v9
	v_and_b32_e32 v10, v75, v10
	v_bfe_u32 v104, v95, 21, 1
	v_cmp_eq_u32_e64 s17, v10, v105
	v_add_nc_u32_e32 v75, -1, v104
	v_cndmask_b32_e64 v10, 0, v75, s17
	v_lshrrev_b32_e32 v75, 23, v95
	s_mov_b32 s17, exec_lo
	v_add_nc_u32_e32 v10, v10, v95
	v_xor_b32_e32 v75, 1, v75
	v_and_b32_e32 v9, 0x1fffff, v10
	v_add_nc_u32_e32 v10, v9, v95
                                        ; implicit-def: $vgpr9
	v_cmpx_ne_u32_e64 v11, v75
	s_xor_b32 s17, exec_lo, s17
; %bb.3412:                             ;   in Loop: Header=BB2_3185 Depth=3
	v_cmp_lt_u32_e32 vcc_lo, 0xffffff, v10
	v_sub_nc_u32_e32 v9, v11, v75
	v_cndmask_b32_e64 v11, 0, 1, vcc_lo
	v_add_co_ci_u32_e64 v9, null, 0, v9, vcc_lo
	v_lshrrev_b32_e32 v10, v11, v10
; %bb.3413:                             ;   in Loop: Header=BB2_3185 Depth=3
	s_andn2_saveexec_b32 s17, s17
; %bb.3414:                             ;   in Loop: Header=BB2_3185 Depth=3
	v_bfe_u32 v9, v10, 23, 1
; %bb.3415:                             ;   in Loop: Header=BB2_3185 Depth=3
	s_or_b32 exec_lo, exec_lo, s17
	v_lshrrev_b32_e32 v10, 21, v10
	v_min_i32_e32 v11, 31, v9
	v_cmp_gt_i32_e32 vcc_lo, 32, v9
	v_and_b32_sdwa v8, v8, v98 dst_sel:DWORD dst_unused:UNUSED_PAD src0_sel:BYTE_3 src1_sel:DWORD
	v_lshlrev_b32_e32 v11, 2, v11
	v_cndmask_b32_e32 v10, 3, v10, vcc_lo
	v_and_b32_e32 v11, 0xfc, v11
	v_and_b32_e32 v75, 3, v10
	v_or_b32_e32 v9, v9, v10
	v_or3_b32 v8, v8, v11, v75
	v_cmp_ne_u32_e32 vcc_lo, 0, v9
	v_lshlrev_b32_e32 v8, 8, v8
	v_cndmask_b32_e32 v75, 0, v8, vcc_lo
.LBB2_3416:                             ;   in Loop: Header=BB2_3185 Depth=3
	s_or_b32 exec_lo, exec_lo, s22
.LBB2_3417:                             ;   in Loop: Header=BB2_3185 Depth=3
	s_or_b32 exec_lo, exec_lo, s18
	global_load_dwordx4 v[8:11], v[68:69], off slc
	v_or_b32_e32 v95, v74, v63
	s_mov_b32 s17, 0
	v_cmp_gt_i16_sdwa s18, v95, v97 src0_sel:BYTE_0 src1_sel:DWORD
	s_and_saveexec_b32 s22, s18
	s_xor_b32 s18, exec_lo, s22
	s_cbranch_execz .LBB2_3772
; %bb.3418:                             ;   in Loop: Header=BB2_3185 Depth=3
	v_cmp_eq_u16_sdwa s23, v95, v98 src0_sel:BYTE_0 src1_sel:DWORD
	s_mov_b32 s17, -1
	s_and_saveexec_b32 s22, s23
; %bb.3419:                             ;   in Loop: Header=BB2_3185 Depth=3
	s_xor_b32 s17, exec_lo, -1
; %bb.3420:                             ;   in Loop: Header=BB2_3185 Depth=3
	s_or_b32 exec_lo, exec_lo, s22
	s_and_b32 s17, s17, exec_lo
	s_or_saveexec_b32 s18, s18
	v_mov_b32_e32 v63, 0x7f800001
	s_xor_b32 exec_lo, exec_lo, s18
	s_cbranch_execnz .LBB2_3773
.LBB2_3421:                             ;   in Loop: Header=BB2_3185 Depth=3
	s_or_b32 exec_lo, exec_lo, s18
	s_and_saveexec_b32 s18, s17
	s_cbranch_execz .LBB2_3423
.LBB2_3422:                             ;   in Loop: Header=BB2_3185 Depth=3
	v_and_b32_e32 v63, 3, v95
	v_bfe_u32 v105, v95, 2, 5
	v_lshlrev_b32_e32 v106, 24, v95
	v_ffbh_u32_e32 v74, v63
	v_cmp_eq_u32_e32 vcc_lo, 0, v105
	v_min_u32_e32 v74, 32, v74
	v_subrev_nc_u32_e32 v104, 29, v74
	v_sub_nc_u32_e32 v74, 30, v74
	v_lshlrev_b32_e32 v104, v104, v95
	v_cndmask_b32_e32 v74, v105, v74, vcc_lo
	v_and_b32_e32 v104, 3, v104
	v_lshl_add_u32 v74, v74, 23, 0x37800000
	v_cndmask_b32_e32 v63, v63, v104, vcc_lo
	v_and_b32_e32 v104, 0x80000000, v106
	v_lshlrev_b32_e32 v63, 21, v63
	v_or3_b32 v63, v104, v74, v63
.LBB2_3423:                             ;   in Loop: Header=BB2_3185 Depth=3
	s_or_b32 exec_lo, exec_lo, s18
	s_waitcnt vmcnt(0)
	v_cmp_gt_i16_sdwa s18, v8, v97 src0_sel:BYTE_0 src1_sel:DWORD
	s_mov_b32 s17, 0
	s_and_saveexec_b32 s22, s18
	s_xor_b32 s18, exec_lo, s22
	s_cbranch_execz .LBB2_3774
; %bb.3424:                             ;   in Loop: Header=BB2_3185 Depth=3
	v_cmp_eq_u16_sdwa s23, v8, v98 src0_sel:BYTE_0 src1_sel:DWORD
	s_mov_b32 s17, -1
	s_and_saveexec_b32 s22, s23
; %bb.3425:                             ;   in Loop: Header=BB2_3185 Depth=3
	s_xor_b32 s17, exec_lo, -1
; %bb.3426:                             ;   in Loop: Header=BB2_3185 Depth=3
	s_or_b32 exec_lo, exec_lo, s22
	s_and_b32 s17, s17, exec_lo
	s_or_saveexec_b32 s18, s18
	v_mov_b32_e32 v74, 0x7f800001
	s_xor_b32 exec_lo, exec_lo, s18
	s_cbranch_execnz .LBB2_3775
.LBB2_3427:                             ;   in Loop: Header=BB2_3185 Depth=3
	s_or_b32 exec_lo, exec_lo, s18
	s_and_saveexec_b32 s18, s17
	s_cbranch_execz .LBB2_3429
.LBB2_3428:                             ;   in Loop: Header=BB2_3185 Depth=3
	v_and_b32_e32 v74, 3, v8
	v_bfe_u32 v106, v8, 2, 5
	v_lshlrev_b32_e32 v107, 24, v8
	v_ffbh_u32_e32 v104, v74
	v_cmp_eq_u32_e32 vcc_lo, 0, v106
	v_min_u32_e32 v104, 32, v104
	v_subrev_nc_u32_e32 v105, 29, v104
	v_sub_nc_u32_e32 v104, 30, v104
	v_lshlrev_b32_e32 v105, v105, v8
	v_cndmask_b32_e32 v104, v106, v104, vcc_lo
	v_and_b32_e32 v105, 3, v105
	v_lshl_add_u32 v104, v104, 23, 0x37800000
	v_cndmask_b32_e32 v74, v74, v105, vcc_lo
	v_and_b32_e32 v105, 0x80000000, v107
	v_lshlrev_b32_e32 v74, 21, v74
	v_or3_b32 v74, v105, v104, v74
.LBB2_3429:                             ;   in Loop: Header=BB2_3185 Depth=3
	s_or_b32 exec_lo, exec_lo, s18
	v_add_f32_e32 v74, v63, v74
	v_and_b32_e32 v63, 0x7f800000, v74
	v_cmp_ne_u32_e32 vcc_lo, 0x7f800000, v63
	v_mov_b32_e32 v63, 0x80
	s_and_saveexec_b32 s18, vcc_lo
	s_cbranch_execz .LBB2_3437
; %bb.3430:                             ;   in Loop: Header=BB2_3185 Depth=3
	v_mov_b32_e32 v63, 0
	s_mov_b32 s22, exec_lo
	v_cmpx_ne_u32_e32 0, v74
	s_cbranch_execz .LBB2_3436
; %bb.3431:                             ;   in Loop: Header=BB2_3185 Depth=3
	v_bfe_u32 v63, v74, 23, 8
	v_and_b32_e32 v104, 0x7fffff, v74
	v_sub_nc_u32_e32 v105, 0x70, v63
	v_cmp_gt_u32_e32 vcc_lo, 0x71, v63
	v_or_b32_e32 v106, 0x800000, v104
	v_cndmask_b32_e32 v105, 0, v105, vcc_lo
	v_cmp_eq_u32_e32 vcc_lo, 0, v63
	v_add_nc_u32_e32 v63, 0xffffff91, v63
	v_cndmask_b32_e64 v105, v105, 0x6f, vcc_lo
	v_cndmask_b32_e32 v104, v106, v104, vcc_lo
	v_cndmask_b32_e64 v63, v63, 0xffffff92, vcc_lo
	v_lshl_add_u32 v106, 0x200000, v105, -1
	v_lshrrev_b32_e32 v107, v105, v104
	v_lshlrev_b32_e64 v109, v105, 0x100000
	v_add_nc_u32_e32 v105, v105, v63
	v_and_b32_e32 v104, v106, v104
	v_bfe_u32 v108, v107, 21, 1
	v_cmp_eq_u32_e64 s17, v104, v109
	v_add_nc_u32_e32 v106, -1, v108
	v_cndmask_b32_e64 v104, 0, v106, s17
	v_lshrrev_b32_e32 v106, 23, v107
	s_mov_b32 s17, exec_lo
	v_add_nc_u32_e32 v104, v104, v107
	v_xor_b32_e32 v106, 1, v106
	v_and_b32_e32 v63, 0x1fffff, v104
	v_add_nc_u32_e32 v104, v63, v107
                                        ; implicit-def: $vgpr63
	v_cmpx_ne_u32_e64 v105, v106
	s_xor_b32 s17, exec_lo, s17
; %bb.3432:                             ;   in Loop: Header=BB2_3185 Depth=3
	v_cmp_lt_u32_e32 vcc_lo, 0xffffff, v104
	v_sub_nc_u32_e32 v63, v105, v106
	v_cndmask_b32_e64 v105, 0, 1, vcc_lo
	v_add_co_ci_u32_e64 v63, null, 0, v63, vcc_lo
	v_lshrrev_b32_e32 v104, v105, v104
; %bb.3433:                             ;   in Loop: Header=BB2_3185 Depth=3
	s_andn2_saveexec_b32 s17, s17
; %bb.3434:                             ;   in Loop: Header=BB2_3185 Depth=3
	v_bfe_u32 v63, v104, 23, 1
; %bb.3435:                             ;   in Loop: Header=BB2_3185 Depth=3
	s_or_b32 exec_lo, exec_lo, s17
	v_lshrrev_b32_e32 v104, 21, v104
	v_min_i32_e32 v105, 31, v63
	v_cmp_gt_i32_e32 vcc_lo, 32, v63
	v_and_b32_sdwa v74, v74, v98 dst_sel:DWORD dst_unused:UNUSED_PAD src0_sel:BYTE_3 src1_sel:DWORD
	v_lshlrev_b32_e32 v105, 2, v105
	v_cndmask_b32_e32 v104, 3, v104, vcc_lo
	v_and_b32_e32 v105, 0xfc, v105
	v_and_b32_e32 v106, 3, v104
	v_or_b32_e32 v63, v63, v104
	v_or3_b32 v74, v105, v74, v106
	v_cmp_ne_u32_e32 vcc_lo, 0, v63
	v_cndmask_b32_e32 v63, 0, v74, vcc_lo
.LBB2_3436:                             ;   in Loop: Header=BB2_3185 Depth=3
	s_or_b32 exec_lo, exec_lo, s22
.LBB2_3437:                             ;   in Loop: Header=BB2_3185 Depth=3
	s_or_b32 exec_lo, exec_lo, s18
	v_cmp_gt_i16_sdwa s18, v95, v97 src0_sel:BYTE_1 src1_sel:DWORD
	s_mov_b32 s17, 0
	s_and_saveexec_b32 s22, s18
	s_xor_b32 s18, exec_lo, s22
	s_cbranch_execz .LBB2_3776
; %bb.3438:                             ;   in Loop: Header=BB2_3185 Depth=3
	v_cmp_eq_u16_sdwa s23, v95, v98 src0_sel:BYTE_1 src1_sel:DWORD
	s_mov_b32 s17, -1
	s_and_saveexec_b32 s22, s23
; %bb.3439:                             ;   in Loop: Header=BB2_3185 Depth=3
	s_xor_b32 s17, exec_lo, -1
; %bb.3440:                             ;   in Loop: Header=BB2_3185 Depth=3
	s_or_b32 exec_lo, exec_lo, s22
	s_and_b32 s17, s17, exec_lo
	s_or_saveexec_b32 s18, s18
	v_mov_b32_e32 v74, 0x7f800001
	s_xor_b32 exec_lo, exec_lo, s18
	s_cbranch_execnz .LBB2_3777
.LBB2_3441:                             ;   in Loop: Header=BB2_3185 Depth=3
	s_or_b32 exec_lo, exec_lo, s18
	s_and_saveexec_b32 s18, s17
	s_cbranch_execz .LBB2_3443
.LBB2_3442:                             ;   in Loop: Header=BB2_3185 Depth=3
	v_and_b32_sdwa v74, v99, v95 dst_sel:DWORD dst_unused:UNUSED_PAD src0_sel:DWORD src1_sel:BYTE_1
	v_and_b32_e32 v104, 3, v74
	v_bfe_u32 v107, v74, 2, 5
	v_ffbh_u32_e32 v105, v104
	v_cmp_eq_u32_e32 vcc_lo, 0, v107
	v_min_u32_e32 v105, 32, v105
	v_subrev_nc_u32_e32 v106, 29, v105
	v_sub_nc_u32_e32 v105, 30, v105
	v_lshlrev_b32_e32 v74, v106, v74
	v_lshlrev_b32_sdwa v106, v100, v95 dst_sel:DWORD dst_unused:UNUSED_PAD src0_sel:DWORD src1_sel:BYTE_1
	v_cndmask_b32_e32 v105, v107, v105, vcc_lo
	v_and_b32_e32 v74, 3, v74
	v_lshl_add_u32 v105, v105, 23, 0x37800000
	v_cndmask_b32_e32 v74, v104, v74, vcc_lo
	v_and_b32_e32 v104, 0x80000000, v106
	v_lshlrev_b32_e32 v74, 21, v74
	v_or3_b32 v74, v104, v105, v74
.LBB2_3443:                             ;   in Loop: Header=BB2_3185 Depth=3
	s_or_b32 exec_lo, exec_lo, s18
	v_cmp_gt_i16_sdwa s18, v8, v97 src0_sel:BYTE_1 src1_sel:DWORD
	s_mov_b32 s17, 0
	s_and_saveexec_b32 s22, s18
	s_xor_b32 s18, exec_lo, s22
	s_cbranch_execz .LBB2_3778
; %bb.3444:                             ;   in Loop: Header=BB2_3185 Depth=3
	v_cmp_eq_u16_sdwa s23, v8, v98 src0_sel:BYTE_1 src1_sel:DWORD
	s_mov_b32 s17, -1
	s_and_saveexec_b32 s22, s23
; %bb.3445:                             ;   in Loop: Header=BB2_3185 Depth=3
	s_xor_b32 s17, exec_lo, -1
; %bb.3446:                             ;   in Loop: Header=BB2_3185 Depth=3
	s_or_b32 exec_lo, exec_lo, s22
	s_and_b32 s17, s17, exec_lo
	s_or_saveexec_b32 s18, s18
	v_mov_b32_e32 v104, 0x7f800001
	s_xor_b32 exec_lo, exec_lo, s18
	s_cbranch_execnz .LBB2_3779
.LBB2_3447:                             ;   in Loop: Header=BB2_3185 Depth=3
	s_or_b32 exec_lo, exec_lo, s18
	s_and_saveexec_b32 s18, s17
	s_cbranch_execz .LBB2_3449
.LBB2_3448:                             ;   in Loop: Header=BB2_3185 Depth=3
	v_and_b32_sdwa v104, v99, v8 dst_sel:DWORD dst_unused:UNUSED_PAD src0_sel:DWORD src1_sel:BYTE_1
	v_and_b32_e32 v105, 3, v104
	v_bfe_u32 v108, v104, 2, 5
	v_ffbh_u32_e32 v106, v105
	v_cmp_eq_u32_e32 vcc_lo, 0, v108
	v_min_u32_e32 v106, 32, v106
	v_subrev_nc_u32_e32 v107, 29, v106
	v_sub_nc_u32_e32 v106, 30, v106
	v_lshlrev_b32_e32 v104, v107, v104
	v_lshlrev_b32_sdwa v107, v100, v8 dst_sel:DWORD dst_unused:UNUSED_PAD src0_sel:DWORD src1_sel:BYTE_1
	v_cndmask_b32_e32 v106, v108, v106, vcc_lo
	v_and_b32_e32 v104, 3, v104
	v_lshl_add_u32 v106, v106, 23, 0x37800000
	v_cndmask_b32_e32 v104, v105, v104, vcc_lo
	v_and_b32_e32 v105, 0x80000000, v107
	v_lshlrev_b32_e32 v104, 21, v104
	v_or3_b32 v104, v105, v106, v104
.LBB2_3449:                             ;   in Loop: Header=BB2_3185 Depth=3
	s_or_b32 exec_lo, exec_lo, s18
	v_add_f32_e32 v104, v74, v104
	v_and_b32_e32 v74, 0x7f800000, v104
	v_cmp_ne_u32_e32 vcc_lo, 0x7f800000, v74
	v_mov_b32_e32 v74, 0x8000
	s_and_saveexec_b32 s18, vcc_lo
	s_cbranch_execz .LBB2_3457
; %bb.3450:                             ;   in Loop: Header=BB2_3185 Depth=3
	v_mov_b32_e32 v74, 0
	s_mov_b32 s22, exec_lo
	v_cmpx_ne_u32_e32 0, v104
	s_cbranch_execz .LBB2_3456
; %bb.3451:                             ;   in Loop: Header=BB2_3185 Depth=3
	v_bfe_u32 v74, v104, 23, 8
	v_and_b32_e32 v105, 0x7fffff, v104
	v_sub_nc_u32_e32 v106, 0x70, v74
	v_cmp_gt_u32_e32 vcc_lo, 0x71, v74
	v_or_b32_e32 v107, 0x800000, v105
	v_cndmask_b32_e32 v106, 0, v106, vcc_lo
	v_cmp_eq_u32_e32 vcc_lo, 0, v74
	v_add_nc_u32_e32 v74, 0xffffff91, v74
	v_cndmask_b32_e64 v106, v106, 0x6f, vcc_lo
	v_cndmask_b32_e32 v105, v107, v105, vcc_lo
	v_cndmask_b32_e64 v74, v74, 0xffffff92, vcc_lo
	v_lshl_add_u32 v107, 0x200000, v106, -1
	v_lshrrev_b32_e32 v108, v106, v105
	v_lshlrev_b32_e64 v110, v106, 0x100000
	v_add_nc_u32_e32 v106, v106, v74
	v_and_b32_e32 v105, v107, v105
	v_bfe_u32 v109, v108, 21, 1
	v_cmp_eq_u32_e64 s17, v105, v110
	v_add_nc_u32_e32 v107, -1, v109
	v_cndmask_b32_e64 v105, 0, v107, s17
	v_lshrrev_b32_e32 v107, 23, v108
	s_mov_b32 s17, exec_lo
	v_add_nc_u32_e32 v105, v105, v108
	v_xor_b32_e32 v107, 1, v107
	v_and_b32_e32 v74, 0x1fffff, v105
	v_add_nc_u32_e32 v105, v74, v108
                                        ; implicit-def: $vgpr74
	v_cmpx_ne_u32_e64 v106, v107
	s_xor_b32 s17, exec_lo, s17
; %bb.3452:                             ;   in Loop: Header=BB2_3185 Depth=3
	v_cmp_lt_u32_e32 vcc_lo, 0xffffff, v105
	v_sub_nc_u32_e32 v74, v106, v107
	v_cndmask_b32_e64 v106, 0, 1, vcc_lo
	v_add_co_ci_u32_e64 v74, null, 0, v74, vcc_lo
	v_lshrrev_b32_e32 v105, v106, v105
; %bb.3453:                             ;   in Loop: Header=BB2_3185 Depth=3
	s_andn2_saveexec_b32 s17, s17
; %bb.3454:                             ;   in Loop: Header=BB2_3185 Depth=3
	v_bfe_u32 v74, v105, 23, 1
; %bb.3455:                             ;   in Loop: Header=BB2_3185 Depth=3
	s_or_b32 exec_lo, exec_lo, s17
	v_lshrrev_b32_e32 v105, 21, v105
	v_min_i32_e32 v106, 31, v74
	v_cmp_gt_i32_e32 vcc_lo, 32, v74
	v_and_b32_sdwa v104, v104, v98 dst_sel:DWORD dst_unused:UNUSED_PAD src0_sel:BYTE_3 src1_sel:DWORD
	v_lshlrev_b32_e32 v106, 2, v106
	v_cndmask_b32_e32 v105, 3, v105, vcc_lo
	v_and_b32_e32 v106, 0xfc, v106
	v_and_b32_e32 v107, 3, v105
	v_or_b32_e32 v74, v74, v105
	v_or3_b32 v104, v104, v106, v107
	v_cmp_ne_u32_e32 vcc_lo, 0, v74
	v_lshlrev_b32_e32 v104, 8, v104
	v_cndmask_b32_e32 v74, 0, v104, vcc_lo
.LBB2_3456:                             ;   in Loop: Header=BB2_3185 Depth=3
	s_or_b32 exec_lo, exec_lo, s22
.LBB2_3457:                             ;   in Loop: Header=BB2_3185 Depth=3
	s_or_b32 exec_lo, exec_lo, s18
	v_or_b32_e32 v94, v94, v79
	s_mov_b32 s17, 0
	v_cmp_gt_i16_sdwa s18, v94, v97 src0_sel:BYTE_0 src1_sel:DWORD
	s_and_saveexec_b32 s22, s18
	s_xor_b32 s18, exec_lo, s22
	s_cbranch_execz .LBB2_3780
; %bb.3458:                             ;   in Loop: Header=BB2_3185 Depth=3
	v_cmp_eq_u16_sdwa s23, v94, v98 src0_sel:BYTE_0 src1_sel:DWORD
	s_mov_b32 s17, -1
	s_and_saveexec_b32 s22, s23
; %bb.3459:                             ;   in Loop: Header=BB2_3185 Depth=3
	s_xor_b32 s17, exec_lo, -1
; %bb.3460:                             ;   in Loop: Header=BB2_3185 Depth=3
	s_or_b32 exec_lo, exec_lo, s22
	s_and_b32 s17, s17, exec_lo
	s_or_saveexec_b32 s18, s18
	v_mov_b32_e32 v79, 0x7f800001
	s_xor_b32 exec_lo, exec_lo, s18
	s_cbranch_execnz .LBB2_3781
.LBB2_3461:                             ;   in Loop: Header=BB2_3185 Depth=3
	s_or_b32 exec_lo, exec_lo, s18
	v_lshl_or_b32 v94, v94, 16, v95
	s_and_saveexec_b32 s18, s17
	s_cbranch_execz .LBB2_3463
.LBB2_3462:                             ;   in Loop: Header=BB2_3185 Depth=3
	v_bfe_u32 v79, v94, 16, 2
	v_bfe_u32 v105, v94, 18, 5
	v_lshlrev_b32_e32 v106, 8, v94
	v_ffbh_u32_e32 v95, v79
	v_cmp_eq_u32_e32 vcc_lo, 0, v105
	v_min_u32_e32 v95, 32, v95
	v_subrev_nc_u32_e32 v104, 29, v95
	v_sub_nc_u32_e32 v95, 30, v95
	v_lshlrev_b32_sdwa v104, v104, v94 dst_sel:DWORD dst_unused:UNUSED_PAD src0_sel:DWORD src1_sel:WORD_1
	v_cndmask_b32_e32 v95, v105, v95, vcc_lo
	v_and_b32_e32 v104, 3, v104
	v_lshl_add_u32 v95, v95, 23, 0x37800000
	v_cndmask_b32_e32 v79, v79, v104, vcc_lo
	v_and_b32_e32 v104, 0x80000000, v106
	v_lshlrev_b32_e32 v79, 21, v79
	v_or3_b32 v79, v104, v95, v79
.LBB2_3463:                             ;   in Loop: Header=BB2_3185 Depth=3
	s_or_b32 exec_lo, exec_lo, s18
	v_and_b32_sdwa v104, v8, v101 dst_sel:DWORD dst_unused:UNUSED_PAD src0_sel:WORD_1 src1_sel:DWORD
	s_mov_b32 s17, 0
	s_mov_b32 s18, exec_lo
	v_cmpx_lt_i16_e32 0x7f, v104
	s_xor_b32 s18, exec_lo, s18
	s_cbranch_execz .LBB2_3782
; %bb.3464:                             ;   in Loop: Header=BB2_3185 Depth=3
	s_mov_b32 s17, -1
	s_mov_b32 s22, exec_lo
	v_cmpx_eq_u16_e32 0x80, v104
; %bb.3465:                             ;   in Loop: Header=BB2_3185 Depth=3
	s_xor_b32 s17, exec_lo, -1
; %bb.3466:                             ;   in Loop: Header=BB2_3185 Depth=3
	s_or_b32 exec_lo, exec_lo, s22
	s_and_b32 s17, s17, exec_lo
                                        ; implicit-def: $vgpr104
	s_or_saveexec_b32 s18, s18
	v_mov_b32_e32 v95, 0x7f800001
	s_xor_b32 exec_lo, exec_lo, s18
	s_cbranch_execnz .LBB2_3783
.LBB2_3467:                             ;   in Loop: Header=BB2_3185 Depth=3
	s_or_b32 exec_lo, exec_lo, s18
	s_and_saveexec_b32 s18, s17
	s_cbranch_execz .LBB2_3469
.LBB2_3468:                             ;   in Loop: Header=BB2_3185 Depth=3
	v_and_b32_sdwa v95, v8, v103 dst_sel:DWORD dst_unused:UNUSED_PAD src0_sel:WORD_1 src1_sel:DWORD
	v_bfe_u32 v106, v8, 18, 5
	v_lshlrev_b32_sdwa v107, v100, v8 dst_sel:DWORD dst_unused:UNUSED_PAD src0_sel:DWORD src1_sel:WORD_1
	v_ffbh_u32_e32 v104, v95
	v_cmp_eq_u32_e32 vcc_lo, 0, v106
	v_min_u32_e32 v104, 32, v104
	v_subrev_nc_u32_e32 v105, 29, v104
	v_sub_nc_u32_e32 v104, 30, v104
	v_lshlrev_b32_sdwa v105, v105, v8 dst_sel:DWORD dst_unused:UNUSED_PAD src0_sel:DWORD src1_sel:WORD_1
	v_cndmask_b32_e32 v104, v106, v104, vcc_lo
	v_and_b32_e32 v105, 3, v105
	v_lshl_add_u32 v104, v104, 23, 0x37800000
	v_cndmask_b32_e32 v95, v95, v105, vcc_lo
	v_and_b32_e32 v105, 0x80000000, v107
	v_lshlrev_b32_e32 v95, 21, v95
	v_or3_b32 v95, v105, v104, v95
.LBB2_3469:                             ;   in Loop: Header=BB2_3185 Depth=3
	s_or_b32 exec_lo, exec_lo, s18
	v_add_f32_e32 v95, v79, v95
	v_and_b32_e32 v79, 0x7f800000, v95
	v_cmp_ne_u32_e32 vcc_lo, 0x7f800000, v79
	v_mov_b32_e32 v79, 0x80
	s_and_saveexec_b32 s18, vcc_lo
	s_cbranch_execz .LBB2_3477
; %bb.3470:                             ;   in Loop: Header=BB2_3185 Depth=3
	v_mov_b32_e32 v79, 0
	s_mov_b32 s22, exec_lo
	v_cmpx_ne_u32_e32 0, v95
	s_cbranch_execz .LBB2_3476
; %bb.3471:                             ;   in Loop: Header=BB2_3185 Depth=3
	v_bfe_u32 v79, v95, 23, 8
	v_and_b32_e32 v104, 0x7fffff, v95
	v_sub_nc_u32_e32 v105, 0x70, v79
	v_cmp_gt_u32_e32 vcc_lo, 0x71, v79
	v_or_b32_e32 v106, 0x800000, v104
	v_cndmask_b32_e32 v105, 0, v105, vcc_lo
	v_cmp_eq_u32_e32 vcc_lo, 0, v79
	v_add_nc_u32_e32 v79, 0xffffff91, v79
	v_cndmask_b32_e64 v105, v105, 0x6f, vcc_lo
	v_cndmask_b32_e32 v104, v106, v104, vcc_lo
	v_cndmask_b32_e64 v79, v79, 0xffffff92, vcc_lo
	v_lshl_add_u32 v106, 0x200000, v105, -1
	v_lshrrev_b32_e32 v107, v105, v104
	v_lshlrev_b32_e64 v109, v105, 0x100000
	v_add_nc_u32_e32 v105, v105, v79
	v_and_b32_e32 v104, v106, v104
	v_bfe_u32 v108, v107, 21, 1
	v_cmp_eq_u32_e64 s17, v104, v109
	v_add_nc_u32_e32 v106, -1, v108
	v_cndmask_b32_e64 v104, 0, v106, s17
	v_lshrrev_b32_e32 v106, 23, v107
	s_mov_b32 s17, exec_lo
	v_add_nc_u32_e32 v104, v104, v107
	v_xor_b32_e32 v106, 1, v106
	v_and_b32_e32 v79, 0x1fffff, v104
	v_add_nc_u32_e32 v104, v79, v107
                                        ; implicit-def: $vgpr79
	v_cmpx_ne_u32_e64 v105, v106
	s_xor_b32 s17, exec_lo, s17
; %bb.3472:                             ;   in Loop: Header=BB2_3185 Depth=3
	v_cmp_lt_u32_e32 vcc_lo, 0xffffff, v104
	v_sub_nc_u32_e32 v79, v105, v106
	v_cndmask_b32_e64 v105, 0, 1, vcc_lo
	v_add_co_ci_u32_e64 v79, null, 0, v79, vcc_lo
	v_lshrrev_b32_e32 v104, v105, v104
; %bb.3473:                             ;   in Loop: Header=BB2_3185 Depth=3
	s_andn2_saveexec_b32 s17, s17
; %bb.3474:                             ;   in Loop: Header=BB2_3185 Depth=3
	v_bfe_u32 v79, v104, 23, 1
; %bb.3475:                             ;   in Loop: Header=BB2_3185 Depth=3
	s_or_b32 exec_lo, exec_lo, s17
	v_lshrrev_b32_e32 v104, 21, v104
	v_min_i32_e32 v105, 31, v79
	v_cmp_gt_i32_e32 vcc_lo, 32, v79
	v_and_b32_sdwa v95, v95, v98 dst_sel:DWORD dst_unused:UNUSED_PAD src0_sel:BYTE_3 src1_sel:DWORD
	v_lshlrev_b32_e32 v105, 2, v105
	v_cndmask_b32_e32 v104, 3, v104, vcc_lo
	v_and_b32_e32 v105, 0xfc, v105
	v_and_b32_e32 v106, 3, v104
	v_or_b32_e32 v79, v79, v104
	v_or3_b32 v95, v105, v95, v106
	v_cmp_ne_u32_e32 vcc_lo, 0, v79
	v_cndmask_b32_e32 v79, 0, v95, vcc_lo
.LBB2_3476:                             ;   in Loop: Header=BB2_3185 Depth=3
	s_or_b32 exec_lo, exec_lo, s22
.LBB2_3477:                             ;   in Loop: Header=BB2_3185 Depth=3
	s_or_b32 exec_lo, exec_lo, s18
	v_cmp_gt_i16_sdwa s18, v94, v97 src0_sel:BYTE_3 src1_sel:DWORD
	s_mov_b32 s17, 0
	s_and_saveexec_b32 s22, s18
	s_xor_b32 s18, exec_lo, s22
	s_cbranch_execz .LBB2_3784
; %bb.3478:                             ;   in Loop: Header=BB2_3185 Depth=3
	v_cmp_eq_u16_sdwa s23, v94, v98 src0_sel:BYTE_3 src1_sel:DWORD
	s_mov_b32 s17, -1
	s_and_saveexec_b32 s22, s23
; %bb.3479:                             ;   in Loop: Header=BB2_3185 Depth=3
	s_xor_b32 s17, exec_lo, -1
; %bb.3480:                             ;   in Loop: Header=BB2_3185 Depth=3
	s_or_b32 exec_lo, exec_lo, s22
	s_and_b32 s17, s17, exec_lo
	s_or_saveexec_b32 s18, s18
	v_mov_b32_e32 v95, 0x7f800001
	s_xor_b32 exec_lo, exec_lo, s18
	s_cbranch_execnz .LBB2_3785
.LBB2_3481:                             ;   in Loop: Header=BB2_3185 Depth=3
	s_or_b32 exec_lo, exec_lo, s18
	s_and_saveexec_b32 s18, s17
	s_cbranch_execz .LBB2_3483
.LBB2_3482:                             ;   in Loop: Header=BB2_3185 Depth=3
	v_bfe_u32 v95, v94, 24, 2
	v_bfe_u32 v106, v94, 26, 5
	v_ffbh_u32_e32 v104, v95
	v_cmp_eq_u32_e32 vcc_lo, 0, v106
	v_min_u32_e32 v104, 32, v104
	v_subrev_nc_u32_e32 v105, 29, v104
	v_sub_nc_u32_e32 v104, 30, v104
	v_lshlrev_b32_sdwa v105, v105, v94 dst_sel:DWORD dst_unused:UNUSED_PAD src0_sel:DWORD src1_sel:BYTE_3
	v_cndmask_b32_e32 v104, v106, v104, vcc_lo
	v_and_b32_e32 v94, 0x80000000, v94
	v_and_b32_e32 v105, 3, v105
	v_lshl_add_u32 v104, v104, 23, 0x37800000
	v_cndmask_b32_e32 v95, v95, v105, vcc_lo
	v_lshlrev_b32_e32 v95, 21, v95
	v_or3_b32 v95, v94, v104, v95
.LBB2_3483:                             ;   in Loop: Header=BB2_3185 Depth=3
	s_or_b32 exec_lo, exec_lo, s18
	v_cmp_gt_i16_sdwa s18, v8, v97 src0_sel:BYTE_3 src1_sel:DWORD
	s_mov_b32 s17, 0
	s_and_saveexec_b32 s22, s18
	s_xor_b32 s18, exec_lo, s22
	s_cbranch_execz .LBB2_3786
; %bb.3484:                             ;   in Loop: Header=BB2_3185 Depth=3
	v_cmp_eq_u16_sdwa s23, v8, v98 src0_sel:BYTE_3 src1_sel:DWORD
	s_mov_b32 s17, -1
	s_and_saveexec_b32 s22, s23
; %bb.3485:                             ;   in Loop: Header=BB2_3185 Depth=3
	s_xor_b32 s17, exec_lo, -1
; %bb.3486:                             ;   in Loop: Header=BB2_3185 Depth=3
	s_or_b32 exec_lo, exec_lo, s22
	s_and_b32 s17, s17, exec_lo
	s_or_saveexec_b32 s18, s18
	v_mov_b32_e32 v94, 0x7f800001
	s_xor_b32 exec_lo, exec_lo, s18
	s_cbranch_execnz .LBB2_3787
.LBB2_3487:                             ;   in Loop: Header=BB2_3185 Depth=3
	s_or_b32 exec_lo, exec_lo, s18
	s_and_saveexec_b32 s18, s17
	s_cbranch_execz .LBB2_3489
.LBB2_3488:                             ;   in Loop: Header=BB2_3185 Depth=3
	v_and_b32_sdwa v94, v8, v103 dst_sel:DWORD dst_unused:UNUSED_PAD src0_sel:BYTE_3 src1_sel:DWORD
	v_bfe_u32 v106, v8, 26, 5
	v_ffbh_u32_e32 v104, v94
	v_cmp_eq_u32_e32 vcc_lo, 0, v106
	v_min_u32_e32 v104, 32, v104
	v_subrev_nc_u32_e32 v105, 29, v104
	v_sub_nc_u32_e32 v104, 30, v104
	v_lshlrev_b32_sdwa v105, v105, v8 dst_sel:DWORD dst_unused:UNUSED_PAD src0_sel:DWORD src1_sel:BYTE_3
	v_cndmask_b32_e32 v104, v106, v104, vcc_lo
	v_and_b32_e32 v8, 0x80000000, v8
	v_and_b32_e32 v105, 3, v105
	v_lshl_add_u32 v104, v104, 23, 0x37800000
	v_cndmask_b32_e32 v94, v94, v105, vcc_lo
	v_lshlrev_b32_e32 v94, 21, v94
	v_or3_b32 v94, v8, v104, v94
.LBB2_3489:                             ;   in Loop: Header=BB2_3185 Depth=3
	s_or_b32 exec_lo, exec_lo, s18
	v_add_f32_e32 v94, v95, v94
	v_and_b32_e32 v8, 0x7f800000, v94
	v_cmp_ne_u32_e32 vcc_lo, 0x7f800000, v8
	v_mov_b32_e32 v8, 0x8000
	s_and_saveexec_b32 s18, vcc_lo
	s_cbranch_execz .LBB2_3497
; %bb.3490:                             ;   in Loop: Header=BB2_3185 Depth=3
	v_mov_b32_e32 v8, 0
	s_mov_b32 s22, exec_lo
	v_cmpx_ne_u32_e32 0, v94
	s_cbranch_execz .LBB2_3496
; %bb.3491:                             ;   in Loop: Header=BB2_3185 Depth=3
	v_bfe_u32 v8, v94, 23, 8
	v_and_b32_e32 v95, 0x7fffff, v94
	v_sub_nc_u32_e32 v104, 0x70, v8
	v_cmp_gt_u32_e32 vcc_lo, 0x71, v8
	v_or_b32_e32 v105, 0x800000, v95
	v_cndmask_b32_e32 v104, 0, v104, vcc_lo
	v_cmp_eq_u32_e32 vcc_lo, 0, v8
	v_add_nc_u32_e32 v8, 0xffffff91, v8
	v_cndmask_b32_e64 v104, v104, 0x6f, vcc_lo
	v_cndmask_b32_e32 v95, v105, v95, vcc_lo
	v_cndmask_b32_e64 v8, v8, 0xffffff92, vcc_lo
	v_lshl_add_u32 v105, 0x200000, v104, -1
	v_lshrrev_b32_e32 v106, v104, v95
	v_lshlrev_b32_e64 v108, v104, 0x100000
	v_add_nc_u32_e32 v104, v104, v8
	v_and_b32_e32 v95, v105, v95
	v_bfe_u32 v107, v106, 21, 1
	v_cmp_eq_u32_e64 s17, v95, v108
	v_add_nc_u32_e32 v105, -1, v107
	v_cndmask_b32_e64 v95, 0, v105, s17
	v_lshrrev_b32_e32 v105, 23, v106
	s_mov_b32 s17, exec_lo
	v_add_nc_u32_e32 v95, v95, v106
	v_xor_b32_e32 v105, 1, v105
	v_and_b32_e32 v8, 0x1fffff, v95
	v_add_nc_u32_e32 v95, v8, v106
                                        ; implicit-def: $vgpr8
	v_cmpx_ne_u32_e64 v104, v105
	s_xor_b32 s17, exec_lo, s17
; %bb.3492:                             ;   in Loop: Header=BB2_3185 Depth=3
	v_cmp_lt_u32_e32 vcc_lo, 0xffffff, v95
	v_sub_nc_u32_e32 v8, v104, v105
	v_cndmask_b32_e64 v104, 0, 1, vcc_lo
	v_add_co_ci_u32_e64 v8, null, 0, v8, vcc_lo
	v_lshrrev_b32_e32 v95, v104, v95
; %bb.3493:                             ;   in Loop: Header=BB2_3185 Depth=3
	s_andn2_saveexec_b32 s17, s17
; %bb.3494:                             ;   in Loop: Header=BB2_3185 Depth=3
	v_bfe_u32 v8, v95, 23, 1
; %bb.3495:                             ;   in Loop: Header=BB2_3185 Depth=3
	s_or_b32 exec_lo, exec_lo, s17
	v_lshrrev_b32_e32 v95, 21, v95
	v_min_i32_e32 v104, 31, v8
	v_cmp_gt_i32_e32 vcc_lo, 32, v8
	v_and_b32_sdwa v94, v94, v98 dst_sel:DWORD dst_unused:UNUSED_PAD src0_sel:BYTE_3 src1_sel:DWORD
	v_lshlrev_b32_e32 v104, 2, v104
	v_cndmask_b32_e32 v95, 3, v95, vcc_lo
	v_and_b32_e32 v104, 0xfc, v104
	v_and_b32_e32 v105, 3, v95
	v_or_b32_e32 v8, v8, v95
	v_or3_b32 v94, v94, v104, v105
	v_cmp_ne_u32_e32 vcc_lo, 0, v8
	v_lshlrev_b32_e32 v94, 8, v94
	v_cndmask_b32_e32 v8, 0, v94, vcc_lo
.LBB2_3496:                             ;   in Loop: Header=BB2_3185 Depth=3
	s_or_b32 exec_lo, exec_lo, s22
.LBB2_3497:                             ;   in Loop: Header=BB2_3185 Depth=3
	s_or_b32 exec_lo, exec_lo, s18
	v_or_b32_e32 v94, v93, v91
	s_mov_b32 s17, 0
	v_cmp_gt_i16_sdwa s18, v94, v97 src0_sel:BYTE_0 src1_sel:DWORD
	s_and_saveexec_b32 s22, s18
	s_xor_b32 s18, exec_lo, s22
	s_cbranch_execz .LBB2_3788
; %bb.3498:                             ;   in Loop: Header=BB2_3185 Depth=3
	v_cmp_eq_u16_sdwa s23, v94, v98 src0_sel:BYTE_0 src1_sel:DWORD
	s_mov_b32 s17, -1
	s_and_saveexec_b32 s22, s23
; %bb.3499:                             ;   in Loop: Header=BB2_3185 Depth=3
	s_xor_b32 s17, exec_lo, -1
; %bb.3500:                             ;   in Loop: Header=BB2_3185 Depth=3
	s_or_b32 exec_lo, exec_lo, s22
	s_and_b32 s17, s17, exec_lo
	s_or_saveexec_b32 s18, s18
	v_mov_b32_e32 v91, 0x7f800001
	s_xor_b32 exec_lo, exec_lo, s18
	s_cbranch_execnz .LBB2_3789
.LBB2_3501:                             ;   in Loop: Header=BB2_3185 Depth=3
	s_or_b32 exec_lo, exec_lo, s18
	s_and_saveexec_b32 s18, s17
	s_cbranch_execz .LBB2_3503
.LBB2_3502:                             ;   in Loop: Header=BB2_3185 Depth=3
	v_and_b32_e32 v91, 3, v94
	v_bfe_u32 v104, v94, 2, 5
	v_lshlrev_b32_e32 v105, 24, v94
	v_ffbh_u32_e32 v93, v91
	v_cmp_eq_u32_e32 vcc_lo, 0, v104
	v_min_u32_e32 v93, 32, v93
	v_subrev_nc_u32_e32 v95, 29, v93
	v_sub_nc_u32_e32 v93, 30, v93
	v_lshlrev_b32_e32 v95, v95, v94
	v_cndmask_b32_e32 v93, v104, v93, vcc_lo
	v_and_b32_e32 v95, 3, v95
	v_lshl_add_u32 v93, v93, 23, 0x37800000
	v_cndmask_b32_e32 v91, v91, v95, vcc_lo
	v_and_b32_e32 v95, 0x80000000, v105
	v_lshlrev_b32_e32 v91, 21, v91
	v_or3_b32 v91, v95, v93, v91
.LBB2_3503:                             ;   in Loop: Header=BB2_3185 Depth=3
	s_or_b32 exec_lo, exec_lo, s18
	v_cmp_gt_i16_sdwa s18, v9, v97 src0_sel:BYTE_0 src1_sel:DWORD
	s_mov_b32 s17, 0
	s_and_saveexec_b32 s22, s18
	s_xor_b32 s18, exec_lo, s22
	s_cbranch_execz .LBB2_3790
; %bb.3504:                             ;   in Loop: Header=BB2_3185 Depth=3
	v_cmp_eq_u16_sdwa s23, v9, v98 src0_sel:BYTE_0 src1_sel:DWORD
	s_mov_b32 s17, -1
	s_and_saveexec_b32 s22, s23
; %bb.3505:                             ;   in Loop: Header=BB2_3185 Depth=3
	s_xor_b32 s17, exec_lo, -1
; %bb.3506:                             ;   in Loop: Header=BB2_3185 Depth=3
	s_or_b32 exec_lo, exec_lo, s22
	s_and_b32 s17, s17, exec_lo
	s_or_saveexec_b32 s18, s18
	v_mov_b32_e32 v93, 0x7f800001
	s_xor_b32 exec_lo, exec_lo, s18
	s_cbranch_execnz .LBB2_3791
.LBB2_3507:                             ;   in Loop: Header=BB2_3185 Depth=3
	s_or_b32 exec_lo, exec_lo, s18
	s_and_saveexec_b32 s18, s17
	s_cbranch_execz .LBB2_3509
.LBB2_3508:                             ;   in Loop: Header=BB2_3185 Depth=3
	v_and_b32_e32 v93, 3, v9
	v_bfe_u32 v105, v9, 2, 5
	v_lshlrev_b32_e32 v106, 24, v9
	v_ffbh_u32_e32 v95, v93
	v_cmp_eq_u32_e32 vcc_lo, 0, v105
	v_min_u32_e32 v95, 32, v95
	v_subrev_nc_u32_e32 v104, 29, v95
	v_sub_nc_u32_e32 v95, 30, v95
	v_lshlrev_b32_e32 v104, v104, v9
	v_cndmask_b32_e32 v95, v105, v95, vcc_lo
	v_and_b32_e32 v104, 3, v104
	v_lshl_add_u32 v95, v95, 23, 0x37800000
	v_cndmask_b32_e32 v93, v93, v104, vcc_lo
	v_and_b32_e32 v104, 0x80000000, v106
	v_lshlrev_b32_e32 v93, 21, v93
	v_or3_b32 v93, v104, v95, v93
.LBB2_3509:                             ;   in Loop: Header=BB2_3185 Depth=3
	s_or_b32 exec_lo, exec_lo, s18
	v_add_f32_e32 v93, v91, v93
	v_and_b32_e32 v91, 0x7f800000, v93
	v_cmp_ne_u32_e32 vcc_lo, 0x7f800000, v91
	v_mov_b32_e32 v91, 0x80
	s_and_saveexec_b32 s18, vcc_lo
	s_cbranch_execz .LBB2_3517
; %bb.3510:                             ;   in Loop: Header=BB2_3185 Depth=3
	v_mov_b32_e32 v91, 0
	s_mov_b32 s22, exec_lo
	v_cmpx_ne_u32_e32 0, v93
	s_cbranch_execz .LBB2_3516
; %bb.3511:                             ;   in Loop: Header=BB2_3185 Depth=3
	v_bfe_u32 v91, v93, 23, 8
	v_and_b32_e32 v95, 0x7fffff, v93
	v_sub_nc_u32_e32 v104, 0x70, v91
	v_cmp_gt_u32_e32 vcc_lo, 0x71, v91
	v_or_b32_e32 v105, 0x800000, v95
	v_cndmask_b32_e32 v104, 0, v104, vcc_lo
	v_cmp_eq_u32_e32 vcc_lo, 0, v91
	v_add_nc_u32_e32 v91, 0xffffff91, v91
	v_cndmask_b32_e64 v104, v104, 0x6f, vcc_lo
	v_cndmask_b32_e32 v95, v105, v95, vcc_lo
	v_cndmask_b32_e64 v91, v91, 0xffffff92, vcc_lo
	v_lshl_add_u32 v105, 0x200000, v104, -1
	v_lshrrev_b32_e32 v106, v104, v95
	v_lshlrev_b32_e64 v108, v104, 0x100000
	v_add_nc_u32_e32 v104, v104, v91
	v_and_b32_e32 v95, v105, v95
	v_bfe_u32 v107, v106, 21, 1
	v_cmp_eq_u32_e64 s17, v95, v108
	v_add_nc_u32_e32 v105, -1, v107
	v_cndmask_b32_e64 v95, 0, v105, s17
	v_lshrrev_b32_e32 v105, 23, v106
	s_mov_b32 s17, exec_lo
	v_add_nc_u32_e32 v95, v95, v106
	v_xor_b32_e32 v105, 1, v105
	v_and_b32_e32 v91, 0x1fffff, v95
	v_add_nc_u32_e32 v95, v91, v106
                                        ; implicit-def: $vgpr91
	v_cmpx_ne_u32_e64 v104, v105
	s_xor_b32 s17, exec_lo, s17
; %bb.3512:                             ;   in Loop: Header=BB2_3185 Depth=3
	v_cmp_lt_u32_e32 vcc_lo, 0xffffff, v95
	v_sub_nc_u32_e32 v91, v104, v105
	v_cndmask_b32_e64 v104, 0, 1, vcc_lo
	v_add_co_ci_u32_e64 v91, null, 0, v91, vcc_lo
	v_lshrrev_b32_e32 v95, v104, v95
; %bb.3513:                             ;   in Loop: Header=BB2_3185 Depth=3
	s_andn2_saveexec_b32 s17, s17
; %bb.3514:                             ;   in Loop: Header=BB2_3185 Depth=3
	v_bfe_u32 v91, v95, 23, 1
; %bb.3515:                             ;   in Loop: Header=BB2_3185 Depth=3
	s_or_b32 exec_lo, exec_lo, s17
	v_lshrrev_b32_e32 v95, 21, v95
	v_min_i32_e32 v104, 31, v91
	v_cmp_gt_i32_e32 vcc_lo, 32, v91
	v_and_b32_sdwa v93, v93, v98 dst_sel:DWORD dst_unused:UNUSED_PAD src0_sel:BYTE_3 src1_sel:DWORD
	v_lshlrev_b32_e32 v104, 2, v104
	v_cndmask_b32_e32 v95, 3, v95, vcc_lo
	v_and_b32_e32 v104, 0xfc, v104
	v_and_b32_e32 v105, 3, v95
	v_or_b32_e32 v91, v91, v95
	v_or3_b32 v93, v104, v93, v105
	v_cmp_ne_u32_e32 vcc_lo, 0, v91
	v_cndmask_b32_e32 v91, 0, v93, vcc_lo
.LBB2_3516:                             ;   in Loop: Header=BB2_3185 Depth=3
	s_or_b32 exec_lo, exec_lo, s22
.LBB2_3517:                             ;   in Loop: Header=BB2_3185 Depth=3
	s_or_b32 exec_lo, exec_lo, s18
	v_cmp_gt_i16_sdwa s18, v94, v97 src0_sel:BYTE_1 src1_sel:DWORD
	s_mov_b32 s17, 0
	s_and_saveexec_b32 s22, s18
	s_xor_b32 s18, exec_lo, s22
	s_cbranch_execz .LBB2_3792
; %bb.3518:                             ;   in Loop: Header=BB2_3185 Depth=3
	v_cmp_eq_u16_sdwa s23, v94, v98 src0_sel:BYTE_1 src1_sel:DWORD
	s_mov_b32 s17, -1
	s_and_saveexec_b32 s22, s23
; %bb.3519:                             ;   in Loop: Header=BB2_3185 Depth=3
	s_xor_b32 s17, exec_lo, -1
; %bb.3520:                             ;   in Loop: Header=BB2_3185 Depth=3
	s_or_b32 exec_lo, exec_lo, s22
	s_and_b32 s17, s17, exec_lo
	s_or_saveexec_b32 s18, s18
	v_mov_b32_e32 v93, 0x7f800001
	s_xor_b32 exec_lo, exec_lo, s18
	s_cbranch_execnz .LBB2_3793
.LBB2_3521:                             ;   in Loop: Header=BB2_3185 Depth=3
	s_or_b32 exec_lo, exec_lo, s18
	s_and_saveexec_b32 s18, s17
	s_cbranch_execz .LBB2_3523
.LBB2_3522:                             ;   in Loop: Header=BB2_3185 Depth=3
	v_and_b32_sdwa v93, v99, v94 dst_sel:DWORD dst_unused:UNUSED_PAD src0_sel:DWORD src1_sel:BYTE_1
	v_and_b32_e32 v95, 3, v93
	v_bfe_u32 v106, v93, 2, 5
	v_ffbh_u32_e32 v104, v95
	v_cmp_eq_u32_e32 vcc_lo, 0, v106
	v_min_u32_e32 v104, 32, v104
	v_subrev_nc_u32_e32 v105, 29, v104
	v_sub_nc_u32_e32 v104, 30, v104
	v_lshlrev_b32_e32 v93, v105, v93
	v_lshlrev_b32_sdwa v105, v100, v94 dst_sel:DWORD dst_unused:UNUSED_PAD src0_sel:DWORD src1_sel:BYTE_1
	v_cndmask_b32_e32 v104, v106, v104, vcc_lo
	v_and_b32_e32 v93, 3, v93
	v_lshl_add_u32 v104, v104, 23, 0x37800000
	v_cndmask_b32_e32 v93, v95, v93, vcc_lo
	v_and_b32_e32 v95, 0x80000000, v105
	v_lshlrev_b32_e32 v93, 21, v93
	v_or3_b32 v93, v95, v104, v93
.LBB2_3523:                             ;   in Loop: Header=BB2_3185 Depth=3
	s_or_b32 exec_lo, exec_lo, s18
	v_cmp_gt_i16_sdwa s18, v9, v97 src0_sel:BYTE_1 src1_sel:DWORD
	s_mov_b32 s17, 0
	s_and_saveexec_b32 s22, s18
	s_xor_b32 s18, exec_lo, s22
	s_cbranch_execz .LBB2_3794
; %bb.3524:                             ;   in Loop: Header=BB2_3185 Depth=3
	v_cmp_eq_u16_sdwa s23, v9, v98 src0_sel:BYTE_1 src1_sel:DWORD
	s_mov_b32 s17, -1
	s_and_saveexec_b32 s22, s23
; %bb.3525:                             ;   in Loop: Header=BB2_3185 Depth=3
	s_xor_b32 s17, exec_lo, -1
; %bb.3526:                             ;   in Loop: Header=BB2_3185 Depth=3
	s_or_b32 exec_lo, exec_lo, s22
	s_and_b32 s17, s17, exec_lo
	s_or_saveexec_b32 s18, s18
	v_mov_b32_e32 v95, 0x7f800001
	s_xor_b32 exec_lo, exec_lo, s18
	s_cbranch_execnz .LBB2_3795
.LBB2_3527:                             ;   in Loop: Header=BB2_3185 Depth=3
	s_or_b32 exec_lo, exec_lo, s18
	s_and_saveexec_b32 s18, s17
	s_cbranch_execz .LBB2_3529
.LBB2_3528:                             ;   in Loop: Header=BB2_3185 Depth=3
	v_and_b32_sdwa v95, v99, v9 dst_sel:DWORD dst_unused:UNUSED_PAD src0_sel:DWORD src1_sel:BYTE_1
	v_and_b32_e32 v104, 3, v95
	v_bfe_u32 v107, v95, 2, 5
	v_ffbh_u32_e32 v105, v104
	v_cmp_eq_u32_e32 vcc_lo, 0, v107
	v_min_u32_e32 v105, 32, v105
	v_subrev_nc_u32_e32 v106, 29, v105
	v_sub_nc_u32_e32 v105, 30, v105
	v_lshlrev_b32_e32 v95, v106, v95
	v_lshlrev_b32_sdwa v106, v100, v9 dst_sel:DWORD dst_unused:UNUSED_PAD src0_sel:DWORD src1_sel:BYTE_1
	v_cndmask_b32_e32 v105, v107, v105, vcc_lo
	v_and_b32_e32 v95, 3, v95
	v_lshl_add_u32 v105, v105, 23, 0x37800000
	v_cndmask_b32_e32 v95, v104, v95, vcc_lo
	v_and_b32_e32 v104, 0x80000000, v106
	v_lshlrev_b32_e32 v95, 21, v95
	v_or3_b32 v95, v104, v105, v95
.LBB2_3529:                             ;   in Loop: Header=BB2_3185 Depth=3
	s_or_b32 exec_lo, exec_lo, s18
	v_add_f32_e32 v95, v93, v95
	v_and_b32_e32 v93, 0x7f800000, v95
	v_cmp_ne_u32_e32 vcc_lo, 0x7f800000, v93
	v_mov_b32_e32 v93, 0x8000
	s_and_saveexec_b32 s18, vcc_lo
	s_cbranch_execz .LBB2_3537
; %bb.3530:                             ;   in Loop: Header=BB2_3185 Depth=3
	v_mov_b32_e32 v93, 0
	s_mov_b32 s22, exec_lo
	v_cmpx_ne_u32_e32 0, v95
	s_cbranch_execz .LBB2_3536
; %bb.3531:                             ;   in Loop: Header=BB2_3185 Depth=3
	v_bfe_u32 v93, v95, 23, 8
	v_and_b32_e32 v104, 0x7fffff, v95
	v_sub_nc_u32_e32 v105, 0x70, v93
	v_cmp_gt_u32_e32 vcc_lo, 0x71, v93
	v_or_b32_e32 v106, 0x800000, v104
	v_cndmask_b32_e32 v105, 0, v105, vcc_lo
	v_cmp_eq_u32_e32 vcc_lo, 0, v93
	v_add_nc_u32_e32 v93, 0xffffff91, v93
	v_cndmask_b32_e64 v105, v105, 0x6f, vcc_lo
	v_cndmask_b32_e32 v104, v106, v104, vcc_lo
	v_cndmask_b32_e64 v93, v93, 0xffffff92, vcc_lo
	v_lshl_add_u32 v106, 0x200000, v105, -1
	v_lshrrev_b32_e32 v107, v105, v104
	v_lshlrev_b32_e64 v109, v105, 0x100000
	v_add_nc_u32_e32 v105, v105, v93
	v_and_b32_e32 v104, v106, v104
	v_bfe_u32 v108, v107, 21, 1
	v_cmp_eq_u32_e64 s17, v104, v109
	v_add_nc_u32_e32 v106, -1, v108
	v_cndmask_b32_e64 v104, 0, v106, s17
	v_lshrrev_b32_e32 v106, 23, v107
	s_mov_b32 s17, exec_lo
	v_add_nc_u32_e32 v104, v104, v107
	v_xor_b32_e32 v106, 1, v106
	v_and_b32_e32 v93, 0x1fffff, v104
	v_add_nc_u32_e32 v104, v93, v107
                                        ; implicit-def: $vgpr93
	v_cmpx_ne_u32_e64 v105, v106
	s_xor_b32 s17, exec_lo, s17
; %bb.3532:                             ;   in Loop: Header=BB2_3185 Depth=3
	v_cmp_lt_u32_e32 vcc_lo, 0xffffff, v104
	v_sub_nc_u32_e32 v93, v105, v106
	v_cndmask_b32_e64 v105, 0, 1, vcc_lo
	v_add_co_ci_u32_e64 v93, null, 0, v93, vcc_lo
	v_lshrrev_b32_e32 v104, v105, v104
; %bb.3533:                             ;   in Loop: Header=BB2_3185 Depth=3
	s_andn2_saveexec_b32 s17, s17
; %bb.3534:                             ;   in Loop: Header=BB2_3185 Depth=3
	v_bfe_u32 v93, v104, 23, 1
; %bb.3535:                             ;   in Loop: Header=BB2_3185 Depth=3
	s_or_b32 exec_lo, exec_lo, s17
	v_lshrrev_b32_e32 v104, 21, v104
	v_min_i32_e32 v105, 31, v93
	v_cmp_gt_i32_e32 vcc_lo, 32, v93
	v_and_b32_sdwa v95, v95, v98 dst_sel:DWORD dst_unused:UNUSED_PAD src0_sel:BYTE_3 src1_sel:DWORD
	v_lshlrev_b32_e32 v105, 2, v105
	v_cndmask_b32_e32 v104, 3, v104, vcc_lo
	v_and_b32_e32 v105, 0xfc, v105
	v_and_b32_e32 v106, 3, v104
	v_or_b32_e32 v93, v93, v104
	v_or3_b32 v95, v95, v105, v106
	v_cmp_ne_u32_e32 vcc_lo, 0, v93
	v_lshlrev_b32_e32 v95, 8, v95
	v_cndmask_b32_e32 v93, 0, v95, vcc_lo
.LBB2_3536:                             ;   in Loop: Header=BB2_3185 Depth=3
	s_or_b32 exec_lo, exec_lo, s22
.LBB2_3537:                             ;   in Loop: Header=BB2_3185 Depth=3
	s_or_b32 exec_lo, exec_lo, s18
	v_or_b32_e32 v92, v92, v89
	s_mov_b32 s17, 0
	v_cmp_gt_i16_sdwa s18, v92, v97 src0_sel:BYTE_0 src1_sel:DWORD
	s_and_saveexec_b32 s22, s18
	s_xor_b32 s18, exec_lo, s22
	s_cbranch_execz .LBB2_3796
; %bb.3538:                             ;   in Loop: Header=BB2_3185 Depth=3
	v_cmp_eq_u16_sdwa s23, v92, v98 src0_sel:BYTE_0 src1_sel:DWORD
	s_mov_b32 s17, -1
	s_and_saveexec_b32 s22, s23
; %bb.3539:                             ;   in Loop: Header=BB2_3185 Depth=3
	s_xor_b32 s17, exec_lo, -1
; %bb.3540:                             ;   in Loop: Header=BB2_3185 Depth=3
	s_or_b32 exec_lo, exec_lo, s22
	s_and_b32 s17, s17, exec_lo
	s_or_saveexec_b32 s18, s18
	v_mov_b32_e32 v89, 0x7f800001
	s_xor_b32 exec_lo, exec_lo, s18
	s_cbranch_execnz .LBB2_3797
.LBB2_3541:                             ;   in Loop: Header=BB2_3185 Depth=3
	s_or_b32 exec_lo, exec_lo, s18
	v_lshl_or_b32 v92, v92, 16, v94
	s_and_saveexec_b32 s18, s17
	s_cbranch_execz .LBB2_3543
.LBB2_3542:                             ;   in Loop: Header=BB2_3185 Depth=3
	v_bfe_u32 v89, v92, 16, 2
	v_bfe_u32 v104, v92, 18, 5
	v_lshlrev_b32_e32 v105, 8, v92
	v_ffbh_u32_e32 v94, v89
	v_cmp_eq_u32_e32 vcc_lo, 0, v104
	v_min_u32_e32 v94, 32, v94
	v_subrev_nc_u32_e32 v95, 29, v94
	v_sub_nc_u32_e32 v94, 30, v94
	v_lshlrev_b32_sdwa v95, v95, v92 dst_sel:DWORD dst_unused:UNUSED_PAD src0_sel:DWORD src1_sel:WORD_1
	v_cndmask_b32_e32 v94, v104, v94, vcc_lo
	v_and_b32_e32 v95, 3, v95
	v_lshl_add_u32 v94, v94, 23, 0x37800000
	v_cndmask_b32_e32 v89, v89, v95, vcc_lo
	v_and_b32_e32 v95, 0x80000000, v105
	v_lshlrev_b32_e32 v89, 21, v89
	v_or3_b32 v89, v95, v94, v89
.LBB2_3543:                             ;   in Loop: Header=BB2_3185 Depth=3
	s_or_b32 exec_lo, exec_lo, s18
	v_and_b32_sdwa v95, v9, v101 dst_sel:DWORD dst_unused:UNUSED_PAD src0_sel:WORD_1 src1_sel:DWORD
	s_mov_b32 s17, 0
	s_mov_b32 s18, exec_lo
	v_cmpx_lt_i16_e32 0x7f, v95
	s_xor_b32 s18, exec_lo, s18
	s_cbranch_execz .LBB2_3798
; %bb.3544:                             ;   in Loop: Header=BB2_3185 Depth=3
	s_mov_b32 s17, -1
	s_mov_b32 s22, exec_lo
	v_cmpx_eq_u16_e32 0x80, v95
; %bb.3545:                             ;   in Loop: Header=BB2_3185 Depth=3
	s_xor_b32 s17, exec_lo, -1
; %bb.3546:                             ;   in Loop: Header=BB2_3185 Depth=3
	s_or_b32 exec_lo, exec_lo, s22
	s_and_b32 s17, s17, exec_lo
                                        ; implicit-def: $vgpr95
	s_or_saveexec_b32 s18, s18
	v_mov_b32_e32 v94, 0x7f800001
	s_xor_b32 exec_lo, exec_lo, s18
	s_cbranch_execnz .LBB2_3799
.LBB2_3547:                             ;   in Loop: Header=BB2_3185 Depth=3
	s_or_b32 exec_lo, exec_lo, s18
	s_and_saveexec_b32 s18, s17
	s_cbranch_execz .LBB2_3549
.LBB2_3548:                             ;   in Loop: Header=BB2_3185 Depth=3
	v_and_b32_sdwa v94, v9, v103 dst_sel:DWORD dst_unused:UNUSED_PAD src0_sel:WORD_1 src1_sel:DWORD
	v_bfe_u32 v105, v9, 18, 5
	v_lshlrev_b32_sdwa v106, v100, v9 dst_sel:DWORD dst_unused:UNUSED_PAD src0_sel:DWORD src1_sel:WORD_1
	v_ffbh_u32_e32 v95, v94
	v_cmp_eq_u32_e32 vcc_lo, 0, v105
	v_min_u32_e32 v95, 32, v95
	v_subrev_nc_u32_e32 v104, 29, v95
	v_sub_nc_u32_e32 v95, 30, v95
	v_lshlrev_b32_sdwa v104, v104, v9 dst_sel:DWORD dst_unused:UNUSED_PAD src0_sel:DWORD src1_sel:WORD_1
	v_cndmask_b32_e32 v95, v105, v95, vcc_lo
	v_and_b32_e32 v104, 3, v104
	v_lshl_add_u32 v95, v95, 23, 0x37800000
	v_cndmask_b32_e32 v94, v94, v104, vcc_lo
	v_and_b32_e32 v104, 0x80000000, v106
	v_lshlrev_b32_e32 v94, 21, v94
	v_or3_b32 v94, v104, v95, v94
.LBB2_3549:                             ;   in Loop: Header=BB2_3185 Depth=3
	s_or_b32 exec_lo, exec_lo, s18
	v_add_f32_e32 v94, v89, v94
	v_and_b32_e32 v89, 0x7f800000, v94
	v_cmp_ne_u32_e32 vcc_lo, 0x7f800000, v89
	v_mov_b32_e32 v89, 0x80
	s_and_saveexec_b32 s18, vcc_lo
	s_cbranch_execz .LBB2_3557
; %bb.3550:                             ;   in Loop: Header=BB2_3185 Depth=3
	v_mov_b32_e32 v89, 0
	s_mov_b32 s22, exec_lo
	v_cmpx_ne_u32_e32 0, v94
	s_cbranch_execz .LBB2_3556
; %bb.3551:                             ;   in Loop: Header=BB2_3185 Depth=3
	v_bfe_u32 v89, v94, 23, 8
	v_and_b32_e32 v95, 0x7fffff, v94
	v_sub_nc_u32_e32 v104, 0x70, v89
	v_cmp_gt_u32_e32 vcc_lo, 0x71, v89
	v_or_b32_e32 v105, 0x800000, v95
	v_cndmask_b32_e32 v104, 0, v104, vcc_lo
	v_cmp_eq_u32_e32 vcc_lo, 0, v89
	v_add_nc_u32_e32 v89, 0xffffff91, v89
	v_cndmask_b32_e64 v104, v104, 0x6f, vcc_lo
	v_cndmask_b32_e32 v95, v105, v95, vcc_lo
	v_cndmask_b32_e64 v89, v89, 0xffffff92, vcc_lo
	v_lshl_add_u32 v105, 0x200000, v104, -1
	v_lshrrev_b32_e32 v106, v104, v95
	v_lshlrev_b32_e64 v108, v104, 0x100000
	v_add_nc_u32_e32 v104, v104, v89
	v_and_b32_e32 v95, v105, v95
	v_bfe_u32 v107, v106, 21, 1
	v_cmp_eq_u32_e64 s17, v95, v108
	v_add_nc_u32_e32 v105, -1, v107
	v_cndmask_b32_e64 v95, 0, v105, s17
	v_lshrrev_b32_e32 v105, 23, v106
	s_mov_b32 s17, exec_lo
	v_add_nc_u32_e32 v95, v95, v106
	v_xor_b32_e32 v105, 1, v105
	v_and_b32_e32 v89, 0x1fffff, v95
	v_add_nc_u32_e32 v95, v89, v106
                                        ; implicit-def: $vgpr89
	v_cmpx_ne_u32_e64 v104, v105
	s_xor_b32 s17, exec_lo, s17
; %bb.3552:                             ;   in Loop: Header=BB2_3185 Depth=3
	v_cmp_lt_u32_e32 vcc_lo, 0xffffff, v95
	v_sub_nc_u32_e32 v89, v104, v105
	v_cndmask_b32_e64 v104, 0, 1, vcc_lo
	v_add_co_ci_u32_e64 v89, null, 0, v89, vcc_lo
	v_lshrrev_b32_e32 v95, v104, v95
; %bb.3553:                             ;   in Loop: Header=BB2_3185 Depth=3
	s_andn2_saveexec_b32 s17, s17
; %bb.3554:                             ;   in Loop: Header=BB2_3185 Depth=3
	v_bfe_u32 v89, v95, 23, 1
; %bb.3555:                             ;   in Loop: Header=BB2_3185 Depth=3
	s_or_b32 exec_lo, exec_lo, s17
	v_lshrrev_b32_e32 v95, 21, v95
	v_min_i32_e32 v104, 31, v89
	v_cmp_gt_i32_e32 vcc_lo, 32, v89
	v_and_b32_sdwa v94, v94, v98 dst_sel:DWORD dst_unused:UNUSED_PAD src0_sel:BYTE_3 src1_sel:DWORD
	v_lshlrev_b32_e32 v104, 2, v104
	v_cndmask_b32_e32 v95, 3, v95, vcc_lo
	v_and_b32_e32 v104, 0xfc, v104
	v_and_b32_e32 v105, 3, v95
	v_or_b32_e32 v89, v89, v95
	v_or3_b32 v94, v104, v94, v105
	v_cmp_ne_u32_e32 vcc_lo, 0, v89
	v_cndmask_b32_e32 v89, 0, v94, vcc_lo
.LBB2_3556:                             ;   in Loop: Header=BB2_3185 Depth=3
	s_or_b32 exec_lo, exec_lo, s22
.LBB2_3557:                             ;   in Loop: Header=BB2_3185 Depth=3
	s_or_b32 exec_lo, exec_lo, s18
	v_cmp_gt_i16_sdwa s18, v92, v97 src0_sel:BYTE_3 src1_sel:DWORD
	s_mov_b32 s17, 0
	s_and_saveexec_b32 s22, s18
	s_xor_b32 s18, exec_lo, s22
	s_cbranch_execz .LBB2_3800
; %bb.3558:                             ;   in Loop: Header=BB2_3185 Depth=3
	v_cmp_eq_u16_sdwa s23, v92, v98 src0_sel:BYTE_3 src1_sel:DWORD
	s_mov_b32 s17, -1
	s_and_saveexec_b32 s22, s23
; %bb.3559:                             ;   in Loop: Header=BB2_3185 Depth=3
	s_xor_b32 s17, exec_lo, -1
; %bb.3560:                             ;   in Loop: Header=BB2_3185 Depth=3
	s_or_b32 exec_lo, exec_lo, s22
	s_and_b32 s17, s17, exec_lo
	s_or_saveexec_b32 s18, s18
	v_mov_b32_e32 v94, 0x7f800001
	s_xor_b32 exec_lo, exec_lo, s18
	s_cbranch_execnz .LBB2_3801
.LBB2_3561:                             ;   in Loop: Header=BB2_3185 Depth=3
	s_or_b32 exec_lo, exec_lo, s18
	s_and_saveexec_b32 s18, s17
	s_cbranch_execz .LBB2_3563
.LBB2_3562:                             ;   in Loop: Header=BB2_3185 Depth=3
	v_bfe_u32 v94, v92, 24, 2
	v_bfe_u32 v105, v92, 26, 5
	v_ffbh_u32_e32 v95, v94
	v_cmp_eq_u32_e32 vcc_lo, 0, v105
	v_min_u32_e32 v95, 32, v95
	v_subrev_nc_u32_e32 v104, 29, v95
	v_sub_nc_u32_e32 v95, 30, v95
	v_lshlrev_b32_sdwa v104, v104, v92 dst_sel:DWORD dst_unused:UNUSED_PAD src0_sel:DWORD src1_sel:BYTE_3
	v_cndmask_b32_e32 v95, v105, v95, vcc_lo
	v_and_b32_e32 v92, 0x80000000, v92
	v_and_b32_e32 v104, 3, v104
	v_lshl_add_u32 v95, v95, 23, 0x37800000
	v_cndmask_b32_e32 v94, v94, v104, vcc_lo
	v_lshlrev_b32_e32 v94, 21, v94
	v_or3_b32 v94, v92, v95, v94
.LBB2_3563:                             ;   in Loop: Header=BB2_3185 Depth=3
	s_or_b32 exec_lo, exec_lo, s18
	v_cmp_gt_i16_sdwa s18, v9, v97 src0_sel:BYTE_3 src1_sel:DWORD
	s_mov_b32 s17, 0
	s_and_saveexec_b32 s22, s18
	s_xor_b32 s18, exec_lo, s22
	s_cbranch_execz .LBB2_3802
; %bb.3564:                             ;   in Loop: Header=BB2_3185 Depth=3
	v_cmp_eq_u16_sdwa s23, v9, v98 src0_sel:BYTE_3 src1_sel:DWORD
	s_mov_b32 s17, -1
	s_and_saveexec_b32 s22, s23
; %bb.3565:                             ;   in Loop: Header=BB2_3185 Depth=3
	s_xor_b32 s17, exec_lo, -1
; %bb.3566:                             ;   in Loop: Header=BB2_3185 Depth=3
	s_or_b32 exec_lo, exec_lo, s22
	s_and_b32 s17, s17, exec_lo
	s_or_saveexec_b32 s18, s18
	v_mov_b32_e32 v92, 0x7f800001
	s_xor_b32 exec_lo, exec_lo, s18
	s_cbranch_execnz .LBB2_3803
.LBB2_3567:                             ;   in Loop: Header=BB2_3185 Depth=3
	s_or_b32 exec_lo, exec_lo, s18
	s_and_saveexec_b32 s18, s17
	s_cbranch_execz .LBB2_3569
.LBB2_3568:                             ;   in Loop: Header=BB2_3185 Depth=3
	v_and_b32_sdwa v92, v9, v103 dst_sel:DWORD dst_unused:UNUSED_PAD src0_sel:BYTE_3 src1_sel:DWORD
	v_bfe_u32 v105, v9, 26, 5
	v_ffbh_u32_e32 v95, v92
	v_cmp_eq_u32_e32 vcc_lo, 0, v105
	v_min_u32_e32 v95, 32, v95
	v_subrev_nc_u32_e32 v104, 29, v95
	v_sub_nc_u32_e32 v95, 30, v95
	v_lshlrev_b32_sdwa v104, v104, v9 dst_sel:DWORD dst_unused:UNUSED_PAD src0_sel:DWORD src1_sel:BYTE_3
	v_cndmask_b32_e32 v95, v105, v95, vcc_lo
	v_and_b32_e32 v9, 0x80000000, v9
	v_and_b32_e32 v104, 3, v104
	v_lshl_add_u32 v95, v95, 23, 0x37800000
	v_cndmask_b32_e32 v92, v92, v104, vcc_lo
	v_lshlrev_b32_e32 v92, 21, v92
	v_or3_b32 v92, v9, v95, v92
.LBB2_3569:                             ;   in Loop: Header=BB2_3185 Depth=3
	s_or_b32 exec_lo, exec_lo, s18
	v_add_f32_e32 v92, v94, v92
	v_and_b32_e32 v9, 0x7f800000, v92
	v_cmp_ne_u32_e32 vcc_lo, 0x7f800000, v9
	v_mov_b32_e32 v9, 0x8000
	s_and_saveexec_b32 s18, vcc_lo
	s_cbranch_execz .LBB2_3577
; %bb.3570:                             ;   in Loop: Header=BB2_3185 Depth=3
	v_mov_b32_e32 v9, 0
	s_mov_b32 s22, exec_lo
	v_cmpx_ne_u32_e32 0, v92
	s_cbranch_execz .LBB2_3576
; %bb.3571:                             ;   in Loop: Header=BB2_3185 Depth=3
	v_bfe_u32 v9, v92, 23, 8
	v_and_b32_e32 v94, 0x7fffff, v92
	v_sub_nc_u32_e32 v95, 0x70, v9
	v_cmp_gt_u32_e32 vcc_lo, 0x71, v9
	v_or_b32_e32 v104, 0x800000, v94
	v_cndmask_b32_e32 v95, 0, v95, vcc_lo
	v_cmp_eq_u32_e32 vcc_lo, 0, v9
	v_add_nc_u32_e32 v9, 0xffffff91, v9
	v_cndmask_b32_e64 v95, v95, 0x6f, vcc_lo
	v_cndmask_b32_e32 v94, v104, v94, vcc_lo
	v_cndmask_b32_e64 v9, v9, 0xffffff92, vcc_lo
	v_lshl_add_u32 v104, 0x200000, v95, -1
	v_lshrrev_b32_e32 v105, v95, v94
	v_lshlrev_b32_e64 v107, v95, 0x100000
	v_add_nc_u32_e32 v95, v95, v9
	v_and_b32_e32 v94, v104, v94
	v_bfe_u32 v106, v105, 21, 1
	v_cmp_eq_u32_e64 s17, v94, v107
	v_add_nc_u32_e32 v104, -1, v106
	v_cndmask_b32_e64 v94, 0, v104, s17
	v_lshrrev_b32_e32 v104, 23, v105
	s_mov_b32 s17, exec_lo
	v_add_nc_u32_e32 v94, v94, v105
	v_xor_b32_e32 v104, 1, v104
	v_and_b32_e32 v9, 0x1fffff, v94
	v_add_nc_u32_e32 v94, v9, v105
                                        ; implicit-def: $vgpr9
	v_cmpx_ne_u32_e64 v95, v104
	s_xor_b32 s17, exec_lo, s17
; %bb.3572:                             ;   in Loop: Header=BB2_3185 Depth=3
	v_cmp_lt_u32_e32 vcc_lo, 0xffffff, v94
	v_sub_nc_u32_e32 v9, v95, v104
	v_cndmask_b32_e64 v95, 0, 1, vcc_lo
	v_add_co_ci_u32_e64 v9, null, 0, v9, vcc_lo
	v_lshrrev_b32_e32 v94, v95, v94
; %bb.3573:                             ;   in Loop: Header=BB2_3185 Depth=3
	s_andn2_saveexec_b32 s17, s17
; %bb.3574:                             ;   in Loop: Header=BB2_3185 Depth=3
	v_bfe_u32 v9, v94, 23, 1
; %bb.3575:                             ;   in Loop: Header=BB2_3185 Depth=3
	s_or_b32 exec_lo, exec_lo, s17
	v_lshrrev_b32_e32 v94, 21, v94
	v_min_i32_e32 v95, 31, v9
	v_cmp_gt_i32_e32 vcc_lo, 32, v9
	v_and_b32_sdwa v92, v92, v98 dst_sel:DWORD dst_unused:UNUSED_PAD src0_sel:BYTE_3 src1_sel:DWORD
	v_lshlrev_b32_e32 v95, 2, v95
	v_cndmask_b32_e32 v94, 3, v94, vcc_lo
	v_and_b32_e32 v95, 0xfc, v95
	v_and_b32_e32 v104, 3, v94
	v_or_b32_e32 v9, v9, v94
	v_or3_b32 v92, v92, v95, v104
	v_cmp_ne_u32_e32 vcc_lo, 0, v9
	v_lshlrev_b32_e32 v92, 8, v92
	v_cndmask_b32_e32 v9, 0, v92, vcc_lo
.LBB2_3576:                             ;   in Loop: Header=BB2_3185 Depth=3
	s_or_b32 exec_lo, exec_lo, s22
.LBB2_3577:                             ;   in Loop: Header=BB2_3185 Depth=3
	s_or_b32 exec_lo, exec_lo, s18
	v_or_b32_e32 v92, v90, v78
	s_mov_b32 s17, 0
	v_cmp_gt_i16_sdwa s18, v92, v97 src0_sel:BYTE_0 src1_sel:DWORD
	s_and_saveexec_b32 s22, s18
	s_xor_b32 s18, exec_lo, s22
	s_cbranch_execz .LBB2_3804
; %bb.3578:                             ;   in Loop: Header=BB2_3185 Depth=3
	v_cmp_eq_u16_sdwa s23, v92, v98 src0_sel:BYTE_0 src1_sel:DWORD
	s_mov_b32 s17, -1
	s_and_saveexec_b32 s22, s23
; %bb.3579:                             ;   in Loop: Header=BB2_3185 Depth=3
	s_xor_b32 s17, exec_lo, -1
; %bb.3580:                             ;   in Loop: Header=BB2_3185 Depth=3
	s_or_b32 exec_lo, exec_lo, s22
	s_and_b32 s17, s17, exec_lo
	s_or_saveexec_b32 s18, s18
	v_mov_b32_e32 v78, 0x7f800001
	s_xor_b32 exec_lo, exec_lo, s18
	s_cbranch_execnz .LBB2_3805
.LBB2_3581:                             ;   in Loop: Header=BB2_3185 Depth=3
	s_or_b32 exec_lo, exec_lo, s18
	s_and_saveexec_b32 s18, s17
	s_cbranch_execz .LBB2_3583
.LBB2_3582:                             ;   in Loop: Header=BB2_3185 Depth=3
	v_and_b32_e32 v78, 3, v92
	v_bfe_u32 v95, v92, 2, 5
	v_lshlrev_b32_e32 v104, 24, v92
	v_ffbh_u32_e32 v90, v78
	v_cmp_eq_u32_e32 vcc_lo, 0, v95
	v_min_u32_e32 v90, 32, v90
	v_subrev_nc_u32_e32 v94, 29, v90
	v_sub_nc_u32_e32 v90, 30, v90
	v_lshlrev_b32_e32 v94, v94, v92
	v_cndmask_b32_e32 v90, v95, v90, vcc_lo
	v_and_b32_e32 v94, 3, v94
	v_lshl_add_u32 v90, v90, 23, 0x37800000
	v_cndmask_b32_e32 v78, v78, v94, vcc_lo
	v_and_b32_e32 v94, 0x80000000, v104
	v_lshlrev_b32_e32 v78, 21, v78
	v_or3_b32 v78, v94, v90, v78
.LBB2_3583:                             ;   in Loop: Header=BB2_3185 Depth=3
	s_or_b32 exec_lo, exec_lo, s18
	v_cmp_gt_i16_sdwa s18, v10, v97 src0_sel:BYTE_0 src1_sel:DWORD
	s_mov_b32 s17, 0
	s_and_saveexec_b32 s22, s18
	s_xor_b32 s18, exec_lo, s22
	s_cbranch_execz .LBB2_3806
; %bb.3584:                             ;   in Loop: Header=BB2_3185 Depth=3
	v_cmp_eq_u16_sdwa s23, v10, v98 src0_sel:BYTE_0 src1_sel:DWORD
	s_mov_b32 s17, -1
	s_and_saveexec_b32 s22, s23
; %bb.3585:                             ;   in Loop: Header=BB2_3185 Depth=3
	s_xor_b32 s17, exec_lo, -1
; %bb.3586:                             ;   in Loop: Header=BB2_3185 Depth=3
	s_or_b32 exec_lo, exec_lo, s22
	s_and_b32 s17, s17, exec_lo
	s_or_saveexec_b32 s18, s18
	v_mov_b32_e32 v90, 0x7f800001
	s_xor_b32 exec_lo, exec_lo, s18
	s_cbranch_execnz .LBB2_3807
.LBB2_3587:                             ;   in Loop: Header=BB2_3185 Depth=3
	s_or_b32 exec_lo, exec_lo, s18
	s_and_saveexec_b32 s18, s17
	s_cbranch_execz .LBB2_3589
.LBB2_3588:                             ;   in Loop: Header=BB2_3185 Depth=3
	v_and_b32_e32 v90, 3, v10
	v_bfe_u32 v104, v10, 2, 5
	v_lshlrev_b32_e32 v105, 24, v10
	v_ffbh_u32_e32 v94, v90
	v_cmp_eq_u32_e32 vcc_lo, 0, v104
	v_min_u32_e32 v94, 32, v94
	v_subrev_nc_u32_e32 v95, 29, v94
	v_sub_nc_u32_e32 v94, 30, v94
	v_lshlrev_b32_e32 v95, v95, v10
	v_cndmask_b32_e32 v94, v104, v94, vcc_lo
	v_and_b32_e32 v95, 3, v95
	v_lshl_add_u32 v94, v94, 23, 0x37800000
	v_cndmask_b32_e32 v90, v90, v95, vcc_lo
	v_and_b32_e32 v95, 0x80000000, v105
	v_lshlrev_b32_e32 v90, 21, v90
	v_or3_b32 v90, v95, v94, v90
.LBB2_3589:                             ;   in Loop: Header=BB2_3185 Depth=3
	s_or_b32 exec_lo, exec_lo, s18
	v_add_f32_e32 v90, v78, v90
	v_and_b32_e32 v78, 0x7f800000, v90
	v_cmp_ne_u32_e32 vcc_lo, 0x7f800000, v78
	v_mov_b32_e32 v78, 0x80
	s_and_saveexec_b32 s18, vcc_lo
	s_cbranch_execz .LBB2_3597
; %bb.3590:                             ;   in Loop: Header=BB2_3185 Depth=3
	v_mov_b32_e32 v78, 0
	s_mov_b32 s22, exec_lo
	v_cmpx_ne_u32_e32 0, v90
	s_cbranch_execz .LBB2_3596
; %bb.3591:                             ;   in Loop: Header=BB2_3185 Depth=3
	v_bfe_u32 v78, v90, 23, 8
	v_and_b32_e32 v94, 0x7fffff, v90
	v_sub_nc_u32_e32 v95, 0x70, v78
	v_cmp_gt_u32_e32 vcc_lo, 0x71, v78
	v_or_b32_e32 v104, 0x800000, v94
	v_cndmask_b32_e32 v95, 0, v95, vcc_lo
	v_cmp_eq_u32_e32 vcc_lo, 0, v78
	v_add_nc_u32_e32 v78, 0xffffff91, v78
	v_cndmask_b32_e64 v95, v95, 0x6f, vcc_lo
	v_cndmask_b32_e32 v94, v104, v94, vcc_lo
	v_cndmask_b32_e64 v78, v78, 0xffffff92, vcc_lo
	v_lshl_add_u32 v104, 0x200000, v95, -1
	v_lshrrev_b32_e32 v105, v95, v94
	v_lshlrev_b32_e64 v107, v95, 0x100000
	v_add_nc_u32_e32 v95, v95, v78
	v_and_b32_e32 v94, v104, v94
	v_bfe_u32 v106, v105, 21, 1
	v_cmp_eq_u32_e64 s17, v94, v107
	v_add_nc_u32_e32 v104, -1, v106
	v_cndmask_b32_e64 v94, 0, v104, s17
	v_lshrrev_b32_e32 v104, 23, v105
	s_mov_b32 s17, exec_lo
	v_add_nc_u32_e32 v94, v94, v105
	v_xor_b32_e32 v104, 1, v104
	v_and_b32_e32 v78, 0x1fffff, v94
	v_add_nc_u32_e32 v94, v78, v105
                                        ; implicit-def: $vgpr78
	v_cmpx_ne_u32_e64 v95, v104
	s_xor_b32 s17, exec_lo, s17
; %bb.3592:                             ;   in Loop: Header=BB2_3185 Depth=3
	v_cmp_lt_u32_e32 vcc_lo, 0xffffff, v94
	v_sub_nc_u32_e32 v78, v95, v104
	v_cndmask_b32_e64 v95, 0, 1, vcc_lo
	v_add_co_ci_u32_e64 v78, null, 0, v78, vcc_lo
	v_lshrrev_b32_e32 v94, v95, v94
; %bb.3593:                             ;   in Loop: Header=BB2_3185 Depth=3
	s_andn2_saveexec_b32 s17, s17
; %bb.3594:                             ;   in Loop: Header=BB2_3185 Depth=3
	v_bfe_u32 v78, v94, 23, 1
; %bb.3595:                             ;   in Loop: Header=BB2_3185 Depth=3
	s_or_b32 exec_lo, exec_lo, s17
	v_lshrrev_b32_e32 v94, 21, v94
	v_min_i32_e32 v95, 31, v78
	v_cmp_gt_i32_e32 vcc_lo, 32, v78
	v_and_b32_sdwa v90, v90, v98 dst_sel:DWORD dst_unused:UNUSED_PAD src0_sel:BYTE_3 src1_sel:DWORD
	v_lshlrev_b32_e32 v95, 2, v95
	v_cndmask_b32_e32 v94, 3, v94, vcc_lo
	v_and_b32_e32 v95, 0xfc, v95
	v_and_b32_e32 v104, 3, v94
	v_or_b32_e32 v78, v78, v94
	v_or3_b32 v90, v95, v90, v104
	v_cmp_ne_u32_e32 vcc_lo, 0, v78
	v_cndmask_b32_e32 v78, 0, v90, vcc_lo
.LBB2_3596:                             ;   in Loop: Header=BB2_3185 Depth=3
	s_or_b32 exec_lo, exec_lo, s22
.LBB2_3597:                             ;   in Loop: Header=BB2_3185 Depth=3
	s_or_b32 exec_lo, exec_lo, s18
	v_cmp_gt_i16_sdwa s18, v92, v97 src0_sel:BYTE_1 src1_sel:DWORD
	s_mov_b32 s17, 0
	s_and_saveexec_b32 s22, s18
	s_xor_b32 s18, exec_lo, s22
	s_cbranch_execz .LBB2_3808
; %bb.3598:                             ;   in Loop: Header=BB2_3185 Depth=3
	v_cmp_eq_u16_sdwa s23, v92, v98 src0_sel:BYTE_1 src1_sel:DWORD
	s_mov_b32 s17, -1
	s_and_saveexec_b32 s22, s23
; %bb.3599:                             ;   in Loop: Header=BB2_3185 Depth=3
	s_xor_b32 s17, exec_lo, -1
; %bb.3600:                             ;   in Loop: Header=BB2_3185 Depth=3
	s_or_b32 exec_lo, exec_lo, s22
	s_and_b32 s17, s17, exec_lo
	s_or_saveexec_b32 s18, s18
	v_mov_b32_e32 v90, 0x7f800001
	s_xor_b32 exec_lo, exec_lo, s18
	s_cbranch_execnz .LBB2_3809
.LBB2_3601:                             ;   in Loop: Header=BB2_3185 Depth=3
	s_or_b32 exec_lo, exec_lo, s18
	s_and_saveexec_b32 s18, s17
	s_cbranch_execz .LBB2_3603
.LBB2_3602:                             ;   in Loop: Header=BB2_3185 Depth=3
	v_and_b32_sdwa v90, v99, v92 dst_sel:DWORD dst_unused:UNUSED_PAD src0_sel:DWORD src1_sel:BYTE_1
	v_and_b32_e32 v94, 3, v90
	v_bfe_u32 v105, v90, 2, 5
	v_ffbh_u32_e32 v95, v94
	v_cmp_eq_u32_e32 vcc_lo, 0, v105
	v_min_u32_e32 v95, 32, v95
	v_subrev_nc_u32_e32 v104, 29, v95
	v_sub_nc_u32_e32 v95, 30, v95
	v_lshlrev_b32_e32 v90, v104, v90
	v_lshlrev_b32_sdwa v104, v100, v92 dst_sel:DWORD dst_unused:UNUSED_PAD src0_sel:DWORD src1_sel:BYTE_1
	v_cndmask_b32_e32 v95, v105, v95, vcc_lo
	v_and_b32_e32 v90, 3, v90
	v_lshl_add_u32 v95, v95, 23, 0x37800000
	v_cndmask_b32_e32 v90, v94, v90, vcc_lo
	v_and_b32_e32 v94, 0x80000000, v104
	v_lshlrev_b32_e32 v90, 21, v90
	v_or3_b32 v90, v94, v95, v90
.LBB2_3603:                             ;   in Loop: Header=BB2_3185 Depth=3
	s_or_b32 exec_lo, exec_lo, s18
	v_cmp_gt_i16_sdwa s18, v10, v97 src0_sel:BYTE_1 src1_sel:DWORD
	s_mov_b32 s17, 0
	s_and_saveexec_b32 s22, s18
	s_xor_b32 s18, exec_lo, s22
	s_cbranch_execz .LBB2_3810
; %bb.3604:                             ;   in Loop: Header=BB2_3185 Depth=3
	v_cmp_eq_u16_sdwa s23, v10, v98 src0_sel:BYTE_1 src1_sel:DWORD
	s_mov_b32 s17, -1
	s_and_saveexec_b32 s22, s23
; %bb.3605:                             ;   in Loop: Header=BB2_3185 Depth=3
	s_xor_b32 s17, exec_lo, -1
; %bb.3606:                             ;   in Loop: Header=BB2_3185 Depth=3
	s_or_b32 exec_lo, exec_lo, s22
	s_and_b32 s17, s17, exec_lo
	s_or_saveexec_b32 s18, s18
	v_mov_b32_e32 v94, 0x7f800001
	s_xor_b32 exec_lo, exec_lo, s18
	s_cbranch_execnz .LBB2_3811
.LBB2_3607:                             ;   in Loop: Header=BB2_3185 Depth=3
	s_or_b32 exec_lo, exec_lo, s18
	s_and_saveexec_b32 s18, s17
	s_cbranch_execz .LBB2_3609
.LBB2_3608:                             ;   in Loop: Header=BB2_3185 Depth=3
	v_and_b32_sdwa v94, v99, v10 dst_sel:DWORD dst_unused:UNUSED_PAD src0_sel:DWORD src1_sel:BYTE_1
	v_and_b32_e32 v95, 3, v94
	v_bfe_u32 v106, v94, 2, 5
	v_ffbh_u32_e32 v104, v95
	v_cmp_eq_u32_e32 vcc_lo, 0, v106
	v_min_u32_e32 v104, 32, v104
	v_subrev_nc_u32_e32 v105, 29, v104
	v_sub_nc_u32_e32 v104, 30, v104
	v_lshlrev_b32_e32 v94, v105, v94
	v_lshlrev_b32_sdwa v105, v100, v10 dst_sel:DWORD dst_unused:UNUSED_PAD src0_sel:DWORD src1_sel:BYTE_1
	v_cndmask_b32_e32 v104, v106, v104, vcc_lo
	v_and_b32_e32 v94, 3, v94
	v_lshl_add_u32 v104, v104, 23, 0x37800000
	v_cndmask_b32_e32 v94, v95, v94, vcc_lo
	v_and_b32_e32 v95, 0x80000000, v105
	v_lshlrev_b32_e32 v94, 21, v94
	v_or3_b32 v94, v95, v104, v94
.LBB2_3609:                             ;   in Loop: Header=BB2_3185 Depth=3
	s_or_b32 exec_lo, exec_lo, s18
	v_add_f32_e32 v94, v90, v94
	v_and_b32_e32 v90, 0x7f800000, v94
	v_cmp_ne_u32_e32 vcc_lo, 0x7f800000, v90
	v_mov_b32_e32 v90, 0x8000
	s_and_saveexec_b32 s18, vcc_lo
	s_cbranch_execz .LBB2_3617
; %bb.3610:                             ;   in Loop: Header=BB2_3185 Depth=3
	v_mov_b32_e32 v90, 0
	s_mov_b32 s22, exec_lo
	v_cmpx_ne_u32_e32 0, v94
	s_cbranch_execz .LBB2_3616
; %bb.3611:                             ;   in Loop: Header=BB2_3185 Depth=3
	v_bfe_u32 v90, v94, 23, 8
	v_and_b32_e32 v95, 0x7fffff, v94
	v_sub_nc_u32_e32 v104, 0x70, v90
	v_cmp_gt_u32_e32 vcc_lo, 0x71, v90
	v_or_b32_e32 v105, 0x800000, v95
	v_cndmask_b32_e32 v104, 0, v104, vcc_lo
	v_cmp_eq_u32_e32 vcc_lo, 0, v90
	v_add_nc_u32_e32 v90, 0xffffff91, v90
	v_cndmask_b32_e64 v104, v104, 0x6f, vcc_lo
	v_cndmask_b32_e32 v95, v105, v95, vcc_lo
	v_cndmask_b32_e64 v90, v90, 0xffffff92, vcc_lo
	v_lshl_add_u32 v105, 0x200000, v104, -1
	v_lshrrev_b32_e32 v106, v104, v95
	v_lshlrev_b32_e64 v108, v104, 0x100000
	v_add_nc_u32_e32 v104, v104, v90
	v_and_b32_e32 v95, v105, v95
	v_bfe_u32 v107, v106, 21, 1
	v_cmp_eq_u32_e64 s17, v95, v108
	v_add_nc_u32_e32 v105, -1, v107
	v_cndmask_b32_e64 v95, 0, v105, s17
	v_lshrrev_b32_e32 v105, 23, v106
	s_mov_b32 s17, exec_lo
	v_add_nc_u32_e32 v95, v95, v106
	v_xor_b32_e32 v105, 1, v105
	v_and_b32_e32 v90, 0x1fffff, v95
	v_add_nc_u32_e32 v95, v90, v106
                                        ; implicit-def: $vgpr90
	v_cmpx_ne_u32_e64 v104, v105
	s_xor_b32 s17, exec_lo, s17
; %bb.3612:                             ;   in Loop: Header=BB2_3185 Depth=3
	v_cmp_lt_u32_e32 vcc_lo, 0xffffff, v95
	v_sub_nc_u32_e32 v90, v104, v105
	v_cndmask_b32_e64 v104, 0, 1, vcc_lo
	v_add_co_ci_u32_e64 v90, null, 0, v90, vcc_lo
	v_lshrrev_b32_e32 v95, v104, v95
; %bb.3613:                             ;   in Loop: Header=BB2_3185 Depth=3
	s_andn2_saveexec_b32 s17, s17
; %bb.3614:                             ;   in Loop: Header=BB2_3185 Depth=3
	v_bfe_u32 v90, v95, 23, 1
; %bb.3615:                             ;   in Loop: Header=BB2_3185 Depth=3
	s_or_b32 exec_lo, exec_lo, s17
	v_lshrrev_b32_e32 v95, 21, v95
	v_min_i32_e32 v104, 31, v90
	v_cmp_gt_i32_e32 vcc_lo, 32, v90
	v_and_b32_sdwa v94, v94, v98 dst_sel:DWORD dst_unused:UNUSED_PAD src0_sel:BYTE_3 src1_sel:DWORD
	v_lshlrev_b32_e32 v104, 2, v104
	v_cndmask_b32_e32 v95, 3, v95, vcc_lo
	v_and_b32_e32 v104, 0xfc, v104
	v_and_b32_e32 v105, 3, v95
	v_or_b32_e32 v90, v90, v95
	v_or3_b32 v94, v94, v104, v105
	v_cmp_ne_u32_e32 vcc_lo, 0, v90
	v_lshlrev_b32_e32 v94, 8, v94
	v_cndmask_b32_e32 v90, 0, v94, vcc_lo
.LBB2_3616:                             ;   in Loop: Header=BB2_3185 Depth=3
	s_or_b32 exec_lo, exec_lo, s22
.LBB2_3617:                             ;   in Loop: Header=BB2_3185 Depth=3
	s_or_b32 exec_lo, exec_lo, s18
	v_or_b32_e32 v88, v88, v76
	s_mov_b32 s17, 0
	v_cmp_gt_i16_sdwa s18, v88, v97 src0_sel:BYTE_0 src1_sel:DWORD
	s_and_saveexec_b32 s22, s18
	s_xor_b32 s18, exec_lo, s22
	s_cbranch_execz .LBB2_3812
; %bb.3618:                             ;   in Loop: Header=BB2_3185 Depth=3
	v_cmp_eq_u16_sdwa s23, v88, v98 src0_sel:BYTE_0 src1_sel:DWORD
	s_mov_b32 s17, -1
	s_and_saveexec_b32 s22, s23
; %bb.3619:                             ;   in Loop: Header=BB2_3185 Depth=3
	s_xor_b32 s17, exec_lo, -1
; %bb.3620:                             ;   in Loop: Header=BB2_3185 Depth=3
	s_or_b32 exec_lo, exec_lo, s22
	s_and_b32 s17, s17, exec_lo
	s_or_saveexec_b32 s18, s18
	v_mov_b32_e32 v76, 0x7f800001
	s_xor_b32 exec_lo, exec_lo, s18
	s_cbranch_execnz .LBB2_3813
.LBB2_3621:                             ;   in Loop: Header=BB2_3185 Depth=3
	s_or_b32 exec_lo, exec_lo, s18
	v_lshl_or_b32 v88, v88, 16, v92
	s_and_saveexec_b32 s18, s17
	s_cbranch_execz .LBB2_3623
.LBB2_3622:                             ;   in Loop: Header=BB2_3185 Depth=3
	v_bfe_u32 v76, v88, 16, 2
	v_bfe_u32 v95, v88, 18, 5
	v_lshlrev_b32_e32 v104, 8, v88
	v_ffbh_u32_e32 v92, v76
	v_cmp_eq_u32_e32 vcc_lo, 0, v95
	v_min_u32_e32 v92, 32, v92
	v_subrev_nc_u32_e32 v94, 29, v92
	v_sub_nc_u32_e32 v92, 30, v92
	v_lshlrev_b32_sdwa v94, v94, v88 dst_sel:DWORD dst_unused:UNUSED_PAD src0_sel:DWORD src1_sel:WORD_1
	v_cndmask_b32_e32 v92, v95, v92, vcc_lo
	v_and_b32_e32 v94, 3, v94
	v_lshl_add_u32 v92, v92, 23, 0x37800000
	v_cndmask_b32_e32 v76, v76, v94, vcc_lo
	v_and_b32_e32 v94, 0x80000000, v104
	v_lshlrev_b32_e32 v76, 21, v76
	v_or3_b32 v76, v94, v92, v76
.LBB2_3623:                             ;   in Loop: Header=BB2_3185 Depth=3
	s_or_b32 exec_lo, exec_lo, s18
	v_and_b32_sdwa v94, v10, v101 dst_sel:DWORD dst_unused:UNUSED_PAD src0_sel:WORD_1 src1_sel:DWORD
	s_mov_b32 s17, 0
	s_mov_b32 s18, exec_lo
	v_cmpx_lt_i16_e32 0x7f, v94
	s_xor_b32 s18, exec_lo, s18
	s_cbranch_execz .LBB2_3814
; %bb.3624:                             ;   in Loop: Header=BB2_3185 Depth=3
	s_mov_b32 s17, -1
	s_mov_b32 s22, exec_lo
	v_cmpx_eq_u16_e32 0x80, v94
; %bb.3625:                             ;   in Loop: Header=BB2_3185 Depth=3
	s_xor_b32 s17, exec_lo, -1
; %bb.3626:                             ;   in Loop: Header=BB2_3185 Depth=3
	s_or_b32 exec_lo, exec_lo, s22
	s_and_b32 s17, s17, exec_lo
                                        ; implicit-def: $vgpr94
	s_or_saveexec_b32 s18, s18
	v_mov_b32_e32 v92, 0x7f800001
	s_xor_b32 exec_lo, exec_lo, s18
	s_cbranch_execnz .LBB2_3815
.LBB2_3627:                             ;   in Loop: Header=BB2_3185 Depth=3
	s_or_b32 exec_lo, exec_lo, s18
	s_and_saveexec_b32 s18, s17
	s_cbranch_execz .LBB2_3629
.LBB2_3628:                             ;   in Loop: Header=BB2_3185 Depth=3
	v_and_b32_sdwa v92, v10, v103 dst_sel:DWORD dst_unused:UNUSED_PAD src0_sel:WORD_1 src1_sel:DWORD
	v_bfe_u32 v104, v10, 18, 5
	v_lshlrev_b32_sdwa v105, v100, v10 dst_sel:DWORD dst_unused:UNUSED_PAD src0_sel:DWORD src1_sel:WORD_1
	v_ffbh_u32_e32 v94, v92
	v_cmp_eq_u32_e32 vcc_lo, 0, v104
	v_min_u32_e32 v94, 32, v94
	v_subrev_nc_u32_e32 v95, 29, v94
	v_sub_nc_u32_e32 v94, 30, v94
	v_lshlrev_b32_sdwa v95, v95, v10 dst_sel:DWORD dst_unused:UNUSED_PAD src0_sel:DWORD src1_sel:WORD_1
	v_cndmask_b32_e32 v94, v104, v94, vcc_lo
	v_and_b32_e32 v95, 3, v95
	v_lshl_add_u32 v94, v94, 23, 0x37800000
	v_cndmask_b32_e32 v92, v92, v95, vcc_lo
	v_and_b32_e32 v95, 0x80000000, v105
	v_lshlrev_b32_e32 v92, 21, v92
	v_or3_b32 v92, v95, v94, v92
.LBB2_3629:                             ;   in Loop: Header=BB2_3185 Depth=3
	s_or_b32 exec_lo, exec_lo, s18
	v_add_f32_e32 v92, v76, v92
	v_and_b32_e32 v76, 0x7f800000, v92
	v_cmp_ne_u32_e32 vcc_lo, 0x7f800000, v76
	v_mov_b32_e32 v76, 0x80
	s_and_saveexec_b32 s18, vcc_lo
	s_cbranch_execz .LBB2_3637
; %bb.3630:                             ;   in Loop: Header=BB2_3185 Depth=3
	v_mov_b32_e32 v76, 0
	s_mov_b32 s22, exec_lo
	v_cmpx_ne_u32_e32 0, v92
	s_cbranch_execz .LBB2_3636
; %bb.3631:                             ;   in Loop: Header=BB2_3185 Depth=3
	v_bfe_u32 v76, v92, 23, 8
	v_and_b32_e32 v94, 0x7fffff, v92
	v_sub_nc_u32_e32 v95, 0x70, v76
	v_cmp_gt_u32_e32 vcc_lo, 0x71, v76
	v_or_b32_e32 v104, 0x800000, v94
	v_cndmask_b32_e32 v95, 0, v95, vcc_lo
	v_cmp_eq_u32_e32 vcc_lo, 0, v76
	v_add_nc_u32_e32 v76, 0xffffff91, v76
	v_cndmask_b32_e64 v95, v95, 0x6f, vcc_lo
	v_cndmask_b32_e32 v94, v104, v94, vcc_lo
	v_cndmask_b32_e64 v76, v76, 0xffffff92, vcc_lo
	v_lshl_add_u32 v104, 0x200000, v95, -1
	v_lshrrev_b32_e32 v105, v95, v94
	v_lshlrev_b32_e64 v107, v95, 0x100000
	v_add_nc_u32_e32 v95, v95, v76
	v_and_b32_e32 v94, v104, v94
	v_bfe_u32 v106, v105, 21, 1
	v_cmp_eq_u32_e64 s17, v94, v107
	v_add_nc_u32_e32 v104, -1, v106
	v_cndmask_b32_e64 v94, 0, v104, s17
	v_lshrrev_b32_e32 v104, 23, v105
	s_mov_b32 s17, exec_lo
	v_add_nc_u32_e32 v94, v94, v105
	v_xor_b32_e32 v104, 1, v104
	v_and_b32_e32 v76, 0x1fffff, v94
	v_add_nc_u32_e32 v94, v76, v105
                                        ; implicit-def: $vgpr76
	v_cmpx_ne_u32_e64 v95, v104
	s_xor_b32 s17, exec_lo, s17
; %bb.3632:                             ;   in Loop: Header=BB2_3185 Depth=3
	v_cmp_lt_u32_e32 vcc_lo, 0xffffff, v94
	v_sub_nc_u32_e32 v76, v95, v104
	v_cndmask_b32_e64 v95, 0, 1, vcc_lo
	v_add_co_ci_u32_e64 v76, null, 0, v76, vcc_lo
	v_lshrrev_b32_e32 v94, v95, v94
; %bb.3633:                             ;   in Loop: Header=BB2_3185 Depth=3
	s_andn2_saveexec_b32 s17, s17
; %bb.3634:                             ;   in Loop: Header=BB2_3185 Depth=3
	v_bfe_u32 v76, v94, 23, 1
; %bb.3635:                             ;   in Loop: Header=BB2_3185 Depth=3
	s_or_b32 exec_lo, exec_lo, s17
	v_lshrrev_b32_e32 v94, 21, v94
	v_min_i32_e32 v95, 31, v76
	v_cmp_gt_i32_e32 vcc_lo, 32, v76
	v_and_b32_sdwa v92, v92, v98 dst_sel:DWORD dst_unused:UNUSED_PAD src0_sel:BYTE_3 src1_sel:DWORD
	v_lshlrev_b32_e32 v95, 2, v95
	v_cndmask_b32_e32 v94, 3, v94, vcc_lo
	v_and_b32_e32 v95, 0xfc, v95
	v_and_b32_e32 v104, 3, v94
	v_or_b32_e32 v76, v76, v94
	v_or3_b32 v92, v95, v92, v104
	v_cmp_ne_u32_e32 vcc_lo, 0, v76
	v_cndmask_b32_e32 v76, 0, v92, vcc_lo
.LBB2_3636:                             ;   in Loop: Header=BB2_3185 Depth=3
	s_or_b32 exec_lo, exec_lo, s22
.LBB2_3637:                             ;   in Loop: Header=BB2_3185 Depth=3
	s_or_b32 exec_lo, exec_lo, s18
	v_cmp_gt_i16_sdwa s18, v88, v97 src0_sel:BYTE_3 src1_sel:DWORD
	s_mov_b32 s17, 0
	s_and_saveexec_b32 s22, s18
	s_xor_b32 s18, exec_lo, s22
	s_cbranch_execz .LBB2_3816
; %bb.3638:                             ;   in Loop: Header=BB2_3185 Depth=3
	v_cmp_eq_u16_sdwa s23, v88, v98 src0_sel:BYTE_3 src1_sel:DWORD
	s_mov_b32 s17, -1
	s_and_saveexec_b32 s22, s23
; %bb.3639:                             ;   in Loop: Header=BB2_3185 Depth=3
	s_xor_b32 s17, exec_lo, -1
; %bb.3640:                             ;   in Loop: Header=BB2_3185 Depth=3
	s_or_b32 exec_lo, exec_lo, s22
	s_and_b32 s17, s17, exec_lo
	s_or_saveexec_b32 s18, s18
	v_mov_b32_e32 v92, 0x7f800001
	s_xor_b32 exec_lo, exec_lo, s18
	s_cbranch_execnz .LBB2_3817
.LBB2_3641:                             ;   in Loop: Header=BB2_3185 Depth=3
	s_or_b32 exec_lo, exec_lo, s18
	s_and_saveexec_b32 s18, s17
	s_cbranch_execz .LBB2_3643
.LBB2_3642:                             ;   in Loop: Header=BB2_3185 Depth=3
	v_bfe_u32 v92, v88, 24, 2
	v_bfe_u32 v104, v88, 26, 5
	v_ffbh_u32_e32 v94, v92
	v_cmp_eq_u32_e32 vcc_lo, 0, v104
	v_min_u32_e32 v94, 32, v94
	v_subrev_nc_u32_e32 v95, 29, v94
	v_sub_nc_u32_e32 v94, 30, v94
	v_lshlrev_b32_sdwa v95, v95, v88 dst_sel:DWORD dst_unused:UNUSED_PAD src0_sel:DWORD src1_sel:BYTE_3
	v_cndmask_b32_e32 v94, v104, v94, vcc_lo
	v_and_b32_e32 v88, 0x80000000, v88
	v_and_b32_e32 v95, 3, v95
	v_lshl_add_u32 v94, v94, 23, 0x37800000
	v_cndmask_b32_e32 v92, v92, v95, vcc_lo
	v_lshlrev_b32_e32 v92, 21, v92
	v_or3_b32 v92, v88, v94, v92
.LBB2_3643:                             ;   in Loop: Header=BB2_3185 Depth=3
	s_or_b32 exec_lo, exec_lo, s18
	v_cmp_gt_i16_sdwa s18, v10, v97 src0_sel:BYTE_3 src1_sel:DWORD
	s_mov_b32 s17, 0
	s_and_saveexec_b32 s22, s18
	s_xor_b32 s18, exec_lo, s22
	s_cbranch_execz .LBB2_3818
; %bb.3644:                             ;   in Loop: Header=BB2_3185 Depth=3
	v_cmp_eq_u16_sdwa s23, v10, v98 src0_sel:BYTE_3 src1_sel:DWORD
	s_mov_b32 s17, -1
	s_and_saveexec_b32 s22, s23
; %bb.3645:                             ;   in Loop: Header=BB2_3185 Depth=3
	s_xor_b32 s17, exec_lo, -1
; %bb.3646:                             ;   in Loop: Header=BB2_3185 Depth=3
	s_or_b32 exec_lo, exec_lo, s22
	s_and_b32 s17, s17, exec_lo
	s_or_saveexec_b32 s18, s18
	v_mov_b32_e32 v88, 0x7f800001
	s_xor_b32 exec_lo, exec_lo, s18
	s_cbranch_execnz .LBB2_3819
.LBB2_3647:                             ;   in Loop: Header=BB2_3185 Depth=3
	s_or_b32 exec_lo, exec_lo, s18
	s_and_saveexec_b32 s18, s17
	s_cbranch_execz .LBB2_3649
.LBB2_3648:                             ;   in Loop: Header=BB2_3185 Depth=3
	v_and_b32_sdwa v88, v10, v103 dst_sel:DWORD dst_unused:UNUSED_PAD src0_sel:BYTE_3 src1_sel:DWORD
	v_bfe_u32 v104, v10, 26, 5
	v_ffbh_u32_e32 v94, v88
	v_cmp_eq_u32_e32 vcc_lo, 0, v104
	v_min_u32_e32 v94, 32, v94
	v_subrev_nc_u32_e32 v95, 29, v94
	v_sub_nc_u32_e32 v94, 30, v94
	v_lshlrev_b32_sdwa v95, v95, v10 dst_sel:DWORD dst_unused:UNUSED_PAD src0_sel:DWORD src1_sel:BYTE_3
	v_cndmask_b32_e32 v94, v104, v94, vcc_lo
	v_and_b32_e32 v10, 0x80000000, v10
	v_and_b32_e32 v95, 3, v95
	v_lshl_add_u32 v94, v94, 23, 0x37800000
	v_cndmask_b32_e32 v88, v88, v95, vcc_lo
	v_lshlrev_b32_e32 v88, 21, v88
	v_or3_b32 v88, v10, v94, v88
.LBB2_3649:                             ;   in Loop: Header=BB2_3185 Depth=3
	s_or_b32 exec_lo, exec_lo, s18
	v_add_f32_e32 v88, v92, v88
	v_and_b32_e32 v10, 0x7f800000, v88
	v_cmp_ne_u32_e32 vcc_lo, 0x7f800000, v10
	v_mov_b32_e32 v10, 0x8000
	s_and_saveexec_b32 s18, vcc_lo
	s_cbranch_execz .LBB2_3657
; %bb.3650:                             ;   in Loop: Header=BB2_3185 Depth=3
	v_mov_b32_e32 v10, 0
	s_mov_b32 s22, exec_lo
	v_cmpx_ne_u32_e32 0, v88
	s_cbranch_execz .LBB2_3656
; %bb.3651:                             ;   in Loop: Header=BB2_3185 Depth=3
	v_bfe_u32 v10, v88, 23, 8
	v_and_b32_e32 v92, 0x7fffff, v88
	v_sub_nc_u32_e32 v94, 0x70, v10
	v_cmp_gt_u32_e32 vcc_lo, 0x71, v10
	v_or_b32_e32 v95, 0x800000, v92
	v_cndmask_b32_e32 v94, 0, v94, vcc_lo
	v_cmp_eq_u32_e32 vcc_lo, 0, v10
	v_add_nc_u32_e32 v10, 0xffffff91, v10
	v_cndmask_b32_e64 v94, v94, 0x6f, vcc_lo
	v_cndmask_b32_e32 v92, v95, v92, vcc_lo
	v_cndmask_b32_e64 v10, v10, 0xffffff92, vcc_lo
	v_lshl_add_u32 v95, 0x200000, v94, -1
	v_lshrrev_b32_e32 v104, v94, v92
	v_lshlrev_b32_e64 v106, v94, 0x100000
	v_add_nc_u32_e32 v94, v94, v10
	v_and_b32_e32 v92, v95, v92
	v_bfe_u32 v105, v104, 21, 1
	v_cmp_eq_u32_e64 s17, v92, v106
	v_add_nc_u32_e32 v95, -1, v105
	v_cndmask_b32_e64 v92, 0, v95, s17
	v_lshrrev_b32_e32 v95, 23, v104
	s_mov_b32 s17, exec_lo
	v_add_nc_u32_e32 v92, v92, v104
	v_xor_b32_e32 v95, 1, v95
	v_and_b32_e32 v10, 0x1fffff, v92
	v_add_nc_u32_e32 v92, v10, v104
                                        ; implicit-def: $vgpr10
	v_cmpx_ne_u32_e64 v94, v95
	s_xor_b32 s17, exec_lo, s17
; %bb.3652:                             ;   in Loop: Header=BB2_3185 Depth=3
	v_cmp_lt_u32_e32 vcc_lo, 0xffffff, v92
	v_sub_nc_u32_e32 v10, v94, v95
	v_cndmask_b32_e64 v94, 0, 1, vcc_lo
	v_add_co_ci_u32_e64 v10, null, 0, v10, vcc_lo
	v_lshrrev_b32_e32 v92, v94, v92
; %bb.3653:                             ;   in Loop: Header=BB2_3185 Depth=3
	s_andn2_saveexec_b32 s17, s17
; %bb.3654:                             ;   in Loop: Header=BB2_3185 Depth=3
	v_bfe_u32 v10, v92, 23, 1
; %bb.3655:                             ;   in Loop: Header=BB2_3185 Depth=3
	s_or_b32 exec_lo, exec_lo, s17
	v_lshrrev_b32_e32 v92, 21, v92
	v_min_i32_e32 v94, 31, v10
	v_cmp_gt_i32_e32 vcc_lo, 32, v10
	v_and_b32_sdwa v88, v88, v98 dst_sel:DWORD dst_unused:UNUSED_PAD src0_sel:BYTE_3 src1_sel:DWORD
	v_lshlrev_b32_e32 v94, 2, v94
	v_cndmask_b32_e32 v92, 3, v92, vcc_lo
	v_and_b32_e32 v94, 0xfc, v94
	v_and_b32_e32 v95, 3, v92
	v_or_b32_e32 v10, v10, v92
	v_or3_b32 v88, v88, v94, v95
	v_cmp_ne_u32_e32 vcc_lo, 0, v10
	v_lshlrev_b32_e32 v88, 8, v88
	v_cndmask_b32_e32 v10, 0, v88, vcc_lo
.LBB2_3656:                             ;   in Loop: Header=BB2_3185 Depth=3
	s_or_b32 exec_lo, exec_lo, s22
.LBB2_3657:                             ;   in Loop: Header=BB2_3185 Depth=3
	s_or_b32 exec_lo, exec_lo, s18
	v_or_b32_e32 v77, v77, v73
	s_mov_b32 s17, 0
	v_cmp_gt_i16_sdwa s18, v77, v97 src0_sel:BYTE_0 src1_sel:DWORD
	s_and_saveexec_b32 s22, s18
	s_xor_b32 s18, exec_lo, s22
	s_cbranch_execz .LBB2_3820
; %bb.3658:                             ;   in Loop: Header=BB2_3185 Depth=3
	v_cmp_eq_u16_sdwa s23, v77, v98 src0_sel:BYTE_0 src1_sel:DWORD
	s_mov_b32 s17, -1
	s_and_saveexec_b32 s22, s23
; %bb.3659:                             ;   in Loop: Header=BB2_3185 Depth=3
	s_xor_b32 s17, exec_lo, -1
; %bb.3660:                             ;   in Loop: Header=BB2_3185 Depth=3
	s_or_b32 exec_lo, exec_lo, s22
	s_and_b32 s17, s17, exec_lo
	s_or_saveexec_b32 s18, s18
	v_mov_b32_e32 v73, 0x7f800001
	s_xor_b32 exec_lo, exec_lo, s18
	s_cbranch_execnz .LBB2_3821
.LBB2_3661:                             ;   in Loop: Header=BB2_3185 Depth=3
	s_or_b32 exec_lo, exec_lo, s18
	s_and_saveexec_b32 s18, s17
	s_cbranch_execz .LBB2_3663
.LBB2_3662:                             ;   in Loop: Header=BB2_3185 Depth=3
	v_and_b32_e32 v73, 3, v77
	v_bfe_u32 v94, v77, 2, 5
	v_lshlrev_b32_e32 v95, 24, v77
	v_ffbh_u32_e32 v88, v73
	v_cmp_eq_u32_e32 vcc_lo, 0, v94
	v_min_u32_e32 v88, 32, v88
	v_subrev_nc_u32_e32 v92, 29, v88
	v_sub_nc_u32_e32 v88, 30, v88
	v_lshlrev_b32_e32 v92, v92, v77
	v_cndmask_b32_e32 v88, v94, v88, vcc_lo
	v_and_b32_e32 v92, 3, v92
	v_lshl_add_u32 v88, v88, 23, 0x37800000
	v_cndmask_b32_e32 v73, v73, v92, vcc_lo
	v_and_b32_e32 v92, 0x80000000, v95
	v_lshlrev_b32_e32 v73, 21, v73
	v_or3_b32 v73, v92, v88, v73
.LBB2_3663:                             ;   in Loop: Header=BB2_3185 Depth=3
	s_or_b32 exec_lo, exec_lo, s18
	v_cmp_gt_i16_sdwa s18, v11, v97 src0_sel:BYTE_0 src1_sel:DWORD
	s_mov_b32 s17, 0
	s_and_saveexec_b32 s22, s18
	s_xor_b32 s18, exec_lo, s22
	s_cbranch_execz .LBB2_3822
; %bb.3664:                             ;   in Loop: Header=BB2_3185 Depth=3
	v_cmp_eq_u16_sdwa s23, v11, v98 src0_sel:BYTE_0 src1_sel:DWORD
	s_mov_b32 s17, -1
	s_and_saveexec_b32 s22, s23
; %bb.3665:                             ;   in Loop: Header=BB2_3185 Depth=3
	s_xor_b32 s17, exec_lo, -1
; %bb.3666:                             ;   in Loop: Header=BB2_3185 Depth=3
	s_or_b32 exec_lo, exec_lo, s22
	s_and_b32 s17, s17, exec_lo
	s_or_saveexec_b32 s18, s18
	v_mov_b32_e32 v88, 0x7f800001
	s_xor_b32 exec_lo, exec_lo, s18
	s_cbranch_execnz .LBB2_3823
.LBB2_3667:                             ;   in Loop: Header=BB2_3185 Depth=3
	s_or_b32 exec_lo, exec_lo, s18
	s_and_saveexec_b32 s18, s17
	s_cbranch_execz .LBB2_3669
.LBB2_3668:                             ;   in Loop: Header=BB2_3185 Depth=3
	v_and_b32_e32 v88, 3, v11
	v_bfe_u32 v95, v11, 2, 5
	v_lshlrev_b32_e32 v104, 24, v11
	v_ffbh_u32_e32 v92, v88
	v_cmp_eq_u32_e32 vcc_lo, 0, v95
	v_min_u32_e32 v92, 32, v92
	v_subrev_nc_u32_e32 v94, 29, v92
	v_sub_nc_u32_e32 v92, 30, v92
	v_lshlrev_b32_e32 v94, v94, v11
	v_cndmask_b32_e32 v92, v95, v92, vcc_lo
	v_and_b32_e32 v94, 3, v94
	v_lshl_add_u32 v92, v92, 23, 0x37800000
	v_cndmask_b32_e32 v88, v88, v94, vcc_lo
	v_and_b32_e32 v94, 0x80000000, v104
	v_lshlrev_b32_e32 v88, 21, v88
	v_or3_b32 v88, v94, v92, v88
.LBB2_3669:                             ;   in Loop: Header=BB2_3185 Depth=3
	s_or_b32 exec_lo, exec_lo, s18
	v_add_f32_e32 v88, v73, v88
	v_and_b32_e32 v73, 0x7f800000, v88
	v_cmp_ne_u32_e32 vcc_lo, 0x7f800000, v73
	v_mov_b32_e32 v73, 0x80
	s_and_saveexec_b32 s18, vcc_lo
	s_cbranch_execz .LBB2_3677
; %bb.3670:                             ;   in Loop: Header=BB2_3185 Depth=3
	v_mov_b32_e32 v73, 0
	s_mov_b32 s22, exec_lo
	v_cmpx_ne_u32_e32 0, v88
	s_cbranch_execz .LBB2_3676
; %bb.3671:                             ;   in Loop: Header=BB2_3185 Depth=3
	v_bfe_u32 v73, v88, 23, 8
	v_and_b32_e32 v92, 0x7fffff, v88
	v_sub_nc_u32_e32 v94, 0x70, v73
	v_cmp_gt_u32_e32 vcc_lo, 0x71, v73
	v_or_b32_e32 v95, 0x800000, v92
	v_cndmask_b32_e32 v94, 0, v94, vcc_lo
	v_cmp_eq_u32_e32 vcc_lo, 0, v73
	v_add_nc_u32_e32 v73, 0xffffff91, v73
	v_cndmask_b32_e64 v94, v94, 0x6f, vcc_lo
	v_cndmask_b32_e32 v92, v95, v92, vcc_lo
	v_cndmask_b32_e64 v73, v73, 0xffffff92, vcc_lo
	v_lshl_add_u32 v95, 0x200000, v94, -1
	v_lshrrev_b32_e32 v104, v94, v92
	v_lshlrev_b32_e64 v106, v94, 0x100000
	v_add_nc_u32_e32 v94, v94, v73
	v_and_b32_e32 v92, v95, v92
	v_bfe_u32 v105, v104, 21, 1
	v_cmp_eq_u32_e64 s17, v92, v106
	v_add_nc_u32_e32 v95, -1, v105
	v_cndmask_b32_e64 v92, 0, v95, s17
	v_lshrrev_b32_e32 v95, 23, v104
	s_mov_b32 s17, exec_lo
	v_add_nc_u32_e32 v92, v92, v104
	v_xor_b32_e32 v95, 1, v95
	v_and_b32_e32 v73, 0x1fffff, v92
	v_add_nc_u32_e32 v92, v73, v104
                                        ; implicit-def: $vgpr73
	v_cmpx_ne_u32_e64 v94, v95
	s_xor_b32 s17, exec_lo, s17
; %bb.3672:                             ;   in Loop: Header=BB2_3185 Depth=3
	v_cmp_lt_u32_e32 vcc_lo, 0xffffff, v92
	v_sub_nc_u32_e32 v73, v94, v95
	v_cndmask_b32_e64 v94, 0, 1, vcc_lo
	v_add_co_ci_u32_e64 v73, null, 0, v73, vcc_lo
	v_lshrrev_b32_e32 v92, v94, v92
; %bb.3673:                             ;   in Loop: Header=BB2_3185 Depth=3
	s_andn2_saveexec_b32 s17, s17
; %bb.3674:                             ;   in Loop: Header=BB2_3185 Depth=3
	v_bfe_u32 v73, v92, 23, 1
; %bb.3675:                             ;   in Loop: Header=BB2_3185 Depth=3
	s_or_b32 exec_lo, exec_lo, s17
	v_lshrrev_b32_e32 v92, 21, v92
	v_min_i32_e32 v94, 31, v73
	v_cmp_gt_i32_e32 vcc_lo, 32, v73
	v_and_b32_sdwa v88, v88, v98 dst_sel:DWORD dst_unused:UNUSED_PAD src0_sel:BYTE_3 src1_sel:DWORD
	v_lshlrev_b32_e32 v94, 2, v94
	v_cndmask_b32_e32 v92, 3, v92, vcc_lo
	v_and_b32_e32 v94, 0xfc, v94
	v_and_b32_e32 v95, 3, v92
	v_or_b32_e32 v73, v73, v92
	v_or3_b32 v88, v94, v88, v95
	v_cmp_ne_u32_e32 vcc_lo, 0, v73
	v_cndmask_b32_e32 v73, 0, v88, vcc_lo
.LBB2_3676:                             ;   in Loop: Header=BB2_3185 Depth=3
	s_or_b32 exec_lo, exec_lo, s22
.LBB2_3677:                             ;   in Loop: Header=BB2_3185 Depth=3
	s_or_b32 exec_lo, exec_lo, s18
	v_cmp_gt_i16_sdwa s18, v77, v97 src0_sel:BYTE_1 src1_sel:DWORD
	s_mov_b32 s17, 0
	s_and_saveexec_b32 s22, s18
	s_xor_b32 s18, exec_lo, s22
	s_cbranch_execz .LBB2_3824
; %bb.3678:                             ;   in Loop: Header=BB2_3185 Depth=3
	v_cmp_eq_u16_sdwa s23, v77, v98 src0_sel:BYTE_1 src1_sel:DWORD
	s_mov_b32 s17, -1
	s_and_saveexec_b32 s22, s23
; %bb.3679:                             ;   in Loop: Header=BB2_3185 Depth=3
	s_xor_b32 s17, exec_lo, -1
; %bb.3680:                             ;   in Loop: Header=BB2_3185 Depth=3
	s_or_b32 exec_lo, exec_lo, s22
	s_and_b32 s17, s17, exec_lo
	s_or_saveexec_b32 s18, s18
	v_mov_b32_e32 v88, 0x7f800001
	s_xor_b32 exec_lo, exec_lo, s18
	s_cbranch_execnz .LBB2_3825
.LBB2_3681:                             ;   in Loop: Header=BB2_3185 Depth=3
	s_or_b32 exec_lo, exec_lo, s18
	s_and_saveexec_b32 s18, s17
	s_cbranch_execz .LBB2_3683
.LBB2_3682:                             ;   in Loop: Header=BB2_3185 Depth=3
	v_and_b32_sdwa v88, v99, v77 dst_sel:DWORD dst_unused:UNUSED_PAD src0_sel:DWORD src1_sel:BYTE_1
	v_and_b32_e32 v92, 3, v88
	v_bfe_u32 v104, v88, 2, 5
	v_ffbh_u32_e32 v94, v92
	v_cmp_eq_u32_e32 vcc_lo, 0, v104
	v_min_u32_e32 v94, 32, v94
	v_subrev_nc_u32_e32 v95, 29, v94
	v_sub_nc_u32_e32 v94, 30, v94
	v_lshlrev_b32_e32 v88, v95, v88
	v_lshlrev_b32_sdwa v95, v100, v77 dst_sel:DWORD dst_unused:UNUSED_PAD src0_sel:DWORD src1_sel:BYTE_1
	v_cndmask_b32_e32 v94, v104, v94, vcc_lo
	v_and_b32_e32 v88, 3, v88
	v_lshl_add_u32 v94, v94, 23, 0x37800000
	v_cndmask_b32_e32 v88, v92, v88, vcc_lo
	v_and_b32_e32 v92, 0x80000000, v95
	v_lshlrev_b32_e32 v88, 21, v88
	v_or3_b32 v88, v92, v94, v88
.LBB2_3683:                             ;   in Loop: Header=BB2_3185 Depth=3
	s_or_b32 exec_lo, exec_lo, s18
	v_cmp_gt_i16_sdwa s18, v11, v97 src0_sel:BYTE_1 src1_sel:DWORD
	s_mov_b32 s17, 0
	s_and_saveexec_b32 s22, s18
	s_xor_b32 s18, exec_lo, s22
	s_cbranch_execz .LBB2_3826
; %bb.3684:                             ;   in Loop: Header=BB2_3185 Depth=3
	v_cmp_eq_u16_sdwa s23, v11, v98 src0_sel:BYTE_1 src1_sel:DWORD
	s_mov_b32 s17, -1
	s_and_saveexec_b32 s22, s23
; %bb.3685:                             ;   in Loop: Header=BB2_3185 Depth=3
	s_xor_b32 s17, exec_lo, -1
; %bb.3686:                             ;   in Loop: Header=BB2_3185 Depth=3
	s_or_b32 exec_lo, exec_lo, s22
	s_and_b32 s17, s17, exec_lo
	s_or_saveexec_b32 s18, s18
	v_mov_b32_e32 v92, 0x7f800001
	s_xor_b32 exec_lo, exec_lo, s18
	s_cbranch_execnz .LBB2_3827
.LBB2_3687:                             ;   in Loop: Header=BB2_3185 Depth=3
	s_or_b32 exec_lo, exec_lo, s18
	s_and_saveexec_b32 s18, s17
	s_cbranch_execz .LBB2_3689
.LBB2_3688:                             ;   in Loop: Header=BB2_3185 Depth=3
	v_and_b32_sdwa v92, v99, v11 dst_sel:DWORD dst_unused:UNUSED_PAD src0_sel:DWORD src1_sel:BYTE_1
	v_and_b32_e32 v94, 3, v92
	v_bfe_u32 v105, v92, 2, 5
	v_ffbh_u32_e32 v95, v94
	v_cmp_eq_u32_e32 vcc_lo, 0, v105
	v_min_u32_e32 v95, 32, v95
	v_subrev_nc_u32_e32 v104, 29, v95
	v_sub_nc_u32_e32 v95, 30, v95
	v_lshlrev_b32_e32 v92, v104, v92
	v_lshlrev_b32_sdwa v104, v100, v11 dst_sel:DWORD dst_unused:UNUSED_PAD src0_sel:DWORD src1_sel:BYTE_1
	v_cndmask_b32_e32 v95, v105, v95, vcc_lo
	v_and_b32_e32 v92, 3, v92
	v_lshl_add_u32 v95, v95, 23, 0x37800000
	v_cndmask_b32_e32 v92, v94, v92, vcc_lo
	v_and_b32_e32 v94, 0x80000000, v104
	v_lshlrev_b32_e32 v92, 21, v92
	v_or3_b32 v92, v94, v95, v92
.LBB2_3689:                             ;   in Loop: Header=BB2_3185 Depth=3
	s_or_b32 exec_lo, exec_lo, s18
	v_add_f32_e32 v92, v88, v92
	v_and_b32_e32 v88, 0x7f800000, v92
	v_cmp_ne_u32_e32 vcc_lo, 0x7f800000, v88
	v_mov_b32_e32 v88, 0x8000
	s_and_saveexec_b32 s18, vcc_lo
	s_cbranch_execz .LBB2_3697
; %bb.3690:                             ;   in Loop: Header=BB2_3185 Depth=3
	v_mov_b32_e32 v88, 0
	s_mov_b32 s22, exec_lo
	v_cmpx_ne_u32_e32 0, v92
	s_cbranch_execz .LBB2_3696
; %bb.3691:                             ;   in Loop: Header=BB2_3185 Depth=3
	v_bfe_u32 v88, v92, 23, 8
	v_and_b32_e32 v94, 0x7fffff, v92
	v_sub_nc_u32_e32 v95, 0x70, v88
	v_cmp_gt_u32_e32 vcc_lo, 0x71, v88
	v_or_b32_e32 v104, 0x800000, v94
	v_cndmask_b32_e32 v95, 0, v95, vcc_lo
	v_cmp_eq_u32_e32 vcc_lo, 0, v88
	v_add_nc_u32_e32 v88, 0xffffff91, v88
	v_cndmask_b32_e64 v95, v95, 0x6f, vcc_lo
	v_cndmask_b32_e32 v94, v104, v94, vcc_lo
	v_cndmask_b32_e64 v88, v88, 0xffffff92, vcc_lo
	v_lshl_add_u32 v104, 0x200000, v95, -1
	v_lshrrev_b32_e32 v105, v95, v94
	v_lshlrev_b32_e64 v107, v95, 0x100000
	v_add_nc_u32_e32 v95, v95, v88
	v_and_b32_e32 v94, v104, v94
	v_bfe_u32 v106, v105, 21, 1
	v_cmp_eq_u32_e64 s17, v94, v107
	v_add_nc_u32_e32 v104, -1, v106
	v_cndmask_b32_e64 v94, 0, v104, s17
	v_lshrrev_b32_e32 v104, 23, v105
	s_mov_b32 s17, exec_lo
	v_add_nc_u32_e32 v94, v94, v105
	v_xor_b32_e32 v104, 1, v104
	v_and_b32_e32 v88, 0x1fffff, v94
	v_add_nc_u32_e32 v94, v88, v105
                                        ; implicit-def: $vgpr88
	v_cmpx_ne_u32_e64 v95, v104
	s_xor_b32 s17, exec_lo, s17
; %bb.3692:                             ;   in Loop: Header=BB2_3185 Depth=3
	v_cmp_lt_u32_e32 vcc_lo, 0xffffff, v94
	v_sub_nc_u32_e32 v88, v95, v104
	v_cndmask_b32_e64 v95, 0, 1, vcc_lo
	v_add_co_ci_u32_e64 v88, null, 0, v88, vcc_lo
	v_lshrrev_b32_e32 v94, v95, v94
; %bb.3693:                             ;   in Loop: Header=BB2_3185 Depth=3
	s_andn2_saveexec_b32 s17, s17
; %bb.3694:                             ;   in Loop: Header=BB2_3185 Depth=3
	v_bfe_u32 v88, v94, 23, 1
; %bb.3695:                             ;   in Loop: Header=BB2_3185 Depth=3
	s_or_b32 exec_lo, exec_lo, s17
	v_lshrrev_b32_e32 v94, 21, v94
	v_min_i32_e32 v95, 31, v88
	v_cmp_gt_i32_e32 vcc_lo, 32, v88
	v_and_b32_sdwa v92, v92, v98 dst_sel:DWORD dst_unused:UNUSED_PAD src0_sel:BYTE_3 src1_sel:DWORD
	v_lshlrev_b32_e32 v95, 2, v95
	v_cndmask_b32_e32 v94, 3, v94, vcc_lo
	v_and_b32_e32 v95, 0xfc, v95
	v_and_b32_e32 v104, 3, v94
	v_or_b32_e32 v88, v88, v94
	v_or3_b32 v92, v92, v95, v104
	v_cmp_ne_u32_e32 vcc_lo, 0, v88
	v_lshlrev_b32_e32 v92, 8, v92
	v_cndmask_b32_e32 v88, 0, v92, vcc_lo
.LBB2_3696:                             ;   in Loop: Header=BB2_3185 Depth=3
	s_or_b32 exec_lo, exec_lo, s22
.LBB2_3697:                             ;   in Loop: Header=BB2_3185 Depth=3
	s_or_b32 exec_lo, exec_lo, s18
	v_or_b32_e32 v75, v75, v72
	s_mov_b32 s17, 0
	v_cmp_gt_i16_sdwa s18, v75, v97 src0_sel:BYTE_0 src1_sel:DWORD
	s_and_saveexec_b32 s22, s18
	s_xor_b32 s18, exec_lo, s22
	s_cbranch_execz .LBB2_3828
; %bb.3698:                             ;   in Loop: Header=BB2_3185 Depth=3
	v_cmp_eq_u16_sdwa s23, v75, v98 src0_sel:BYTE_0 src1_sel:DWORD
	s_mov_b32 s17, -1
	s_and_saveexec_b32 s22, s23
; %bb.3699:                             ;   in Loop: Header=BB2_3185 Depth=3
	s_xor_b32 s17, exec_lo, -1
; %bb.3700:                             ;   in Loop: Header=BB2_3185 Depth=3
	s_or_b32 exec_lo, exec_lo, s22
	s_and_b32 s17, s17, exec_lo
	s_or_saveexec_b32 s18, s18
	v_mov_b32_e32 v72, 0x7f800001
	s_xor_b32 exec_lo, exec_lo, s18
	s_cbranch_execnz .LBB2_3829
.LBB2_3701:                             ;   in Loop: Header=BB2_3185 Depth=3
	s_or_b32 exec_lo, exec_lo, s18
	v_lshl_or_b32 v75, v75, 16, v77
	s_and_saveexec_b32 s18, s17
	s_cbranch_execz .LBB2_3703
.LBB2_3702:                             ;   in Loop: Header=BB2_3185 Depth=3
	v_bfe_u32 v72, v75, 16, 2
	v_bfe_u32 v94, v75, 18, 5
	v_lshlrev_b32_e32 v95, 8, v75
	v_ffbh_u32_e32 v77, v72
	v_cmp_eq_u32_e32 vcc_lo, 0, v94
	v_min_u32_e32 v77, 32, v77
	v_subrev_nc_u32_e32 v92, 29, v77
	v_sub_nc_u32_e32 v77, 30, v77
	v_lshlrev_b32_sdwa v92, v92, v75 dst_sel:DWORD dst_unused:UNUSED_PAD src0_sel:DWORD src1_sel:WORD_1
	v_cndmask_b32_e32 v77, v94, v77, vcc_lo
	v_and_b32_e32 v92, 3, v92
	v_lshl_add_u32 v77, v77, 23, 0x37800000
	v_cndmask_b32_e32 v72, v72, v92, vcc_lo
	v_and_b32_e32 v92, 0x80000000, v95
	v_lshlrev_b32_e32 v72, 21, v72
	v_or3_b32 v72, v92, v77, v72
.LBB2_3703:                             ;   in Loop: Header=BB2_3185 Depth=3
	s_or_b32 exec_lo, exec_lo, s18
	v_and_b32_sdwa v92, v11, v101 dst_sel:DWORD dst_unused:UNUSED_PAD src0_sel:WORD_1 src1_sel:DWORD
	s_mov_b32 s17, 0
	s_mov_b32 s18, exec_lo
	v_cmpx_lt_i16_e32 0x7f, v92
	s_xor_b32 s18, exec_lo, s18
	s_cbranch_execz .LBB2_3830
; %bb.3704:                             ;   in Loop: Header=BB2_3185 Depth=3
	s_mov_b32 s17, -1
	s_mov_b32 s22, exec_lo
	v_cmpx_eq_u16_e32 0x80, v92
; %bb.3705:                             ;   in Loop: Header=BB2_3185 Depth=3
	s_xor_b32 s17, exec_lo, -1
; %bb.3706:                             ;   in Loop: Header=BB2_3185 Depth=3
	s_or_b32 exec_lo, exec_lo, s22
	s_and_b32 s17, s17, exec_lo
                                        ; implicit-def: $vgpr92
	s_or_saveexec_b32 s18, s18
	v_mov_b32_e32 v77, 0x7f800001
	s_xor_b32 exec_lo, exec_lo, s18
	s_cbranch_execnz .LBB2_3831
.LBB2_3707:                             ;   in Loop: Header=BB2_3185 Depth=3
	s_or_b32 exec_lo, exec_lo, s18
	s_and_saveexec_b32 s18, s17
	s_cbranch_execz .LBB2_3709
.LBB2_3708:                             ;   in Loop: Header=BB2_3185 Depth=3
	v_and_b32_sdwa v77, v11, v103 dst_sel:DWORD dst_unused:UNUSED_PAD src0_sel:WORD_1 src1_sel:DWORD
	v_bfe_u32 v95, v11, 18, 5
	v_lshlrev_b32_sdwa v104, v100, v11 dst_sel:DWORD dst_unused:UNUSED_PAD src0_sel:DWORD src1_sel:WORD_1
	v_ffbh_u32_e32 v92, v77
	v_cmp_eq_u32_e32 vcc_lo, 0, v95
	v_min_u32_e32 v92, 32, v92
	v_subrev_nc_u32_e32 v94, 29, v92
	v_sub_nc_u32_e32 v92, 30, v92
	v_lshlrev_b32_sdwa v94, v94, v11 dst_sel:DWORD dst_unused:UNUSED_PAD src0_sel:DWORD src1_sel:WORD_1
	v_cndmask_b32_e32 v92, v95, v92, vcc_lo
	v_and_b32_e32 v94, 3, v94
	v_lshl_add_u32 v92, v92, 23, 0x37800000
	v_cndmask_b32_e32 v77, v77, v94, vcc_lo
	v_and_b32_e32 v94, 0x80000000, v104
	v_lshlrev_b32_e32 v77, 21, v77
	v_or3_b32 v77, v94, v92, v77
.LBB2_3709:                             ;   in Loop: Header=BB2_3185 Depth=3
	s_or_b32 exec_lo, exec_lo, s18
	v_add_f32_e32 v77, v72, v77
	v_and_b32_e32 v72, 0x7f800000, v77
	v_cmp_ne_u32_e32 vcc_lo, 0x7f800000, v72
	v_mov_b32_e32 v72, 0x80
	s_and_saveexec_b32 s18, vcc_lo
	s_cbranch_execz .LBB2_3717
; %bb.3710:                             ;   in Loop: Header=BB2_3185 Depth=3
	v_mov_b32_e32 v72, 0
	s_mov_b32 s22, exec_lo
	v_cmpx_ne_u32_e32 0, v77
	s_cbranch_execz .LBB2_3716
; %bb.3711:                             ;   in Loop: Header=BB2_3185 Depth=3
	v_bfe_u32 v72, v77, 23, 8
	v_and_b32_e32 v92, 0x7fffff, v77
	v_sub_nc_u32_e32 v94, 0x70, v72
	v_cmp_gt_u32_e32 vcc_lo, 0x71, v72
	v_or_b32_e32 v95, 0x800000, v92
	v_cndmask_b32_e32 v94, 0, v94, vcc_lo
	v_cmp_eq_u32_e32 vcc_lo, 0, v72
	v_add_nc_u32_e32 v72, 0xffffff91, v72
	v_cndmask_b32_e64 v94, v94, 0x6f, vcc_lo
	v_cndmask_b32_e32 v92, v95, v92, vcc_lo
	v_cndmask_b32_e64 v72, v72, 0xffffff92, vcc_lo
	v_lshl_add_u32 v95, 0x200000, v94, -1
	v_lshrrev_b32_e32 v104, v94, v92
	v_lshlrev_b32_e64 v106, v94, 0x100000
	v_add_nc_u32_e32 v94, v94, v72
	v_and_b32_e32 v92, v95, v92
	v_bfe_u32 v105, v104, 21, 1
	v_cmp_eq_u32_e64 s17, v92, v106
	v_add_nc_u32_e32 v95, -1, v105
	v_cndmask_b32_e64 v92, 0, v95, s17
	v_lshrrev_b32_e32 v95, 23, v104
	s_mov_b32 s17, exec_lo
	v_add_nc_u32_e32 v92, v92, v104
	v_xor_b32_e32 v95, 1, v95
	v_and_b32_e32 v72, 0x1fffff, v92
	v_add_nc_u32_e32 v92, v72, v104
                                        ; implicit-def: $vgpr72
	v_cmpx_ne_u32_e64 v94, v95
	s_xor_b32 s17, exec_lo, s17
; %bb.3712:                             ;   in Loop: Header=BB2_3185 Depth=3
	v_cmp_lt_u32_e32 vcc_lo, 0xffffff, v92
	v_sub_nc_u32_e32 v72, v94, v95
	v_cndmask_b32_e64 v94, 0, 1, vcc_lo
	v_add_co_ci_u32_e64 v72, null, 0, v72, vcc_lo
	v_lshrrev_b32_e32 v92, v94, v92
; %bb.3713:                             ;   in Loop: Header=BB2_3185 Depth=3
	s_andn2_saveexec_b32 s17, s17
; %bb.3714:                             ;   in Loop: Header=BB2_3185 Depth=3
	v_bfe_u32 v72, v92, 23, 1
; %bb.3715:                             ;   in Loop: Header=BB2_3185 Depth=3
	s_or_b32 exec_lo, exec_lo, s17
	v_lshrrev_b32_e32 v92, 21, v92
	v_min_i32_e32 v94, 31, v72
	v_cmp_gt_i32_e32 vcc_lo, 32, v72
	v_and_b32_sdwa v77, v77, v98 dst_sel:DWORD dst_unused:UNUSED_PAD src0_sel:BYTE_3 src1_sel:DWORD
	v_lshlrev_b32_e32 v94, 2, v94
	v_cndmask_b32_e32 v92, 3, v92, vcc_lo
	v_and_b32_e32 v94, 0xfc, v94
	v_and_b32_e32 v95, 3, v92
	v_or_b32_e32 v72, v72, v92
	v_or3_b32 v77, v94, v77, v95
	v_cmp_ne_u32_e32 vcc_lo, 0, v72
	v_cndmask_b32_e32 v72, 0, v77, vcc_lo
.LBB2_3716:                             ;   in Loop: Header=BB2_3185 Depth=3
	s_or_b32 exec_lo, exec_lo, s22
.LBB2_3717:                             ;   in Loop: Header=BB2_3185 Depth=3
	s_or_b32 exec_lo, exec_lo, s18
	v_cmp_gt_i16_sdwa s18, v75, v97 src0_sel:BYTE_3 src1_sel:DWORD
	s_mov_b32 s17, 0
	s_and_saveexec_b32 s22, s18
	s_xor_b32 s18, exec_lo, s22
	s_cbranch_execz .LBB2_3832
; %bb.3718:                             ;   in Loop: Header=BB2_3185 Depth=3
	v_cmp_eq_u16_sdwa s23, v75, v98 src0_sel:BYTE_3 src1_sel:DWORD
	s_mov_b32 s17, -1
	s_and_saveexec_b32 s22, s23
; %bb.3719:                             ;   in Loop: Header=BB2_3185 Depth=3
	s_xor_b32 s17, exec_lo, -1
; %bb.3720:                             ;   in Loop: Header=BB2_3185 Depth=3
	s_or_b32 exec_lo, exec_lo, s22
	s_and_b32 s17, s17, exec_lo
	s_or_saveexec_b32 s18, s18
	v_mov_b32_e32 v77, 0x7f800001
	s_xor_b32 exec_lo, exec_lo, s18
	s_cbranch_execnz .LBB2_3833
.LBB2_3721:                             ;   in Loop: Header=BB2_3185 Depth=3
	s_or_b32 exec_lo, exec_lo, s18
	s_and_saveexec_b32 s18, s17
	s_cbranch_execz .LBB2_3723
.LBB2_3722:                             ;   in Loop: Header=BB2_3185 Depth=3
	v_bfe_u32 v77, v75, 24, 2
	v_bfe_u32 v95, v75, 26, 5
	v_ffbh_u32_e32 v92, v77
	v_cmp_eq_u32_e32 vcc_lo, 0, v95
	v_min_u32_e32 v92, 32, v92
	v_subrev_nc_u32_e32 v94, 29, v92
	v_sub_nc_u32_e32 v92, 30, v92
	v_lshlrev_b32_sdwa v94, v94, v75 dst_sel:DWORD dst_unused:UNUSED_PAD src0_sel:DWORD src1_sel:BYTE_3
	v_cndmask_b32_e32 v92, v95, v92, vcc_lo
	v_and_b32_e32 v75, 0x80000000, v75
	v_and_b32_e32 v94, 3, v94
	v_lshl_add_u32 v92, v92, 23, 0x37800000
	v_cndmask_b32_e32 v77, v77, v94, vcc_lo
	v_lshlrev_b32_e32 v77, 21, v77
	v_or3_b32 v77, v75, v92, v77
.LBB2_3723:                             ;   in Loop: Header=BB2_3185 Depth=3
	s_or_b32 exec_lo, exec_lo, s18
	v_cmp_gt_i16_sdwa s18, v11, v97 src0_sel:BYTE_3 src1_sel:DWORD
	s_mov_b32 s17, 0
	s_and_saveexec_b32 s22, s18
	s_xor_b32 s18, exec_lo, s22
	s_cbranch_execz .LBB2_3834
; %bb.3724:                             ;   in Loop: Header=BB2_3185 Depth=3
	v_cmp_eq_u16_sdwa s23, v11, v98 src0_sel:BYTE_3 src1_sel:DWORD
	s_mov_b32 s17, -1
	s_and_saveexec_b32 s22, s23
; %bb.3725:                             ;   in Loop: Header=BB2_3185 Depth=3
	s_xor_b32 s17, exec_lo, -1
; %bb.3726:                             ;   in Loop: Header=BB2_3185 Depth=3
	s_or_b32 exec_lo, exec_lo, s22
	s_and_b32 s17, s17, exec_lo
	s_or_saveexec_b32 s18, s18
	v_mov_b32_e32 v75, 0x7f800001
	s_xor_b32 exec_lo, exec_lo, s18
	s_cbranch_execnz .LBB2_3835
.LBB2_3727:                             ;   in Loop: Header=BB2_3185 Depth=3
	s_or_b32 exec_lo, exec_lo, s18
	s_and_saveexec_b32 s18, s17
	s_cbranch_execz .LBB2_3729
.LBB2_3728:                             ;   in Loop: Header=BB2_3185 Depth=3
	v_and_b32_sdwa v75, v11, v103 dst_sel:DWORD dst_unused:UNUSED_PAD src0_sel:BYTE_3 src1_sel:DWORD
	v_bfe_u32 v95, v11, 26, 5
	v_ffbh_u32_e32 v92, v75
	v_cmp_eq_u32_e32 vcc_lo, 0, v95
	v_min_u32_e32 v92, 32, v92
	v_subrev_nc_u32_e32 v94, 29, v92
	v_sub_nc_u32_e32 v92, 30, v92
	v_lshlrev_b32_sdwa v94, v94, v11 dst_sel:DWORD dst_unused:UNUSED_PAD src0_sel:DWORD src1_sel:BYTE_3
	v_cndmask_b32_e32 v92, v95, v92, vcc_lo
	v_and_b32_e32 v11, 0x80000000, v11
	v_and_b32_e32 v94, 3, v94
	v_lshl_add_u32 v92, v92, 23, 0x37800000
	v_cndmask_b32_e32 v75, v75, v94, vcc_lo
	v_lshlrev_b32_e32 v75, 21, v75
	v_or3_b32 v75, v11, v92, v75
.LBB2_3729:                             ;   in Loop: Header=BB2_3185 Depth=3
	s_or_b32 exec_lo, exec_lo, s18
	v_add_f32_e32 v11, v77, v75
	v_and_b32_e32 v75, 0x7f800000, v11
	v_cmp_ne_u32_e32 vcc_lo, 0x7f800000, v75
	v_mov_b32_e32 v75, 0x8000
	s_and_saveexec_b32 s18, vcc_lo
	s_cbranch_execz .LBB2_3737
; %bb.3730:                             ;   in Loop: Header=BB2_3185 Depth=3
	v_mov_b32_e32 v75, 0
	s_mov_b32 s22, exec_lo
	v_cmpx_ne_u32_e32 0, v11
	s_cbranch_execz .LBB2_3736
; %bb.3731:                             ;   in Loop: Header=BB2_3185 Depth=3
	v_bfe_u32 v75, v11, 23, 8
	v_and_b32_e32 v77, 0x7fffff, v11
	v_sub_nc_u32_e32 v92, 0x70, v75
	v_cmp_gt_u32_e32 vcc_lo, 0x71, v75
	v_or_b32_e32 v94, 0x800000, v77
	v_cndmask_b32_e32 v92, 0, v92, vcc_lo
	v_cmp_eq_u32_e32 vcc_lo, 0, v75
	v_add_nc_u32_e32 v75, 0xffffff91, v75
	v_cndmask_b32_e64 v92, v92, 0x6f, vcc_lo
	v_cndmask_b32_e32 v77, v94, v77, vcc_lo
	v_cndmask_b32_e64 v75, v75, 0xffffff92, vcc_lo
	v_lshl_add_u32 v94, 0x200000, v92, -1
	v_lshrrev_b32_e32 v95, v92, v77
	v_lshlrev_b32_e64 v105, v92, 0x100000
	v_add_nc_u32_e32 v92, v92, v75
	v_and_b32_e32 v77, v94, v77
	v_bfe_u32 v104, v95, 21, 1
	v_cmp_eq_u32_e64 s17, v77, v105
	v_add_nc_u32_e32 v94, -1, v104
	v_cndmask_b32_e64 v77, 0, v94, s17
	v_lshrrev_b32_e32 v94, 23, v95
	s_mov_b32 s17, exec_lo
	v_add_nc_u32_e32 v77, v77, v95
	v_xor_b32_e32 v94, 1, v94
	v_and_b32_e32 v75, 0x1fffff, v77
	v_add_nc_u32_e32 v77, v75, v95
                                        ; implicit-def: $vgpr75
	v_cmpx_ne_u32_e64 v92, v94
	s_xor_b32 s17, exec_lo, s17
; %bb.3732:                             ;   in Loop: Header=BB2_3185 Depth=3
	v_cmp_lt_u32_e32 vcc_lo, 0xffffff, v77
	v_sub_nc_u32_e32 v75, v92, v94
	v_cndmask_b32_e64 v92, 0, 1, vcc_lo
	v_add_co_ci_u32_e64 v75, null, 0, v75, vcc_lo
	v_lshrrev_b32_e32 v77, v92, v77
; %bb.3733:                             ;   in Loop: Header=BB2_3185 Depth=3
	s_andn2_saveexec_b32 s17, s17
; %bb.3734:                             ;   in Loop: Header=BB2_3185 Depth=3
	v_bfe_u32 v75, v77, 23, 1
; %bb.3735:                             ;   in Loop: Header=BB2_3185 Depth=3
	s_or_b32 exec_lo, exec_lo, s17
	v_lshrrev_b32_e32 v77, 21, v77
	v_min_i32_e32 v92, 31, v75
	v_cmp_gt_i32_e32 vcc_lo, 32, v75
	v_and_b32_sdwa v11, v11, v98 dst_sel:DWORD dst_unused:UNUSED_PAD src0_sel:BYTE_3 src1_sel:DWORD
	v_lshlrev_b32_e32 v92, 2, v92
	v_cndmask_b32_e32 v77, 3, v77, vcc_lo
	v_and_b32_e32 v92, 0xfc, v92
	v_and_b32_e32 v94, 3, v77
	v_or_b32_e32 v75, v75, v77
	v_or3_b32 v11, v11, v92, v94
	v_cmp_ne_u32_e32 vcc_lo, 0, v75
	v_lshlrev_b32_e32 v11, 8, v11
	v_cndmask_b32_e32 v75, 0, v11, vcc_lo
.LBB2_3736:                             ;   in Loop: Header=BB2_3185 Depth=3
	s_or_b32 exec_lo, exec_lo, s22
.LBB2_3737:                             ;   in Loop: Header=BB2_3185 Depth=3
	s_or_b32 exec_lo, exec_lo, s18
	v_or_b32_sdwa v9, v9, v89 dst_sel:WORD_1 dst_unused:UNUSED_PAD src0_sel:DWORD src1_sel:DWORD
	v_or_b32_sdwa v8, v8, v79 dst_sel:WORD_1 dst_unused:UNUSED_PAD src0_sel:DWORD src1_sel:DWORD
	;; [unrolled: 1-line block ×4, first 2 shown]
	s_mov_b64 s[22:23], 0
	v_or3_b32 v9, v93, v91, v9
	v_or3_b32 v8, v74, v63, v8
	v_or3_b32 v10, v90, v78, v10
	v_or3_b32 v11, v88, v73, v11
	s_mov_b32 s75, -1
	.p2align	6
.LBB2_3738:                             ;   Parent Loop BB2_47 Depth=1
                                        ;     Parent Loop BB2_3107 Depth=2
                                        ;       Parent Loop BB2_3185 Depth=3
                                        ; =>      This Inner Loop Header: Depth=4
	s_cmp_eq_u32 s22, 1
	s_cselect_b32 vcc_lo, -1, 0
	s_cmp_eq_u32 s22, 0
	v_cndmask_b32_e32 v72, v59, v61, vcc_lo
	v_cndmask_b32_e32 v73, v60, v62, vcc_lo
	s_mov_b64 s[22:23], 1
	v_add_co_u32 v63, s17, 0x200, v72
	v_add_co_ci_u32_e64 v74, null, 0, v73, s17
	s_cselect_b32 s17, -1, 0
	v_cndmask_b32_e32 v61, v61, v63, vcc_lo
	v_cndmask_b32_e64 v59, v59, v63, s17
	v_cndmask_b32_e32 v62, v62, v74, vcc_lo
	v_cndmask_b32_e64 v60, v60, v74, s17
	s_and_b32 s18, exec_lo, s75
	s_mov_b32 s75, 0
	s_mov_b32 vcc_lo, s18
	global_store_dwordx4 v[72:73], v[8:11], off glc slc
	s_cbranch_vccnz .LBB2_3738
; %bb.3739:                             ;   in Loop: Header=BB2_3185 Depth=3
	v_add_co_u32 v66, vcc_lo, v66, v42
	v_sub_nc_u32_e32 v56, v56, v114
	v_add_co_ci_u32_e64 v67, null, v67, v43, vcc_lo
	v_add_co_u32 v68, vcc_lo, v68, v42
	v_add_co_ci_u32_e64 v69, null, v69, v43, vcc_lo
	v_add_co_u32 v59, vcc_lo, v59, v117
	v_add_co_ci_u32_e64 v60, null, v60, v119, vcc_lo
	v_cmp_gt_i32_e32 vcc_lo, 16, v56
	v_add_co_u32 v61, s17, v61, v117
	v_add_co_ci_u32_e64 v62, null, v62, v119, s17
	v_sub_nc_u32_e32 v58, v58, v83
	s_or_b32 s72, vcc_lo, s72
	s_andn2_b32 exec_lo, exec_lo, s72
	s_cbranch_execnz .LBB2_3185
	s_branch .LBB2_3836
.LBB2_3740:                             ;   in Loop: Header=BB2_3185 Depth=3
	s_or_saveexec_b32 s22, s22
	v_mov_b32_e32 v63, 0x7f800001
	s_xor_b32 exec_lo, exec_lo, s22
	s_cbranch_execz .LBB2_3197
.LBB2_3741:                             ;   in Loop: Header=BB2_3185 Depth=3
	v_cmp_ne_u16_sdwa s23, v8, v2 src0_sel:BYTE_0 src1_sel:DWORD
	v_mov_b32_e32 v63, 0
	s_andn2_b32 s17, s17, exec_lo
	s_and_b32 s23, s23, exec_lo
	s_or_b32 s17, s17, s23
	s_or_b32 exec_lo, exec_lo, s22
	s_and_saveexec_b32 s22, s17
	s_cbranch_execnz .LBB2_3198
	s_branch .LBB2_3199
.LBB2_3742:                             ;   in Loop: Header=BB2_3185 Depth=3
	s_or_saveexec_b32 s22, s22
	v_mov_b32_e32 v72, 0x7f800001
	s_xor_b32 exec_lo, exec_lo, s22
	s_cbranch_execz .LBB2_3211
.LBB2_3743:                             ;   in Loop: Header=BB2_3185 Depth=3
	v_cmp_ne_u16_sdwa s23, v8, v2 src0_sel:BYTE_1 src1_sel:DWORD
	v_mov_b32_e32 v72, 0
	s_andn2_b32 s17, s17, exec_lo
	s_and_b32 s23, s23, exec_lo
	s_or_b32 s17, s17, s23
	s_or_b32 exec_lo, exec_lo, s22
	s_and_saveexec_b32 s22, s17
	s_cbranch_execnz .LBB2_3212
	s_branch .LBB2_3213
.LBB2_3744:                             ;   in Loop: Header=BB2_3185 Depth=3
	s_or_saveexec_b32 s22, s22
	v_mov_b32_e32 v72, 0x7f800001
	s_xor_b32 exec_lo, exec_lo, s22
	s_cbranch_execz .LBB2_3225
.LBB2_3745:                             ;   in Loop: Header=BB2_3185 Depth=3
	v_cmp_ne_u16_e32 vcc_lo, 0, v73
	v_mov_b32_e32 v72, 0
	s_andn2_b32 s17, s17, exec_lo
	s_and_b32 s23, vcc_lo, exec_lo
	s_or_b32 s17, s17, s23
	s_or_b32 exec_lo, exec_lo, s22
	s_and_saveexec_b32 s22, s17
	s_cbranch_execnz .LBB2_3226
	s_branch .LBB2_3227
.LBB2_3746:                             ;   in Loop: Header=BB2_3185 Depth=3
	s_or_saveexec_b32 s22, s22
	v_mov_b32_e32 v72, 0x7f800001
	s_xor_b32 exec_lo, exec_lo, s22
	s_cbranch_execz .LBB2_3239
.LBB2_3747:                             ;   in Loop: Header=BB2_3185 Depth=3
	v_cmp_ne_u16_sdwa s23, v8, v2 src0_sel:BYTE_3 src1_sel:DWORD
	v_mov_b32_e32 v72, 0
	s_andn2_b32 s17, s17, exec_lo
	s_and_b32 s23, s23, exec_lo
	s_or_b32 s17, s17, s23
	s_or_b32 exec_lo, exec_lo, s22
	s_and_saveexec_b32 s22, s17
	s_cbranch_execnz .LBB2_3240
	s_branch .LBB2_3241
.LBB2_3748:                             ;   in Loop: Header=BB2_3185 Depth=3
	s_or_saveexec_b32 s22, s22
	v_mov_b32_e32 v8, 0x7f800001
	s_xor_b32 exec_lo, exec_lo, s22
	s_cbranch_execz .LBB2_3253
.LBB2_3749:                             ;   in Loop: Header=BB2_3185 Depth=3
	v_cmp_ne_u16_sdwa s23, v9, v2 src0_sel:BYTE_0 src1_sel:DWORD
	v_mov_b32_e32 v8, 0
	s_andn2_b32 s17, s17, exec_lo
	s_and_b32 s23, s23, exec_lo
	s_or_b32 s17, s17, s23
	s_or_b32 exec_lo, exec_lo, s22
	s_and_saveexec_b32 s22, s17
	s_cbranch_execnz .LBB2_3254
	s_branch .LBB2_3255
.LBB2_3750:                             ;   in Loop: Header=BB2_3185 Depth=3
	s_or_saveexec_b32 s22, s22
	v_mov_b32_e32 v8, 0x7f800001
	s_xor_b32 exec_lo, exec_lo, s22
	s_cbranch_execz .LBB2_3267
.LBB2_3751:                             ;   in Loop: Header=BB2_3185 Depth=3
	v_cmp_ne_u16_sdwa s23, v9, v2 src0_sel:BYTE_1 src1_sel:DWORD
	v_mov_b32_e32 v8, 0
	s_andn2_b32 s17, s17, exec_lo
	s_and_b32 s23, s23, exec_lo
	s_or_b32 s17, s17, s23
	s_or_b32 exec_lo, exec_lo, s22
	s_and_saveexec_b32 s22, s17
	s_cbranch_execnz .LBB2_3268
	s_branch .LBB2_3269
.LBB2_3752:                             ;   in Loop: Header=BB2_3185 Depth=3
	s_or_saveexec_b32 s22, s22
	v_mov_b32_e32 v8, 0x7f800001
	s_xor_b32 exec_lo, exec_lo, s22
	s_cbranch_execz .LBB2_3281
.LBB2_3753:                             ;   in Loop: Header=BB2_3185 Depth=3
	v_cmp_ne_u16_e32 vcc_lo, 0, v72
	v_mov_b32_e32 v8, 0
	s_andn2_b32 s17, s17, exec_lo
	s_and_b32 s23, vcc_lo, exec_lo
	s_or_b32 s17, s17, s23
	s_or_b32 exec_lo, exec_lo, s22
	s_and_saveexec_b32 s22, s17
	s_cbranch_execnz .LBB2_3282
	s_branch .LBB2_3283
.LBB2_3754:                             ;   in Loop: Header=BB2_3185 Depth=3
	s_or_saveexec_b32 s22, s22
	v_mov_b32_e32 v8, 0x7f800001
	s_xor_b32 exec_lo, exec_lo, s22
	s_cbranch_execz .LBB2_3295
.LBB2_3755:                             ;   in Loop: Header=BB2_3185 Depth=3
	v_cmp_ne_u16_sdwa s23, v9, v2 src0_sel:BYTE_3 src1_sel:DWORD
	v_mov_b32_e32 v8, 0
	s_andn2_b32 s17, s17, exec_lo
	s_and_b32 s23, s23, exec_lo
	s_or_b32 s17, s17, s23
	s_or_b32 exec_lo, exec_lo, s22
	s_and_saveexec_b32 s22, s17
	s_cbranch_execnz .LBB2_3296
	s_branch .LBB2_3297
.LBB2_3756:                             ;   in Loop: Header=BB2_3185 Depth=3
	s_or_saveexec_b32 s22, s22
	v_mov_b32_e32 v8, 0x7f800001
	s_xor_b32 exec_lo, exec_lo, s22
	s_cbranch_execz .LBB2_3309
.LBB2_3757:                             ;   in Loop: Header=BB2_3185 Depth=3
	v_cmp_ne_u16_sdwa s23, v10, v2 src0_sel:BYTE_0 src1_sel:DWORD
	v_mov_b32_e32 v8, 0
	s_andn2_b32 s17, s17, exec_lo
	s_and_b32 s23, s23, exec_lo
	s_or_b32 s17, s17, s23
	s_or_b32 exec_lo, exec_lo, s22
	s_and_saveexec_b32 s22, s17
	s_cbranch_execnz .LBB2_3310
	s_branch .LBB2_3311
.LBB2_3758:                             ;   in Loop: Header=BB2_3185 Depth=3
	s_or_saveexec_b32 s22, s22
	v_mov_b32_e32 v8, 0x7f800001
	s_xor_b32 exec_lo, exec_lo, s22
	s_cbranch_execz .LBB2_3323
.LBB2_3759:                             ;   in Loop: Header=BB2_3185 Depth=3
	v_cmp_ne_u16_sdwa s23, v10, v2 src0_sel:BYTE_1 src1_sel:DWORD
	v_mov_b32_e32 v8, 0
	s_andn2_b32 s17, s17, exec_lo
	s_and_b32 s23, s23, exec_lo
	s_or_b32 s17, s17, s23
	s_or_b32 exec_lo, exec_lo, s22
	s_and_saveexec_b32 s22, s17
	s_cbranch_execnz .LBB2_3324
	s_branch .LBB2_3325
.LBB2_3760:                             ;   in Loop: Header=BB2_3185 Depth=3
	s_or_saveexec_b32 s22, s22
	v_mov_b32_e32 v8, 0x7f800001
	s_xor_b32 exec_lo, exec_lo, s22
	s_cbranch_execz .LBB2_3337
.LBB2_3761:                             ;   in Loop: Header=BB2_3185 Depth=3
	v_cmp_ne_u16_e32 vcc_lo, 0, v9
	v_mov_b32_e32 v8, 0
	s_andn2_b32 s17, s17, exec_lo
	s_and_b32 s23, vcc_lo, exec_lo
	s_or_b32 s17, s17, s23
	s_or_b32 exec_lo, exec_lo, s22
	s_and_saveexec_b32 s22, s17
	s_cbranch_execnz .LBB2_3338
	s_branch .LBB2_3339
.LBB2_3762:                             ;   in Loop: Header=BB2_3185 Depth=3
	s_or_saveexec_b32 s22, s22
	v_mov_b32_e32 v8, 0x7f800001
	s_xor_b32 exec_lo, exec_lo, s22
	s_cbranch_execz .LBB2_3351
.LBB2_3763:                             ;   in Loop: Header=BB2_3185 Depth=3
	v_cmp_ne_u16_sdwa s23, v10, v2 src0_sel:BYTE_3 src1_sel:DWORD
	v_mov_b32_e32 v8, 0
	s_andn2_b32 s17, s17, exec_lo
	s_and_b32 s23, s23, exec_lo
	s_or_b32 s17, s17, s23
	s_or_b32 exec_lo, exec_lo, s22
	s_and_saveexec_b32 s22, s17
	s_cbranch_execnz .LBB2_3352
	s_branch .LBB2_3353
.LBB2_3764:                             ;   in Loop: Header=BB2_3185 Depth=3
	s_or_saveexec_b32 s22, s22
	v_mov_b32_e32 v8, 0x7f800001
	s_xor_b32 exec_lo, exec_lo, s22
	s_cbranch_execz .LBB2_3365
.LBB2_3765:                             ;   in Loop: Header=BB2_3185 Depth=3
	v_cmp_ne_u16_sdwa s23, v11, v2 src0_sel:BYTE_0 src1_sel:DWORD
	v_mov_b32_e32 v8, 0
	s_andn2_b32 s17, s17, exec_lo
	s_and_b32 s23, s23, exec_lo
	s_or_b32 s17, s17, s23
	s_or_b32 exec_lo, exec_lo, s22
	s_and_saveexec_b32 s22, s17
	s_cbranch_execnz .LBB2_3366
	s_branch .LBB2_3367
.LBB2_3766:                             ;   in Loop: Header=BB2_3185 Depth=3
	s_or_saveexec_b32 s22, s22
	v_mov_b32_e32 v8, 0x7f800001
	s_xor_b32 exec_lo, exec_lo, s22
	s_cbranch_execz .LBB2_3379
.LBB2_3767:                             ;   in Loop: Header=BB2_3185 Depth=3
	v_cmp_ne_u16_sdwa s23, v11, v2 src0_sel:BYTE_1 src1_sel:DWORD
	v_mov_b32_e32 v8, 0
	s_andn2_b32 s17, s17, exec_lo
	s_and_b32 s23, s23, exec_lo
	s_or_b32 s17, s17, s23
	s_or_b32 exec_lo, exec_lo, s22
	s_and_saveexec_b32 s22, s17
	s_cbranch_execnz .LBB2_3380
	s_branch .LBB2_3381
.LBB2_3768:                             ;   in Loop: Header=BB2_3185 Depth=3
	s_or_saveexec_b32 s22, s22
	v_mov_b32_e32 v8, 0x7f800001
	s_xor_b32 exec_lo, exec_lo, s22
	s_cbranch_execz .LBB2_3393
.LBB2_3769:                             ;   in Loop: Header=BB2_3185 Depth=3
	v_cmp_ne_u16_e32 vcc_lo, 0, v9
	v_mov_b32_e32 v8, 0
	s_andn2_b32 s17, s17, exec_lo
	s_and_b32 s23, vcc_lo, exec_lo
	s_or_b32 s17, s17, s23
	s_or_b32 exec_lo, exec_lo, s22
	s_and_saveexec_b32 s22, s17
	s_cbranch_execnz .LBB2_3394
	s_branch .LBB2_3395
.LBB2_3770:                             ;   in Loop: Header=BB2_3185 Depth=3
	s_or_saveexec_b32 s22, s22
	v_mov_b32_e32 v8, 0x7f800001
	s_xor_b32 exec_lo, exec_lo, s22
	s_cbranch_execz .LBB2_3407
.LBB2_3771:                             ;   in Loop: Header=BB2_3185 Depth=3
	v_cmp_ne_u16_sdwa s23, v11, v2 src0_sel:BYTE_3 src1_sel:DWORD
	v_mov_b32_e32 v8, 0
	s_andn2_b32 s17, s17, exec_lo
	s_and_b32 s23, s23, exec_lo
	s_or_b32 s17, s17, s23
	s_or_b32 exec_lo, exec_lo, s22
	s_and_saveexec_b32 s22, s17
	s_cbranch_execnz .LBB2_3408
	s_branch .LBB2_3409
.LBB2_3772:                             ;   in Loop: Header=BB2_3185 Depth=3
	s_or_saveexec_b32 s18, s18
	v_mov_b32_e32 v63, 0x7f800001
	s_xor_b32 exec_lo, exec_lo, s18
	s_cbranch_execz .LBB2_3421
.LBB2_3773:                             ;   in Loop: Header=BB2_3185 Depth=3
	v_cmp_ne_u16_sdwa s22, v95, v2 src0_sel:BYTE_0 src1_sel:DWORD
	v_mov_b32_e32 v63, 0
	s_andn2_b32 s17, s17, exec_lo
	s_and_b32 s22, s22, exec_lo
	s_or_b32 s17, s17, s22
	s_or_b32 exec_lo, exec_lo, s18
	s_and_saveexec_b32 s18, s17
	s_cbranch_execnz .LBB2_3422
	s_branch .LBB2_3423
.LBB2_3774:                             ;   in Loop: Header=BB2_3185 Depth=3
	s_or_saveexec_b32 s18, s18
	v_mov_b32_e32 v74, 0x7f800001
	s_xor_b32 exec_lo, exec_lo, s18
	s_cbranch_execz .LBB2_3427
.LBB2_3775:                             ;   in Loop: Header=BB2_3185 Depth=3
	v_cmp_ne_u16_sdwa s22, v8, v2 src0_sel:BYTE_0 src1_sel:DWORD
	v_mov_b32_e32 v74, 0
	s_andn2_b32 s17, s17, exec_lo
	s_and_b32 s22, s22, exec_lo
	s_or_b32 s17, s17, s22
	s_or_b32 exec_lo, exec_lo, s18
	s_and_saveexec_b32 s18, s17
	s_cbranch_execnz .LBB2_3428
	s_branch .LBB2_3429
.LBB2_3776:                             ;   in Loop: Header=BB2_3185 Depth=3
	s_or_saveexec_b32 s18, s18
	v_mov_b32_e32 v74, 0x7f800001
	s_xor_b32 exec_lo, exec_lo, s18
	s_cbranch_execz .LBB2_3441
.LBB2_3777:                             ;   in Loop: Header=BB2_3185 Depth=3
	v_cmp_ne_u16_sdwa s22, v95, v2 src0_sel:BYTE_1 src1_sel:DWORD
	v_mov_b32_e32 v74, 0
	s_andn2_b32 s17, s17, exec_lo
	s_and_b32 s22, s22, exec_lo
	s_or_b32 s17, s17, s22
	s_or_b32 exec_lo, exec_lo, s18
	s_and_saveexec_b32 s18, s17
	s_cbranch_execnz .LBB2_3442
	s_branch .LBB2_3443
.LBB2_3778:                             ;   in Loop: Header=BB2_3185 Depth=3
	s_or_saveexec_b32 s18, s18
	v_mov_b32_e32 v104, 0x7f800001
	s_xor_b32 exec_lo, exec_lo, s18
	s_cbranch_execz .LBB2_3447
.LBB2_3779:                             ;   in Loop: Header=BB2_3185 Depth=3
	v_cmp_ne_u16_sdwa s22, v8, v2 src0_sel:BYTE_1 src1_sel:DWORD
	v_mov_b32_e32 v104, 0
	s_andn2_b32 s17, s17, exec_lo
	s_and_b32 s22, s22, exec_lo
	s_or_b32 s17, s17, s22
	s_or_b32 exec_lo, exec_lo, s18
	s_and_saveexec_b32 s18, s17
	s_cbranch_execnz .LBB2_3448
	s_branch .LBB2_3449
.LBB2_3780:                             ;   in Loop: Header=BB2_3185 Depth=3
	s_or_saveexec_b32 s18, s18
	v_mov_b32_e32 v79, 0x7f800001
	s_xor_b32 exec_lo, exec_lo, s18
	s_cbranch_execz .LBB2_3461
.LBB2_3781:                             ;   in Loop: Header=BB2_3185 Depth=3
	v_cmp_ne_u16_sdwa s22, v94, v2 src0_sel:BYTE_0 src1_sel:DWORD
	v_mov_b32_e32 v79, 0
	s_andn2_b32 s17, s17, exec_lo
	s_and_b32 s22, s22, exec_lo
	s_or_b32 s17, s17, s22
	s_or_b32 exec_lo, exec_lo, s18
	v_lshl_or_b32 v94, v94, 16, v95
	s_and_saveexec_b32 s18, s17
	s_cbranch_execnz .LBB2_3462
	s_branch .LBB2_3463
.LBB2_3782:                             ;   in Loop: Header=BB2_3185 Depth=3
	s_or_saveexec_b32 s18, s18
	v_mov_b32_e32 v95, 0x7f800001
	s_xor_b32 exec_lo, exec_lo, s18
	s_cbranch_execz .LBB2_3467
.LBB2_3783:                             ;   in Loop: Header=BB2_3185 Depth=3
	v_cmp_ne_u16_e32 vcc_lo, 0, v104
	v_mov_b32_e32 v95, 0
	s_andn2_b32 s17, s17, exec_lo
	s_and_b32 s22, vcc_lo, exec_lo
	s_or_b32 s17, s17, s22
	s_or_b32 exec_lo, exec_lo, s18
	s_and_saveexec_b32 s18, s17
	s_cbranch_execnz .LBB2_3468
	s_branch .LBB2_3469
.LBB2_3784:                             ;   in Loop: Header=BB2_3185 Depth=3
	s_or_saveexec_b32 s18, s18
	v_mov_b32_e32 v95, 0x7f800001
	s_xor_b32 exec_lo, exec_lo, s18
	s_cbranch_execz .LBB2_3481
.LBB2_3785:                             ;   in Loop: Header=BB2_3185 Depth=3
	v_cmp_ne_u16_sdwa s22, v94, v2 src0_sel:BYTE_3 src1_sel:DWORD
	v_mov_b32_e32 v95, 0
	s_andn2_b32 s17, s17, exec_lo
	s_and_b32 s22, s22, exec_lo
	s_or_b32 s17, s17, s22
	s_or_b32 exec_lo, exec_lo, s18
	s_and_saveexec_b32 s18, s17
	s_cbranch_execnz .LBB2_3482
	s_branch .LBB2_3483
.LBB2_3786:                             ;   in Loop: Header=BB2_3185 Depth=3
	s_or_saveexec_b32 s18, s18
	v_mov_b32_e32 v94, 0x7f800001
	s_xor_b32 exec_lo, exec_lo, s18
	s_cbranch_execz .LBB2_3487
.LBB2_3787:                             ;   in Loop: Header=BB2_3185 Depth=3
	v_cmp_ne_u16_sdwa s22, v8, v2 src0_sel:BYTE_3 src1_sel:DWORD
	v_mov_b32_e32 v94, 0
	s_andn2_b32 s17, s17, exec_lo
	s_and_b32 s22, s22, exec_lo
	s_or_b32 s17, s17, s22
	s_or_b32 exec_lo, exec_lo, s18
	s_and_saveexec_b32 s18, s17
	s_cbranch_execnz .LBB2_3488
	s_branch .LBB2_3489
.LBB2_3788:                             ;   in Loop: Header=BB2_3185 Depth=3
	s_or_saveexec_b32 s18, s18
	v_mov_b32_e32 v91, 0x7f800001
	s_xor_b32 exec_lo, exec_lo, s18
	s_cbranch_execz .LBB2_3501
.LBB2_3789:                             ;   in Loop: Header=BB2_3185 Depth=3
	v_cmp_ne_u16_sdwa s22, v94, v2 src0_sel:BYTE_0 src1_sel:DWORD
	v_mov_b32_e32 v91, 0
	s_andn2_b32 s17, s17, exec_lo
	s_and_b32 s22, s22, exec_lo
	s_or_b32 s17, s17, s22
	s_or_b32 exec_lo, exec_lo, s18
	s_and_saveexec_b32 s18, s17
	s_cbranch_execnz .LBB2_3502
	s_branch .LBB2_3503
.LBB2_3790:                             ;   in Loop: Header=BB2_3185 Depth=3
	s_or_saveexec_b32 s18, s18
	v_mov_b32_e32 v93, 0x7f800001
	s_xor_b32 exec_lo, exec_lo, s18
	s_cbranch_execz .LBB2_3507
.LBB2_3791:                             ;   in Loop: Header=BB2_3185 Depth=3
	v_cmp_ne_u16_sdwa s22, v9, v2 src0_sel:BYTE_0 src1_sel:DWORD
	v_mov_b32_e32 v93, 0
	s_andn2_b32 s17, s17, exec_lo
	s_and_b32 s22, s22, exec_lo
	s_or_b32 s17, s17, s22
	s_or_b32 exec_lo, exec_lo, s18
	s_and_saveexec_b32 s18, s17
	s_cbranch_execnz .LBB2_3508
	s_branch .LBB2_3509
.LBB2_3792:                             ;   in Loop: Header=BB2_3185 Depth=3
	s_or_saveexec_b32 s18, s18
	v_mov_b32_e32 v93, 0x7f800001
	s_xor_b32 exec_lo, exec_lo, s18
	s_cbranch_execz .LBB2_3521
.LBB2_3793:                             ;   in Loop: Header=BB2_3185 Depth=3
	v_cmp_ne_u16_sdwa s22, v94, v2 src0_sel:BYTE_1 src1_sel:DWORD
	v_mov_b32_e32 v93, 0
	s_andn2_b32 s17, s17, exec_lo
	s_and_b32 s22, s22, exec_lo
	s_or_b32 s17, s17, s22
	s_or_b32 exec_lo, exec_lo, s18
	s_and_saveexec_b32 s18, s17
	s_cbranch_execnz .LBB2_3522
	s_branch .LBB2_3523
.LBB2_3794:                             ;   in Loop: Header=BB2_3185 Depth=3
	s_or_saveexec_b32 s18, s18
	v_mov_b32_e32 v95, 0x7f800001
	s_xor_b32 exec_lo, exec_lo, s18
	s_cbranch_execz .LBB2_3527
.LBB2_3795:                             ;   in Loop: Header=BB2_3185 Depth=3
	v_cmp_ne_u16_sdwa s22, v9, v2 src0_sel:BYTE_1 src1_sel:DWORD
	v_mov_b32_e32 v95, 0
	s_andn2_b32 s17, s17, exec_lo
	s_and_b32 s22, s22, exec_lo
	s_or_b32 s17, s17, s22
	s_or_b32 exec_lo, exec_lo, s18
	s_and_saveexec_b32 s18, s17
	s_cbranch_execnz .LBB2_3528
	s_branch .LBB2_3529
.LBB2_3796:                             ;   in Loop: Header=BB2_3185 Depth=3
	s_or_saveexec_b32 s18, s18
	v_mov_b32_e32 v89, 0x7f800001
	s_xor_b32 exec_lo, exec_lo, s18
	s_cbranch_execz .LBB2_3541
.LBB2_3797:                             ;   in Loop: Header=BB2_3185 Depth=3
	v_cmp_ne_u16_sdwa s22, v92, v2 src0_sel:BYTE_0 src1_sel:DWORD
	v_mov_b32_e32 v89, 0
	s_andn2_b32 s17, s17, exec_lo
	s_and_b32 s22, s22, exec_lo
	s_or_b32 s17, s17, s22
	s_or_b32 exec_lo, exec_lo, s18
	v_lshl_or_b32 v92, v92, 16, v94
	s_and_saveexec_b32 s18, s17
	s_cbranch_execnz .LBB2_3542
	s_branch .LBB2_3543
.LBB2_3798:                             ;   in Loop: Header=BB2_3185 Depth=3
	s_or_saveexec_b32 s18, s18
	v_mov_b32_e32 v94, 0x7f800001
	s_xor_b32 exec_lo, exec_lo, s18
	s_cbranch_execz .LBB2_3547
.LBB2_3799:                             ;   in Loop: Header=BB2_3185 Depth=3
	v_cmp_ne_u16_e32 vcc_lo, 0, v95
	v_mov_b32_e32 v94, 0
	s_andn2_b32 s17, s17, exec_lo
	s_and_b32 s22, vcc_lo, exec_lo
	s_or_b32 s17, s17, s22
	s_or_b32 exec_lo, exec_lo, s18
	s_and_saveexec_b32 s18, s17
	s_cbranch_execnz .LBB2_3548
	s_branch .LBB2_3549
.LBB2_3800:                             ;   in Loop: Header=BB2_3185 Depth=3
	s_or_saveexec_b32 s18, s18
	v_mov_b32_e32 v94, 0x7f800001
	s_xor_b32 exec_lo, exec_lo, s18
	s_cbranch_execz .LBB2_3561
.LBB2_3801:                             ;   in Loop: Header=BB2_3185 Depth=3
	v_cmp_ne_u16_sdwa s22, v92, v2 src0_sel:BYTE_3 src1_sel:DWORD
	v_mov_b32_e32 v94, 0
	s_andn2_b32 s17, s17, exec_lo
	s_and_b32 s22, s22, exec_lo
	s_or_b32 s17, s17, s22
	s_or_b32 exec_lo, exec_lo, s18
	s_and_saveexec_b32 s18, s17
	s_cbranch_execnz .LBB2_3562
	s_branch .LBB2_3563
.LBB2_3802:                             ;   in Loop: Header=BB2_3185 Depth=3
	s_or_saveexec_b32 s18, s18
	v_mov_b32_e32 v92, 0x7f800001
	s_xor_b32 exec_lo, exec_lo, s18
	s_cbranch_execz .LBB2_3567
.LBB2_3803:                             ;   in Loop: Header=BB2_3185 Depth=3
	v_cmp_ne_u16_sdwa s22, v9, v2 src0_sel:BYTE_3 src1_sel:DWORD
	v_mov_b32_e32 v92, 0
	s_andn2_b32 s17, s17, exec_lo
	s_and_b32 s22, s22, exec_lo
	s_or_b32 s17, s17, s22
	s_or_b32 exec_lo, exec_lo, s18
	s_and_saveexec_b32 s18, s17
	s_cbranch_execnz .LBB2_3568
	s_branch .LBB2_3569
.LBB2_3804:                             ;   in Loop: Header=BB2_3185 Depth=3
	s_or_saveexec_b32 s18, s18
	v_mov_b32_e32 v78, 0x7f800001
	s_xor_b32 exec_lo, exec_lo, s18
	s_cbranch_execz .LBB2_3581
.LBB2_3805:                             ;   in Loop: Header=BB2_3185 Depth=3
	v_cmp_ne_u16_sdwa s22, v92, v2 src0_sel:BYTE_0 src1_sel:DWORD
	v_mov_b32_e32 v78, 0
	s_andn2_b32 s17, s17, exec_lo
	s_and_b32 s22, s22, exec_lo
	s_or_b32 s17, s17, s22
	s_or_b32 exec_lo, exec_lo, s18
	s_and_saveexec_b32 s18, s17
	s_cbranch_execnz .LBB2_3582
	s_branch .LBB2_3583
.LBB2_3806:                             ;   in Loop: Header=BB2_3185 Depth=3
	s_or_saveexec_b32 s18, s18
	v_mov_b32_e32 v90, 0x7f800001
	s_xor_b32 exec_lo, exec_lo, s18
	s_cbranch_execz .LBB2_3587
.LBB2_3807:                             ;   in Loop: Header=BB2_3185 Depth=3
	v_cmp_ne_u16_sdwa s22, v10, v2 src0_sel:BYTE_0 src1_sel:DWORD
	v_mov_b32_e32 v90, 0
	s_andn2_b32 s17, s17, exec_lo
	s_and_b32 s22, s22, exec_lo
	s_or_b32 s17, s17, s22
	s_or_b32 exec_lo, exec_lo, s18
	s_and_saveexec_b32 s18, s17
	s_cbranch_execnz .LBB2_3588
	s_branch .LBB2_3589
.LBB2_3808:                             ;   in Loop: Header=BB2_3185 Depth=3
	s_or_saveexec_b32 s18, s18
	v_mov_b32_e32 v90, 0x7f800001
	s_xor_b32 exec_lo, exec_lo, s18
	s_cbranch_execz .LBB2_3601
.LBB2_3809:                             ;   in Loop: Header=BB2_3185 Depth=3
	v_cmp_ne_u16_sdwa s22, v92, v2 src0_sel:BYTE_1 src1_sel:DWORD
	v_mov_b32_e32 v90, 0
	s_andn2_b32 s17, s17, exec_lo
	s_and_b32 s22, s22, exec_lo
	s_or_b32 s17, s17, s22
	s_or_b32 exec_lo, exec_lo, s18
	s_and_saveexec_b32 s18, s17
	s_cbranch_execnz .LBB2_3602
	s_branch .LBB2_3603
.LBB2_3810:                             ;   in Loop: Header=BB2_3185 Depth=3
	s_or_saveexec_b32 s18, s18
	v_mov_b32_e32 v94, 0x7f800001
	s_xor_b32 exec_lo, exec_lo, s18
	s_cbranch_execz .LBB2_3607
.LBB2_3811:                             ;   in Loop: Header=BB2_3185 Depth=3
	v_cmp_ne_u16_sdwa s22, v10, v2 src0_sel:BYTE_1 src1_sel:DWORD
	v_mov_b32_e32 v94, 0
	s_andn2_b32 s17, s17, exec_lo
	s_and_b32 s22, s22, exec_lo
	s_or_b32 s17, s17, s22
	s_or_b32 exec_lo, exec_lo, s18
	s_and_saveexec_b32 s18, s17
	s_cbranch_execnz .LBB2_3608
	s_branch .LBB2_3609
.LBB2_3812:                             ;   in Loop: Header=BB2_3185 Depth=3
	s_or_saveexec_b32 s18, s18
	v_mov_b32_e32 v76, 0x7f800001
	s_xor_b32 exec_lo, exec_lo, s18
	s_cbranch_execz .LBB2_3621
.LBB2_3813:                             ;   in Loop: Header=BB2_3185 Depth=3
	v_cmp_ne_u16_sdwa s22, v88, v2 src0_sel:BYTE_0 src1_sel:DWORD
	v_mov_b32_e32 v76, 0
	s_andn2_b32 s17, s17, exec_lo
	s_and_b32 s22, s22, exec_lo
	s_or_b32 s17, s17, s22
	s_or_b32 exec_lo, exec_lo, s18
	v_lshl_or_b32 v88, v88, 16, v92
	s_and_saveexec_b32 s18, s17
	s_cbranch_execnz .LBB2_3622
	s_branch .LBB2_3623
.LBB2_3814:                             ;   in Loop: Header=BB2_3185 Depth=3
	s_or_saveexec_b32 s18, s18
	v_mov_b32_e32 v92, 0x7f800001
	s_xor_b32 exec_lo, exec_lo, s18
	s_cbranch_execz .LBB2_3627
.LBB2_3815:                             ;   in Loop: Header=BB2_3185 Depth=3
	v_cmp_ne_u16_e32 vcc_lo, 0, v94
	v_mov_b32_e32 v92, 0
	s_andn2_b32 s17, s17, exec_lo
	s_and_b32 s22, vcc_lo, exec_lo
	s_or_b32 s17, s17, s22
	s_or_b32 exec_lo, exec_lo, s18
	s_and_saveexec_b32 s18, s17
	s_cbranch_execnz .LBB2_3628
	s_branch .LBB2_3629
.LBB2_3816:                             ;   in Loop: Header=BB2_3185 Depth=3
	s_or_saveexec_b32 s18, s18
	v_mov_b32_e32 v92, 0x7f800001
	s_xor_b32 exec_lo, exec_lo, s18
	s_cbranch_execz .LBB2_3641
.LBB2_3817:                             ;   in Loop: Header=BB2_3185 Depth=3
	v_cmp_ne_u16_sdwa s22, v88, v2 src0_sel:BYTE_3 src1_sel:DWORD
	v_mov_b32_e32 v92, 0
	s_andn2_b32 s17, s17, exec_lo
	s_and_b32 s22, s22, exec_lo
	s_or_b32 s17, s17, s22
	s_or_b32 exec_lo, exec_lo, s18
	s_and_saveexec_b32 s18, s17
	s_cbranch_execnz .LBB2_3642
	s_branch .LBB2_3643
.LBB2_3818:                             ;   in Loop: Header=BB2_3185 Depth=3
	s_or_saveexec_b32 s18, s18
	v_mov_b32_e32 v88, 0x7f800001
	s_xor_b32 exec_lo, exec_lo, s18
	s_cbranch_execz .LBB2_3647
.LBB2_3819:                             ;   in Loop: Header=BB2_3185 Depth=3
	v_cmp_ne_u16_sdwa s22, v10, v2 src0_sel:BYTE_3 src1_sel:DWORD
	v_mov_b32_e32 v88, 0
	s_andn2_b32 s17, s17, exec_lo
	s_and_b32 s22, s22, exec_lo
	s_or_b32 s17, s17, s22
	s_or_b32 exec_lo, exec_lo, s18
	s_and_saveexec_b32 s18, s17
	s_cbranch_execnz .LBB2_3648
	s_branch .LBB2_3649
.LBB2_3820:                             ;   in Loop: Header=BB2_3185 Depth=3
	s_or_saveexec_b32 s18, s18
	v_mov_b32_e32 v73, 0x7f800001
	s_xor_b32 exec_lo, exec_lo, s18
	s_cbranch_execz .LBB2_3661
.LBB2_3821:                             ;   in Loop: Header=BB2_3185 Depth=3
	v_cmp_ne_u16_sdwa s22, v77, v2 src0_sel:BYTE_0 src1_sel:DWORD
	v_mov_b32_e32 v73, 0
	s_andn2_b32 s17, s17, exec_lo
	s_and_b32 s22, s22, exec_lo
	s_or_b32 s17, s17, s22
	s_or_b32 exec_lo, exec_lo, s18
	s_and_saveexec_b32 s18, s17
	s_cbranch_execnz .LBB2_3662
	s_branch .LBB2_3663
.LBB2_3822:                             ;   in Loop: Header=BB2_3185 Depth=3
	s_or_saveexec_b32 s18, s18
	v_mov_b32_e32 v88, 0x7f800001
	s_xor_b32 exec_lo, exec_lo, s18
	s_cbranch_execz .LBB2_3667
.LBB2_3823:                             ;   in Loop: Header=BB2_3185 Depth=3
	v_cmp_ne_u16_sdwa s22, v11, v2 src0_sel:BYTE_0 src1_sel:DWORD
	v_mov_b32_e32 v88, 0
	s_andn2_b32 s17, s17, exec_lo
	s_and_b32 s22, s22, exec_lo
	s_or_b32 s17, s17, s22
	s_or_b32 exec_lo, exec_lo, s18
	s_and_saveexec_b32 s18, s17
	s_cbranch_execnz .LBB2_3668
	s_branch .LBB2_3669
.LBB2_3824:                             ;   in Loop: Header=BB2_3185 Depth=3
	s_or_saveexec_b32 s18, s18
	v_mov_b32_e32 v88, 0x7f800001
	s_xor_b32 exec_lo, exec_lo, s18
	s_cbranch_execz .LBB2_3681
.LBB2_3825:                             ;   in Loop: Header=BB2_3185 Depth=3
	v_cmp_ne_u16_sdwa s22, v77, v2 src0_sel:BYTE_1 src1_sel:DWORD
	v_mov_b32_e32 v88, 0
	s_andn2_b32 s17, s17, exec_lo
	s_and_b32 s22, s22, exec_lo
	s_or_b32 s17, s17, s22
	s_or_b32 exec_lo, exec_lo, s18
	s_and_saveexec_b32 s18, s17
	s_cbranch_execnz .LBB2_3682
	s_branch .LBB2_3683
.LBB2_3826:                             ;   in Loop: Header=BB2_3185 Depth=3
	s_or_saveexec_b32 s18, s18
	v_mov_b32_e32 v92, 0x7f800001
	s_xor_b32 exec_lo, exec_lo, s18
	s_cbranch_execz .LBB2_3687
.LBB2_3827:                             ;   in Loop: Header=BB2_3185 Depth=3
	v_cmp_ne_u16_sdwa s22, v11, v2 src0_sel:BYTE_1 src1_sel:DWORD
	v_mov_b32_e32 v92, 0
	s_andn2_b32 s17, s17, exec_lo
	s_and_b32 s22, s22, exec_lo
	s_or_b32 s17, s17, s22
	s_or_b32 exec_lo, exec_lo, s18
	s_and_saveexec_b32 s18, s17
	s_cbranch_execnz .LBB2_3688
	s_branch .LBB2_3689
.LBB2_3828:                             ;   in Loop: Header=BB2_3185 Depth=3
	s_or_saveexec_b32 s18, s18
	v_mov_b32_e32 v72, 0x7f800001
	s_xor_b32 exec_lo, exec_lo, s18
	s_cbranch_execz .LBB2_3701
.LBB2_3829:                             ;   in Loop: Header=BB2_3185 Depth=3
	v_cmp_ne_u16_sdwa s22, v75, v2 src0_sel:BYTE_0 src1_sel:DWORD
	v_mov_b32_e32 v72, 0
	s_andn2_b32 s17, s17, exec_lo
	s_and_b32 s22, s22, exec_lo
	s_or_b32 s17, s17, s22
	s_or_b32 exec_lo, exec_lo, s18
	v_lshl_or_b32 v75, v75, 16, v77
	s_and_saveexec_b32 s18, s17
	s_cbranch_execnz .LBB2_3702
	s_branch .LBB2_3703
.LBB2_3830:                             ;   in Loop: Header=BB2_3185 Depth=3
	s_or_saveexec_b32 s18, s18
	v_mov_b32_e32 v77, 0x7f800001
	s_xor_b32 exec_lo, exec_lo, s18
	s_cbranch_execz .LBB2_3707
.LBB2_3831:                             ;   in Loop: Header=BB2_3185 Depth=3
	v_cmp_ne_u16_e32 vcc_lo, 0, v92
	v_mov_b32_e32 v77, 0
	s_andn2_b32 s17, s17, exec_lo
	s_and_b32 s22, vcc_lo, exec_lo
	s_or_b32 s17, s17, s22
	s_or_b32 exec_lo, exec_lo, s18
	s_and_saveexec_b32 s18, s17
	s_cbranch_execnz .LBB2_3708
	s_branch .LBB2_3709
.LBB2_3832:                             ;   in Loop: Header=BB2_3185 Depth=3
	s_or_saveexec_b32 s18, s18
	v_mov_b32_e32 v77, 0x7f800001
	s_xor_b32 exec_lo, exec_lo, s18
	s_cbranch_execz .LBB2_3721
.LBB2_3833:                             ;   in Loop: Header=BB2_3185 Depth=3
	v_cmp_ne_u16_sdwa s22, v75, v2 src0_sel:BYTE_3 src1_sel:DWORD
	v_mov_b32_e32 v77, 0
	s_andn2_b32 s17, s17, exec_lo
	s_and_b32 s22, s22, exec_lo
	s_or_b32 s17, s17, s22
	s_or_b32 exec_lo, exec_lo, s18
	s_and_saveexec_b32 s18, s17
	s_cbranch_execnz .LBB2_3722
	s_branch .LBB2_3723
.LBB2_3834:                             ;   in Loop: Header=BB2_3185 Depth=3
	s_or_saveexec_b32 s18, s18
	v_mov_b32_e32 v75, 0x7f800001
	s_xor_b32 exec_lo, exec_lo, s18
	s_cbranch_execz .LBB2_3727
.LBB2_3835:                             ;   in Loop: Header=BB2_3185 Depth=3
	v_cmp_ne_u16_sdwa s22, v11, v2 src0_sel:BYTE_3 src1_sel:DWORD
	v_mov_b32_e32 v75, 0
	s_andn2_b32 s17, s17, exec_lo
	s_and_b32 s22, s22, exec_lo
	s_or_b32 s17, s17, s22
	s_or_b32 exec_lo, exec_lo, s18
	s_and_saveexec_b32 s18, s17
	s_cbranch_execnz .LBB2_3728
	s_branch .LBB2_3729
.LBB2_3836:                             ;   in Loop: Header=BB2_3107 Depth=2
	s_or_b32 exec_lo, exec_lo, s72
.LBB2_3837:                             ;   in Loop: Header=BB2_3107 Depth=2
	s_or_b32 exec_lo, exec_lo, s19
	v_and_b32_e32 v8, 15, v46
	v_mov_b32_e32 v59, 0
	s_mov_b32 s17, 0
	s_mov_b32 s19, exec_lo
                                        ; implicit-def: $vgpr61
                                        ; implicit-def: $vgpr60
	v_cndmask_b32_e64 v56, v57, v8, s16
	v_cmpx_ne_u32_e32 0, v56
	s_cbranch_execz .LBB2_4493
; %bb.3838:                             ;   in Loop: Header=BB2_3107 Depth=2
	v_cmp_lt_i32_e32 vcc_lo, 0, v58
	v_ashrrev_i32_e32 v11, 31, v56
	s_mov_b32 s72, exec_lo
	v_cndmask_b32_e32 v9, 0, v83, vcc_lo
	v_lshrrev_b32_e32 v11, 23, v11
	v_sub_nc_u32_e32 v9, v9, v58
	v_add_nc_u32_e32 v11, v56, v11
	v_lshl_or_b32 v9, v9, 5, v84
	v_and_b32_e32 v59, 0xfffffe00, v11
	v_ashrrev_i32_e32 v11, 9, v11
	v_ashrrev_i32_e32 v10, 31, v9
	v_lshrrev_b32_e32 v10, 27, v10
	v_add_nc_u32_e32 v10, v9, v10
	v_and_b32_e32 v66, 0xffffffe0, v10
	v_sub_nc_u32_e32 v58, v9, v66
	v_ashrrev_i32_e32 v9, 5, v10
	v_sub_nc_u32_e32 v66, v57, v8
	v_sub_nc_u32_e32 v57, v56, v59
	v_lshlrev_b32_e32 v10, 4, v58
	v_lshl_add_u32 v8, v9, 9, v10
	v_cndmask_b32_e64 v10, 0, v66, s16
	v_cmp_lt_i32_e64 s16, 15, v57
	v_sub_nc_u32_e32 v61, v56, v8
	v_add_nc_u32_e32 v47, v10, v47
	v_add_co_ci_u32_e64 v11, null, 0, v11, s16
	v_sub_nc_u32_e32 v60, v11, v9
	v_cmpx_lt_i32_e32 15, v61
	s_cbranch_execz .LBB2_4492
; %bb.3839:                             ;   in Loop: Header=BB2_3107 Depth=2
	s_trap 2
	ds_read_b64 v[9:10], v0
	v_add_nc_u32_e32 v8, v8, v47
	v_ashrrev_i32_e32 v11, 31, v8
	v_add_co_u32 v62, vcc_lo, v8, v53
	v_add_co_ci_u32_e64 v63, null, v11, v54, vcc_lo
	v_add_co_u32 v72, vcc_lo, v8, v64
	v_add_co_ci_u32_e64 v73, null, v11, v65, vcc_lo
	;; [unrolled: 2-line block ×3, first 2 shown]
	s_waitcnt lgkmcnt(0)
	v_readfirstlane_b32 s17, v9
	v_add_co_u32 v68, vcc_lo, v9, v8
	v_add_co_ci_u32_e64 v69, null, v10, v11, vcc_lo
	s_and_b32 s18, s17, 3
	s_bfe_u32 s73, s17, 0x50002
	s_flbit_i32_b32 s22, s18
	s_min_u32 s22, s22, 32
	s_sub_i32 s23, s22, 29
	s_sub_i32 s22, 30, s22
	s_lshl_b32 s23, s17, s23
	s_and_b32 s23, s23, 3
	s_cmp_eq_u32 s73, 0
	s_cselect_b32 s22, s22, s73
	s_cselect_b32 s18, s23, s18
	s_lshl_b32 s23, s17, 24
	s_lshl_b32 s22, s22, 23
	s_and_b32 s23, s23, 0x80000000
	s_add_i32 s22, s22, 0x37800000
	s_lshl_b32 s18, s18, 21
	s_or_b32 s22, s23, s22
	s_mov_b32 s73, 0
	s_or_b32 s74, s22, s18
	s_and_b32 s75, s17, 0xff
.LBB2_3840:                             ;   Parent Loop BB2_47 Depth=1
                                        ;     Parent Loop BB2_3107 Depth=2
                                        ; =>    This Loop Header: Depth=3
                                        ;         Child Loop BB2_4393 Depth 4
	s_cmpk_lt_i32 s75, 0x80
	s_cbranch_scc1 .LBB2_3844
; %bb.3841:                             ;   in Loop: Header=BB2_3840 Depth=3
	s_and_b32 s17, 0xffff, s75
	s_cmpk_eq_i32 s17, 0x80
	s_mov_b32 s17, -1
	s_cbranch_scc0 .LBB2_3843
; %bb.3842:                             ;   in Loop: Header=BB2_3840 Depth=3
	s_mov_b32 s17, 0
.LBB2_3843:                             ;   in Loop: Header=BB2_3840 Depth=3
	s_mov_b32 s18, 0x7f800001
	s_branch .LBB2_3846
.LBB2_3844:                             ;   in Loop: Header=BB2_3840 Depth=3
	s_mov_b32 s17, 0
	s_mov_b32 s18, 0x7f800001
	s_cbranch_execz .LBB2_3846
; %bb.3845:                             ;   in Loop: Header=BB2_3840 Depth=3
	s_and_b32 s17, 0xffff, s75
	s_mov_b32 s18, 0
	s_cmp_lg_u32 s17, 0
	s_cselect_b32 s17, -1, 0
.LBB2_3846:                             ;   in Loop: Header=BB2_3840 Depth=3
	s_andn2_b32 vcc_lo, exec_lo, s17
	s_cbranch_vccnz .LBB2_3848
; %bb.3847:                             ;   in Loop: Header=BB2_3840 Depth=3
	s_mov_b32 s18, s74
.LBB2_3848:                             ;   in Loop: Header=BB2_3840 Depth=3
	global_load_dwordx4 v[8:11], v[66:67], off slc
	s_mov_b32 s17, 0
	s_waitcnt vmcnt(0)
	v_cmp_gt_i16_sdwa s22, v8, v97 src0_sel:BYTE_0 src1_sel:DWORD
	s_and_saveexec_b32 s23, s22
	s_xor_b32 s22, exec_lo, s23
	s_cbranch_execz .LBB2_4395
; %bb.3849:                             ;   in Loop: Header=BB2_3840 Depth=3
	v_cmp_eq_u16_sdwa s76, v8, v98 src0_sel:BYTE_0 src1_sel:DWORD
	s_mov_b32 s17, -1
	s_and_saveexec_b32 s23, s76
; %bb.3850:                             ;   in Loop: Header=BB2_3840 Depth=3
	s_xor_b32 s17, exec_lo, -1
; %bb.3851:                             ;   in Loop: Header=BB2_3840 Depth=3
	s_or_b32 exec_lo, exec_lo, s23
	s_and_b32 s17, s17, exec_lo
	s_or_saveexec_b32 s22, s22
	v_mov_b32_e32 v74, 0x7f800001
	s_xor_b32 exec_lo, exec_lo, s22
	s_cbranch_execnz .LBB2_4396
.LBB2_3852:                             ;   in Loop: Header=BB2_3840 Depth=3
	s_or_b32 exec_lo, exec_lo, s22
	s_and_saveexec_b32 s22, s17
	s_cbranch_execz .LBB2_3854
.LBB2_3853:                             ;   in Loop: Header=BB2_3840 Depth=3
	v_and_b32_e32 v74, 3, v8
	v_bfe_u32 v77, v8, 2, 5
	v_lshlrev_b32_e32 v78, 24, v8
	v_ffbh_u32_e32 v75, v74
	v_cmp_eq_u32_e32 vcc_lo, 0, v77
	v_min_u32_e32 v75, 32, v75
	v_subrev_nc_u32_e32 v76, 29, v75
	v_sub_nc_u32_e32 v75, 30, v75
	v_lshlrev_b32_e32 v76, v76, v8
	v_cndmask_b32_e32 v75, v77, v75, vcc_lo
	v_and_b32_e32 v76, 3, v76
	v_lshl_add_u32 v75, v75, 23, 0x37800000
	v_cndmask_b32_e32 v74, v74, v76, vcc_lo
	v_and_b32_e32 v76, 0x80000000, v78
	v_lshlrev_b32_e32 v74, 21, v74
	v_or3_b32 v74, v76, v75, v74
.LBB2_3854:                             ;   in Loop: Header=BB2_3840 Depth=3
	s_or_b32 exec_lo, exec_lo, s22
	v_mul_f32_e32 v75, s18, v74
	v_and_b32_e32 v74, 0x7f800000, v75
	v_cmp_ne_u32_e32 vcc_lo, 0x7f800000, v74
	v_mov_b32_e32 v74, 0x80
	s_and_saveexec_b32 s22, vcc_lo
	s_cbranch_execz .LBB2_3862
; %bb.3855:                             ;   in Loop: Header=BB2_3840 Depth=3
	v_mov_b32_e32 v74, 0
	s_mov_b32 s23, exec_lo
	v_cmpx_ne_u32_e32 0, v75
	s_cbranch_execz .LBB2_3861
; %bb.3856:                             ;   in Loop: Header=BB2_3840 Depth=3
	v_bfe_u32 v74, v75, 23, 8
	v_and_b32_e32 v76, 0x7fffff, v75
	v_sub_nc_u32_e32 v77, 0x70, v74
	v_cmp_gt_u32_e32 vcc_lo, 0x71, v74
	v_or_b32_e32 v78, 0x800000, v76
	v_cndmask_b32_e32 v77, 0, v77, vcc_lo
	v_cmp_eq_u32_e32 vcc_lo, 0, v74
	v_add_nc_u32_e32 v74, 0xffffff91, v74
	v_cndmask_b32_e64 v77, v77, 0x6f, vcc_lo
	v_cndmask_b32_e32 v76, v78, v76, vcc_lo
	v_cndmask_b32_e64 v74, v74, 0xffffff92, vcc_lo
	v_lshl_add_u32 v78, 0x200000, v77, -1
	v_lshrrev_b32_e32 v79, v77, v76
	v_lshlrev_b32_e64 v89, v77, 0x100000
	v_add_nc_u32_e32 v77, v77, v74
	v_and_b32_e32 v76, v78, v76
	v_bfe_u32 v88, v79, 21, 1
	v_cmp_eq_u32_e64 s17, v76, v89
	v_add_nc_u32_e32 v78, -1, v88
	v_cndmask_b32_e64 v76, 0, v78, s17
	v_lshrrev_b32_e32 v78, 23, v79
	s_mov_b32 s17, exec_lo
	v_add_nc_u32_e32 v76, v76, v79
	v_xor_b32_e32 v78, 1, v78
	v_and_b32_e32 v74, 0x1fffff, v76
	v_add_nc_u32_e32 v76, v74, v79
                                        ; implicit-def: $vgpr74
	v_cmpx_ne_u32_e64 v77, v78
	s_xor_b32 s17, exec_lo, s17
; %bb.3857:                             ;   in Loop: Header=BB2_3840 Depth=3
	v_cmp_lt_u32_e32 vcc_lo, 0xffffff, v76
	v_sub_nc_u32_e32 v74, v77, v78
	v_cndmask_b32_e64 v77, 0, 1, vcc_lo
	v_add_co_ci_u32_e64 v74, null, 0, v74, vcc_lo
	v_lshrrev_b32_e32 v76, v77, v76
; %bb.3858:                             ;   in Loop: Header=BB2_3840 Depth=3
	s_andn2_saveexec_b32 s17, s17
; %bb.3859:                             ;   in Loop: Header=BB2_3840 Depth=3
	v_bfe_u32 v74, v76, 23, 1
; %bb.3860:                             ;   in Loop: Header=BB2_3840 Depth=3
	s_or_b32 exec_lo, exec_lo, s17
	v_lshrrev_b32_e32 v76, 21, v76
	v_min_i32_e32 v77, 31, v74
	v_cmp_gt_i32_e32 vcc_lo, 32, v74
	v_and_b32_sdwa v75, v75, v98 dst_sel:DWORD dst_unused:UNUSED_PAD src0_sel:BYTE_3 src1_sel:DWORD
	v_lshlrev_b32_e32 v77, 2, v77
	v_cndmask_b32_e32 v76, 3, v76, vcc_lo
	v_and_b32_e32 v77, 0xfc, v77
	v_and_b32_e32 v78, 3, v76
	v_or_b32_e32 v74, v74, v76
	v_or3_b32 v75, v77, v75, v78
	v_cmp_ne_u32_e32 vcc_lo, 0, v74
	v_cndmask_b32_e32 v74, 0, v75, vcc_lo
.LBB2_3861:                             ;   in Loop: Header=BB2_3840 Depth=3
	s_or_b32 exec_lo, exec_lo, s23
.LBB2_3862:                             ;   in Loop: Header=BB2_3840 Depth=3
	s_or_b32 exec_lo, exec_lo, s22
	v_cmp_gt_i16_sdwa s22, v8, v97 src0_sel:BYTE_1 src1_sel:DWORD
	s_mov_b32 s17, 0
	s_and_saveexec_b32 s23, s22
	s_xor_b32 s22, exec_lo, s23
	s_cbranch_execz .LBB2_4397
; %bb.3863:                             ;   in Loop: Header=BB2_3840 Depth=3
	v_cmp_eq_u16_sdwa s76, v8, v98 src0_sel:BYTE_1 src1_sel:DWORD
	s_mov_b32 s17, -1
	s_and_saveexec_b32 s23, s76
; %bb.3864:                             ;   in Loop: Header=BB2_3840 Depth=3
	s_xor_b32 s17, exec_lo, -1
; %bb.3865:                             ;   in Loop: Header=BB2_3840 Depth=3
	s_or_b32 exec_lo, exec_lo, s23
	s_and_b32 s17, s17, exec_lo
	s_or_saveexec_b32 s22, s22
	v_mov_b32_e32 v75, 0x7f800001
	s_xor_b32 exec_lo, exec_lo, s22
	s_cbranch_execnz .LBB2_4398
.LBB2_3866:                             ;   in Loop: Header=BB2_3840 Depth=3
	s_or_b32 exec_lo, exec_lo, s22
	s_and_saveexec_b32 s22, s17
	s_cbranch_execz .LBB2_3868
.LBB2_3867:                             ;   in Loop: Header=BB2_3840 Depth=3
	v_and_b32_sdwa v75, v99, v8 dst_sel:DWORD dst_unused:UNUSED_PAD src0_sel:DWORD src1_sel:BYTE_1
	v_and_b32_e32 v76, 3, v75
	v_bfe_u32 v79, v75, 2, 5
	v_ffbh_u32_e32 v77, v76
	v_cmp_eq_u32_e32 vcc_lo, 0, v79
	v_min_u32_e32 v77, 32, v77
	v_subrev_nc_u32_e32 v78, 29, v77
	v_sub_nc_u32_e32 v77, 30, v77
	v_lshlrev_b32_e32 v75, v78, v75
	v_lshlrev_b32_sdwa v78, v100, v8 dst_sel:DWORD dst_unused:UNUSED_PAD src0_sel:DWORD src1_sel:BYTE_1
	v_cndmask_b32_e32 v77, v79, v77, vcc_lo
	v_and_b32_e32 v75, 3, v75
	v_lshl_add_u32 v77, v77, 23, 0x37800000
	v_cndmask_b32_e32 v75, v76, v75, vcc_lo
	v_and_b32_e32 v76, 0x80000000, v78
	v_lshlrev_b32_e32 v75, 21, v75
	v_or3_b32 v75, v76, v77, v75
.LBB2_3868:                             ;   in Loop: Header=BB2_3840 Depth=3
	s_or_b32 exec_lo, exec_lo, s22
	v_mul_f32_e32 v75, s18, v75
	v_mov_b32_e32 v77, 0x8000
	s_mov_b32 s22, exec_lo
	v_and_b32_e32 v76, 0x7f800000, v75
	v_cmpx_ne_u32_e32 0x7f800000, v76
	s_cbranch_execz .LBB2_3876
; %bb.3869:                             ;   in Loop: Header=BB2_3840 Depth=3
	v_mov_b32_e32 v77, 0
	s_mov_b32 s23, exec_lo
	v_cmpx_ne_u32_e32 0, v75
	s_cbranch_execz .LBB2_3875
; %bb.3870:                             ;   in Loop: Header=BB2_3840 Depth=3
	v_bfe_u32 v76, v75, 23, 8
	v_and_b32_e32 v77, 0x7fffff, v75
	v_sub_nc_u32_e32 v78, 0x70, v76
	v_cmp_gt_u32_e32 vcc_lo, 0x71, v76
	v_or_b32_e32 v79, 0x800000, v77
	v_cndmask_b32_e32 v78, 0, v78, vcc_lo
	v_cmp_eq_u32_e32 vcc_lo, 0, v76
	v_add_nc_u32_e32 v76, 0xffffff91, v76
	v_cndmask_b32_e64 v78, v78, 0x6f, vcc_lo
	v_cndmask_b32_e32 v77, v79, v77, vcc_lo
	v_cndmask_b32_e64 v76, v76, 0xffffff92, vcc_lo
	v_lshl_add_u32 v79, 0x200000, v78, -1
	v_lshrrev_b32_e32 v88, v78, v77
	v_lshlrev_b32_e64 v90, v78, 0x100000
	v_add_nc_u32_e32 v78, v78, v76
	v_and_b32_e32 v77, v79, v77
	v_bfe_u32 v89, v88, 21, 1
	v_cmp_eq_u32_e64 s17, v77, v90
	v_add_nc_u32_e32 v79, -1, v89
	v_cndmask_b32_e64 v77, 0, v79, s17
	v_lshrrev_b32_e32 v79, 23, v88
	s_mov_b32 s17, exec_lo
	v_add_nc_u32_e32 v77, v77, v88
	v_xor_b32_e32 v79, 1, v79
	v_and_b32_e32 v76, 0x1fffff, v77
	v_add_nc_u32_e32 v77, v76, v88
                                        ; implicit-def: $vgpr76
	v_cmpx_ne_u32_e64 v78, v79
	s_xor_b32 s17, exec_lo, s17
; %bb.3871:                             ;   in Loop: Header=BB2_3840 Depth=3
	v_cmp_lt_u32_e32 vcc_lo, 0xffffff, v77
	v_sub_nc_u32_e32 v76, v78, v79
	v_cndmask_b32_e64 v78, 0, 1, vcc_lo
	v_add_co_ci_u32_e64 v76, null, 0, v76, vcc_lo
	v_lshrrev_b32_e32 v77, v78, v77
; %bb.3872:                             ;   in Loop: Header=BB2_3840 Depth=3
	s_andn2_saveexec_b32 s17, s17
; %bb.3873:                             ;   in Loop: Header=BB2_3840 Depth=3
	v_bfe_u32 v76, v77, 23, 1
; %bb.3874:                             ;   in Loop: Header=BB2_3840 Depth=3
	s_or_b32 exec_lo, exec_lo, s17
	v_lshrrev_b32_e32 v77, 21, v77
	v_min_i32_e32 v78, 31, v76
	v_cmp_gt_i32_e32 vcc_lo, 32, v76
	v_and_b32_sdwa v75, v75, v98 dst_sel:DWORD dst_unused:UNUSED_PAD src0_sel:BYTE_3 src1_sel:DWORD
	v_lshlrev_b32_e32 v78, 2, v78
	v_cndmask_b32_e32 v77, 3, v77, vcc_lo
	v_and_b32_e32 v78, 0xfc, v78
	v_and_b32_e32 v79, 3, v77
	v_or_b32_e32 v76, v76, v77
	v_or3_b32 v75, v75, v78, v79
	v_cmp_ne_u32_e32 vcc_lo, 0, v76
	v_lshlrev_b32_e32 v75, 8, v75
	v_cndmask_b32_e32 v77, 0, v75, vcc_lo
.LBB2_3875:                             ;   in Loop: Header=BB2_3840 Depth=3
	s_or_b32 exec_lo, exec_lo, s23
.LBB2_3876:                             ;   in Loop: Header=BB2_3840 Depth=3
	s_or_b32 exec_lo, exec_lo, s22
	v_and_b32_sdwa v76, v8, v101 dst_sel:DWORD dst_unused:UNUSED_PAD src0_sel:WORD_1 src1_sel:DWORD
	s_mov_b32 s17, 0
	s_mov_b32 s22, exec_lo
	v_cmpx_lt_i16_e32 0x7f, v76
	s_xor_b32 s22, exec_lo, s22
	s_cbranch_execz .LBB2_4399
; %bb.3877:                             ;   in Loop: Header=BB2_3840 Depth=3
	s_mov_b32 s17, -1
	s_mov_b32 s23, exec_lo
	v_cmpx_eq_u16_e32 0x80, v76
; %bb.3878:                             ;   in Loop: Header=BB2_3840 Depth=3
	s_xor_b32 s17, exec_lo, -1
; %bb.3879:                             ;   in Loop: Header=BB2_3840 Depth=3
	s_or_b32 exec_lo, exec_lo, s23
	s_and_b32 s17, s17, exec_lo
                                        ; implicit-def: $vgpr76
	s_or_saveexec_b32 s22, s22
	v_mov_b32_e32 v75, 0x7f800001
	s_xor_b32 exec_lo, exec_lo, s22
	s_cbranch_execnz .LBB2_4400
.LBB2_3880:                             ;   in Loop: Header=BB2_3840 Depth=3
	s_or_b32 exec_lo, exec_lo, s22
	s_and_saveexec_b32 s22, s17
	s_cbranch_execz .LBB2_3882
.LBB2_3881:                             ;   in Loop: Header=BB2_3840 Depth=3
	v_bfe_u32 v75, v8, 16, 2
	v_bfe_u32 v79, v8, 18, 5
	v_lshlrev_b32_e32 v88, 8, v8
	v_ffbh_u32_e32 v76, v75
	v_cmp_eq_u32_e32 vcc_lo, 0, v79
	v_min_u32_e32 v76, 32, v76
	v_subrev_nc_u32_e32 v78, 29, v76
	v_sub_nc_u32_e32 v76, 30, v76
	v_lshlrev_b32_sdwa v78, v78, v8 dst_sel:DWORD dst_unused:UNUSED_PAD src0_sel:DWORD src1_sel:WORD_1
	v_cndmask_b32_e32 v76, v79, v76, vcc_lo
	v_and_b32_e32 v78, 3, v78
	v_lshl_add_u32 v76, v76, 23, 0x37800000
	v_cndmask_b32_e32 v75, v75, v78, vcc_lo
	v_and_b32_e32 v78, 0x80000000, v88
	v_lshlrev_b32_e32 v75, 21, v75
	v_or3_b32 v75, v78, v76, v75
.LBB2_3882:                             ;   in Loop: Header=BB2_3840 Depth=3
	s_or_b32 exec_lo, exec_lo, s22
	v_mul_f32_e32 v75, s18, v75
	v_mov_b32_e32 v90, 0x80
	s_mov_b32 s22, exec_lo
	v_and_b32_e32 v76, 0x7f800000, v75
	v_cmpx_ne_u32_e32 0x7f800000, v76
	s_cbranch_execz .LBB2_3890
; %bb.3883:                             ;   in Loop: Header=BB2_3840 Depth=3
	v_mov_b32_e32 v90, 0
	s_mov_b32 s23, exec_lo
	v_cmpx_ne_u32_e32 0, v75
	s_cbranch_execz .LBB2_3889
; %bb.3884:                             ;   in Loop: Header=BB2_3840 Depth=3
	v_bfe_u32 v76, v75, 23, 8
	v_and_b32_e32 v78, 0x7fffff, v75
	v_sub_nc_u32_e32 v79, 0x70, v76
	v_cmp_gt_u32_e32 vcc_lo, 0x71, v76
	v_or_b32_e32 v88, 0x800000, v78
	v_cndmask_b32_e32 v79, 0, v79, vcc_lo
	v_cmp_eq_u32_e32 vcc_lo, 0, v76
	v_add_nc_u32_e32 v76, 0xffffff91, v76
	v_cndmask_b32_e64 v79, v79, 0x6f, vcc_lo
	v_cndmask_b32_e32 v78, v88, v78, vcc_lo
	v_cndmask_b32_e64 v76, v76, 0xffffff92, vcc_lo
	v_lshl_add_u32 v88, 0x200000, v79, -1
	v_lshrrev_b32_e32 v89, v79, v78
	v_lshlrev_b32_e64 v91, v79, 0x100000
	v_add_nc_u32_e32 v79, v79, v76
	v_and_b32_e32 v78, v88, v78
	v_bfe_u32 v90, v89, 21, 1
	v_cmp_eq_u32_e64 s17, v78, v91
	v_add_nc_u32_e32 v88, -1, v90
	v_cndmask_b32_e64 v78, 0, v88, s17
	v_lshrrev_b32_e32 v88, 23, v89
	s_mov_b32 s17, exec_lo
	v_add_nc_u32_e32 v78, v78, v89
	v_xor_b32_e32 v88, 1, v88
	v_and_b32_e32 v76, 0x1fffff, v78
	v_add_nc_u32_e32 v78, v76, v89
                                        ; implicit-def: $vgpr76
	v_cmpx_ne_u32_e64 v79, v88
	s_xor_b32 s17, exec_lo, s17
; %bb.3885:                             ;   in Loop: Header=BB2_3840 Depth=3
	v_cmp_lt_u32_e32 vcc_lo, 0xffffff, v78
	v_sub_nc_u32_e32 v76, v79, v88
	v_cndmask_b32_e64 v79, 0, 1, vcc_lo
	v_add_co_ci_u32_e64 v76, null, 0, v76, vcc_lo
	v_lshrrev_b32_e32 v78, v79, v78
; %bb.3886:                             ;   in Loop: Header=BB2_3840 Depth=3
	s_andn2_saveexec_b32 s17, s17
; %bb.3887:                             ;   in Loop: Header=BB2_3840 Depth=3
	v_bfe_u32 v76, v78, 23, 1
; %bb.3888:                             ;   in Loop: Header=BB2_3840 Depth=3
	s_or_b32 exec_lo, exec_lo, s17
	v_lshrrev_b32_e32 v78, 21, v78
	v_min_i32_e32 v79, 31, v76
	v_cmp_gt_i32_e32 vcc_lo, 32, v76
	v_and_b32_sdwa v75, v75, v98 dst_sel:DWORD dst_unused:UNUSED_PAD src0_sel:BYTE_3 src1_sel:DWORD
	v_lshlrev_b32_e32 v79, 2, v79
	v_cndmask_b32_e32 v78, 3, v78, vcc_lo
	v_and_b32_e32 v79, 0xfc, v79
	v_and_b32_e32 v88, 3, v78
	v_or_b32_e32 v76, v76, v78
	v_or3_b32 v75, v79, v75, v88
	v_cmp_ne_u32_e32 vcc_lo, 0, v76
	v_cndmask_b32_e32 v90, 0, v75, vcc_lo
.LBB2_3889:                             ;   in Loop: Header=BB2_3840 Depth=3
	s_or_b32 exec_lo, exec_lo, s23
.LBB2_3890:                             ;   in Loop: Header=BB2_3840 Depth=3
	s_or_b32 exec_lo, exec_lo, s22
	v_cmp_gt_i16_sdwa s22, v8, v97 src0_sel:BYTE_3 src1_sel:DWORD
	s_mov_b32 s17, 0
	s_and_saveexec_b32 s23, s22
	s_xor_b32 s22, exec_lo, s23
	s_cbranch_execz .LBB2_4401
; %bb.3891:                             ;   in Loop: Header=BB2_3840 Depth=3
	v_cmp_eq_u16_sdwa s76, v8, v98 src0_sel:BYTE_3 src1_sel:DWORD
	s_mov_b32 s17, -1
	s_and_saveexec_b32 s23, s76
; %bb.3892:                             ;   in Loop: Header=BB2_3840 Depth=3
	s_xor_b32 s17, exec_lo, -1
; %bb.3893:                             ;   in Loop: Header=BB2_3840 Depth=3
	s_or_b32 exec_lo, exec_lo, s23
	s_and_b32 s17, s17, exec_lo
	s_or_saveexec_b32 s22, s22
	v_mov_b32_e32 v75, 0x7f800001
	s_xor_b32 exec_lo, exec_lo, s22
	s_cbranch_execnz .LBB2_4402
.LBB2_3894:                             ;   in Loop: Header=BB2_3840 Depth=3
	s_or_b32 exec_lo, exec_lo, s22
	s_and_saveexec_b32 s22, s17
	s_cbranch_execz .LBB2_3896
.LBB2_3895:                             ;   in Loop: Header=BB2_3840 Depth=3
	v_bfe_u32 v75, v8, 24, 2
	v_bfe_u32 v79, v8, 26, 5
	v_ffbh_u32_e32 v76, v75
	v_cmp_eq_u32_e32 vcc_lo, 0, v79
	v_min_u32_e32 v76, 32, v76
	v_subrev_nc_u32_e32 v78, 29, v76
	v_sub_nc_u32_e32 v76, 30, v76
	v_lshlrev_b32_sdwa v78, v78, v8 dst_sel:DWORD dst_unused:UNUSED_PAD src0_sel:DWORD src1_sel:BYTE_3
	v_cndmask_b32_e32 v76, v79, v76, vcc_lo
	v_and_b32_e32 v8, 0x80000000, v8
	v_and_b32_e32 v78, 3, v78
	v_lshl_add_u32 v76, v76, 23, 0x37800000
	v_cndmask_b32_e32 v75, v75, v78, vcc_lo
	v_lshlrev_b32_e32 v75, 21, v75
	v_or3_b32 v75, v8, v76, v75
.LBB2_3896:                             ;   in Loop: Header=BB2_3840 Depth=3
	s_or_b32 exec_lo, exec_lo, s22
	v_mul_f32_e32 v8, s18, v75
	v_mov_b32_e32 v105, 0x8000
	s_mov_b32 s22, exec_lo
	v_and_b32_e32 v75, 0x7f800000, v8
	v_cmpx_ne_u32_e32 0x7f800000, v75
	s_cbranch_execz .LBB2_3904
; %bb.3897:                             ;   in Loop: Header=BB2_3840 Depth=3
	v_mov_b32_e32 v105, 0
	s_mov_b32 s23, exec_lo
	v_cmpx_ne_u32_e32 0, v8
	s_cbranch_execz .LBB2_3903
; %bb.3898:                             ;   in Loop: Header=BB2_3840 Depth=3
	v_bfe_u32 v75, v8, 23, 8
	v_and_b32_e32 v76, 0x7fffff, v8
	v_sub_nc_u32_e32 v78, 0x70, v75
	v_cmp_gt_u32_e32 vcc_lo, 0x71, v75
	v_or_b32_e32 v79, 0x800000, v76
	v_cndmask_b32_e32 v78, 0, v78, vcc_lo
	v_cmp_eq_u32_e32 vcc_lo, 0, v75
	v_add_nc_u32_e32 v75, 0xffffff91, v75
	v_cndmask_b32_e64 v78, v78, 0x6f, vcc_lo
	v_cndmask_b32_e32 v76, v79, v76, vcc_lo
	v_cndmask_b32_e64 v75, v75, 0xffffff92, vcc_lo
	v_lshl_add_u32 v79, 0x200000, v78, -1
	v_lshrrev_b32_e32 v88, v78, v76
	v_lshlrev_b32_e64 v91, v78, 0x100000
	v_add_nc_u32_e32 v78, v78, v75
	v_and_b32_e32 v76, v79, v76
	v_bfe_u32 v89, v88, 21, 1
	v_cmp_eq_u32_e64 s17, v76, v91
	v_add_nc_u32_e32 v79, -1, v89
	v_cndmask_b32_e64 v76, 0, v79, s17
	v_lshrrev_b32_e32 v79, 23, v88
	s_mov_b32 s17, exec_lo
	v_add_nc_u32_e32 v76, v76, v88
	v_xor_b32_e32 v79, 1, v79
	v_and_b32_e32 v75, 0x1fffff, v76
	v_add_nc_u32_e32 v76, v75, v88
                                        ; implicit-def: $vgpr75
	v_cmpx_ne_u32_e64 v78, v79
	s_xor_b32 s17, exec_lo, s17
; %bb.3899:                             ;   in Loop: Header=BB2_3840 Depth=3
	v_cmp_lt_u32_e32 vcc_lo, 0xffffff, v76
	v_sub_nc_u32_e32 v75, v78, v79
	v_cndmask_b32_e64 v78, 0, 1, vcc_lo
	v_add_co_ci_u32_e64 v75, null, 0, v75, vcc_lo
	v_lshrrev_b32_e32 v76, v78, v76
; %bb.3900:                             ;   in Loop: Header=BB2_3840 Depth=3
	s_andn2_saveexec_b32 s17, s17
; %bb.3901:                             ;   in Loop: Header=BB2_3840 Depth=3
	v_bfe_u32 v75, v76, 23, 1
; %bb.3902:                             ;   in Loop: Header=BB2_3840 Depth=3
	s_or_b32 exec_lo, exec_lo, s17
	v_lshrrev_b32_e32 v76, 21, v76
	v_min_i32_e32 v78, 31, v75
	v_cmp_gt_i32_e32 vcc_lo, 32, v75
	v_and_b32_sdwa v8, v8, v98 dst_sel:DWORD dst_unused:UNUSED_PAD src0_sel:BYTE_3 src1_sel:DWORD
	v_lshlrev_b32_e32 v78, 2, v78
	v_cndmask_b32_e32 v76, 3, v76, vcc_lo
	v_and_b32_e32 v78, 0xfc, v78
	v_and_b32_e32 v79, 3, v76
	v_or_b32_e32 v75, v75, v76
	v_or3_b32 v8, v8, v78, v79
	v_cmp_ne_u32_e32 vcc_lo, 0, v75
	v_lshlrev_b32_e32 v8, 8, v8
	v_cndmask_b32_e32 v105, 0, v8, vcc_lo
.LBB2_3903:                             ;   in Loop: Header=BB2_3840 Depth=3
	s_or_b32 exec_lo, exec_lo, s23
.LBB2_3904:                             ;   in Loop: Header=BB2_3840 Depth=3
	s_or_b32 exec_lo, exec_lo, s22
	v_cmp_gt_i16_sdwa s22, v9, v97 src0_sel:BYTE_0 src1_sel:DWORD
	s_mov_b32 s17, 0
	s_and_saveexec_b32 s23, s22
	s_xor_b32 s22, exec_lo, s23
	s_cbranch_execz .LBB2_4403
; %bb.3905:                             ;   in Loop: Header=BB2_3840 Depth=3
	v_cmp_eq_u16_sdwa s76, v9, v98 src0_sel:BYTE_0 src1_sel:DWORD
	s_mov_b32 s17, -1
	s_and_saveexec_b32 s23, s76
; %bb.3906:                             ;   in Loop: Header=BB2_3840 Depth=3
	s_xor_b32 s17, exec_lo, -1
; %bb.3907:                             ;   in Loop: Header=BB2_3840 Depth=3
	s_or_b32 exec_lo, exec_lo, s23
	s_and_b32 s17, s17, exec_lo
	s_or_saveexec_b32 s22, s22
	v_mov_b32_e32 v8, 0x7f800001
	s_xor_b32 exec_lo, exec_lo, s22
	s_cbranch_execnz .LBB2_4404
.LBB2_3908:                             ;   in Loop: Header=BB2_3840 Depth=3
	s_or_b32 exec_lo, exec_lo, s22
	s_and_saveexec_b32 s22, s17
	s_cbranch_execz .LBB2_3910
.LBB2_3909:                             ;   in Loop: Header=BB2_3840 Depth=3
	v_and_b32_e32 v8, 3, v9
	v_bfe_u32 v78, v9, 2, 5
	v_lshlrev_b32_e32 v79, 24, v9
	v_ffbh_u32_e32 v75, v8
	v_cmp_eq_u32_e32 vcc_lo, 0, v78
	v_min_u32_e32 v75, 32, v75
	v_subrev_nc_u32_e32 v76, 29, v75
	v_sub_nc_u32_e32 v75, 30, v75
	v_lshlrev_b32_e32 v76, v76, v9
	v_cndmask_b32_e32 v75, v78, v75, vcc_lo
	v_and_b32_e32 v76, 3, v76
	v_lshl_add_u32 v75, v75, 23, 0x37800000
	v_cndmask_b32_e32 v8, v8, v76, vcc_lo
	v_and_b32_e32 v76, 0x80000000, v79
	v_lshlrev_b32_e32 v8, 21, v8
	v_or3_b32 v8, v76, v75, v8
.LBB2_3910:                             ;   in Loop: Header=BB2_3840 Depth=3
	s_or_b32 exec_lo, exec_lo, s22
	v_mul_f32_e32 v8, s18, v8
	v_mov_b32_e32 v94, 0x80
	s_mov_b32 s22, exec_lo
	v_and_b32_e32 v75, 0x7f800000, v8
	v_cmpx_ne_u32_e32 0x7f800000, v75
	s_cbranch_execz .LBB2_3918
; %bb.3911:                             ;   in Loop: Header=BB2_3840 Depth=3
	v_mov_b32_e32 v94, 0
	s_mov_b32 s23, exec_lo
	v_cmpx_ne_u32_e32 0, v8
	s_cbranch_execz .LBB2_3917
; %bb.3912:                             ;   in Loop: Header=BB2_3840 Depth=3
	v_bfe_u32 v75, v8, 23, 8
	v_and_b32_e32 v76, 0x7fffff, v8
	v_sub_nc_u32_e32 v78, 0x70, v75
	v_cmp_gt_u32_e32 vcc_lo, 0x71, v75
	v_or_b32_e32 v79, 0x800000, v76
	v_cndmask_b32_e32 v78, 0, v78, vcc_lo
	v_cmp_eq_u32_e32 vcc_lo, 0, v75
	v_add_nc_u32_e32 v75, 0xffffff91, v75
	v_cndmask_b32_e64 v78, v78, 0x6f, vcc_lo
	v_cndmask_b32_e32 v76, v79, v76, vcc_lo
	v_cndmask_b32_e64 v75, v75, 0xffffff92, vcc_lo
	v_lshl_add_u32 v79, 0x200000, v78, -1
	v_lshrrev_b32_e32 v88, v78, v76
	v_lshlrev_b32_e64 v91, v78, 0x100000
	v_add_nc_u32_e32 v78, v78, v75
	v_and_b32_e32 v76, v79, v76
	v_bfe_u32 v89, v88, 21, 1
	v_cmp_eq_u32_e64 s17, v76, v91
	v_add_nc_u32_e32 v79, -1, v89
	v_cndmask_b32_e64 v76, 0, v79, s17
	v_lshrrev_b32_e32 v79, 23, v88
	s_mov_b32 s17, exec_lo
	v_add_nc_u32_e32 v76, v76, v88
	v_xor_b32_e32 v79, 1, v79
	v_and_b32_e32 v75, 0x1fffff, v76
	v_add_nc_u32_e32 v76, v75, v88
                                        ; implicit-def: $vgpr75
	v_cmpx_ne_u32_e64 v78, v79
	s_xor_b32 s17, exec_lo, s17
; %bb.3913:                             ;   in Loop: Header=BB2_3840 Depth=3
	v_cmp_lt_u32_e32 vcc_lo, 0xffffff, v76
	v_sub_nc_u32_e32 v75, v78, v79
	v_cndmask_b32_e64 v78, 0, 1, vcc_lo
	v_add_co_ci_u32_e64 v75, null, 0, v75, vcc_lo
	v_lshrrev_b32_e32 v76, v78, v76
; %bb.3914:                             ;   in Loop: Header=BB2_3840 Depth=3
	s_andn2_saveexec_b32 s17, s17
; %bb.3915:                             ;   in Loop: Header=BB2_3840 Depth=3
	v_bfe_u32 v75, v76, 23, 1
; %bb.3916:                             ;   in Loop: Header=BB2_3840 Depth=3
	s_or_b32 exec_lo, exec_lo, s17
	v_lshrrev_b32_e32 v76, 21, v76
	v_min_i32_e32 v78, 31, v75
	v_cmp_gt_i32_e32 vcc_lo, 32, v75
	v_and_b32_sdwa v8, v8, v98 dst_sel:DWORD dst_unused:UNUSED_PAD src0_sel:BYTE_3 src1_sel:DWORD
	v_lshlrev_b32_e32 v78, 2, v78
	v_cndmask_b32_e32 v76, 3, v76, vcc_lo
	v_and_b32_e32 v78, 0xfc, v78
	v_and_b32_e32 v79, 3, v76
	v_or_b32_e32 v75, v75, v76
	v_or3_b32 v8, v78, v8, v79
	v_cmp_ne_u32_e32 vcc_lo, 0, v75
	v_cndmask_b32_e32 v94, 0, v8, vcc_lo
.LBB2_3917:                             ;   in Loop: Header=BB2_3840 Depth=3
	s_or_b32 exec_lo, exec_lo, s23
.LBB2_3918:                             ;   in Loop: Header=BB2_3840 Depth=3
	s_or_b32 exec_lo, exec_lo, s22
	v_cmp_gt_i16_sdwa s22, v9, v97 src0_sel:BYTE_1 src1_sel:DWORD
	s_mov_b32 s17, 0
	s_and_saveexec_b32 s23, s22
	s_xor_b32 s22, exec_lo, s23
	s_cbranch_execz .LBB2_4405
; %bb.3919:                             ;   in Loop: Header=BB2_3840 Depth=3
	v_cmp_eq_u16_sdwa s76, v9, v98 src0_sel:BYTE_1 src1_sel:DWORD
	s_mov_b32 s17, -1
	s_and_saveexec_b32 s23, s76
; %bb.3920:                             ;   in Loop: Header=BB2_3840 Depth=3
	s_xor_b32 s17, exec_lo, -1
; %bb.3921:                             ;   in Loop: Header=BB2_3840 Depth=3
	s_or_b32 exec_lo, exec_lo, s23
	s_and_b32 s17, s17, exec_lo
	s_or_saveexec_b32 s22, s22
	v_mov_b32_e32 v8, 0x7f800001
	s_xor_b32 exec_lo, exec_lo, s22
	s_cbranch_execnz .LBB2_4406
.LBB2_3922:                             ;   in Loop: Header=BB2_3840 Depth=3
	s_or_b32 exec_lo, exec_lo, s22
	s_and_saveexec_b32 s22, s17
	s_cbranch_execz .LBB2_3924
.LBB2_3923:                             ;   in Loop: Header=BB2_3840 Depth=3
	v_and_b32_sdwa v8, v99, v9 dst_sel:DWORD dst_unused:UNUSED_PAD src0_sel:DWORD src1_sel:BYTE_1
	v_and_b32_e32 v75, 3, v8
	v_bfe_u32 v79, v8, 2, 5
	v_ffbh_u32_e32 v76, v75
	v_cmp_eq_u32_e32 vcc_lo, 0, v79
	v_min_u32_e32 v76, 32, v76
	v_subrev_nc_u32_e32 v78, 29, v76
	v_sub_nc_u32_e32 v76, 30, v76
	v_lshlrev_b32_e32 v8, v78, v8
	v_lshlrev_b32_sdwa v78, v100, v9 dst_sel:DWORD dst_unused:UNUSED_PAD src0_sel:DWORD src1_sel:BYTE_1
	v_cndmask_b32_e32 v76, v79, v76, vcc_lo
	v_and_b32_e32 v8, 3, v8
	v_lshl_add_u32 v76, v76, 23, 0x37800000
	v_cndmask_b32_e32 v8, v75, v8, vcc_lo
	v_and_b32_e32 v75, 0x80000000, v78
	v_lshlrev_b32_e32 v8, 21, v8
	v_or3_b32 v8, v75, v76, v8
.LBB2_3924:                             ;   in Loop: Header=BB2_3840 Depth=3
	s_or_b32 exec_lo, exec_lo, s22
	v_mul_f32_e32 v8, s18, v8
	v_mov_b32_e32 v104, 0x8000
	s_mov_b32 s22, exec_lo
	v_and_b32_e32 v75, 0x7f800000, v8
	v_cmpx_ne_u32_e32 0x7f800000, v75
	s_cbranch_execz .LBB2_3932
; %bb.3925:                             ;   in Loop: Header=BB2_3840 Depth=3
	v_mov_b32_e32 v104, 0
	s_mov_b32 s23, exec_lo
	v_cmpx_ne_u32_e32 0, v8
	s_cbranch_execz .LBB2_3931
; %bb.3926:                             ;   in Loop: Header=BB2_3840 Depth=3
	v_bfe_u32 v75, v8, 23, 8
	v_and_b32_e32 v76, 0x7fffff, v8
	v_sub_nc_u32_e32 v78, 0x70, v75
	v_cmp_gt_u32_e32 vcc_lo, 0x71, v75
	v_or_b32_e32 v79, 0x800000, v76
	v_cndmask_b32_e32 v78, 0, v78, vcc_lo
	v_cmp_eq_u32_e32 vcc_lo, 0, v75
	v_add_nc_u32_e32 v75, 0xffffff91, v75
	v_cndmask_b32_e64 v78, v78, 0x6f, vcc_lo
	v_cndmask_b32_e32 v76, v79, v76, vcc_lo
	v_cndmask_b32_e64 v75, v75, 0xffffff92, vcc_lo
	v_lshl_add_u32 v79, 0x200000, v78, -1
	v_lshrrev_b32_e32 v88, v78, v76
	v_lshlrev_b32_e64 v91, v78, 0x100000
	v_add_nc_u32_e32 v78, v78, v75
	v_and_b32_e32 v76, v79, v76
	v_bfe_u32 v89, v88, 21, 1
	v_cmp_eq_u32_e64 s17, v76, v91
	v_add_nc_u32_e32 v79, -1, v89
	v_cndmask_b32_e64 v76, 0, v79, s17
	v_lshrrev_b32_e32 v79, 23, v88
	s_mov_b32 s17, exec_lo
	v_add_nc_u32_e32 v76, v76, v88
	v_xor_b32_e32 v79, 1, v79
	v_and_b32_e32 v75, 0x1fffff, v76
	v_add_nc_u32_e32 v76, v75, v88
                                        ; implicit-def: $vgpr75
	v_cmpx_ne_u32_e64 v78, v79
	s_xor_b32 s17, exec_lo, s17
; %bb.3927:                             ;   in Loop: Header=BB2_3840 Depth=3
	v_cmp_lt_u32_e32 vcc_lo, 0xffffff, v76
	v_sub_nc_u32_e32 v75, v78, v79
	v_cndmask_b32_e64 v78, 0, 1, vcc_lo
	v_add_co_ci_u32_e64 v75, null, 0, v75, vcc_lo
	v_lshrrev_b32_e32 v76, v78, v76
; %bb.3928:                             ;   in Loop: Header=BB2_3840 Depth=3
	s_andn2_saveexec_b32 s17, s17
; %bb.3929:                             ;   in Loop: Header=BB2_3840 Depth=3
	v_bfe_u32 v75, v76, 23, 1
; %bb.3930:                             ;   in Loop: Header=BB2_3840 Depth=3
	s_or_b32 exec_lo, exec_lo, s17
	v_lshrrev_b32_e32 v76, 21, v76
	v_min_i32_e32 v78, 31, v75
	v_cmp_gt_i32_e32 vcc_lo, 32, v75
	v_and_b32_sdwa v8, v8, v98 dst_sel:DWORD dst_unused:UNUSED_PAD src0_sel:BYTE_3 src1_sel:DWORD
	v_lshlrev_b32_e32 v78, 2, v78
	v_cndmask_b32_e32 v76, 3, v76, vcc_lo
	v_and_b32_e32 v78, 0xfc, v78
	v_and_b32_e32 v79, 3, v76
	v_or_b32_e32 v75, v75, v76
	v_or3_b32 v8, v8, v78, v79
	v_cmp_ne_u32_e32 vcc_lo, 0, v75
	v_lshlrev_b32_e32 v8, 8, v8
	v_cndmask_b32_e32 v104, 0, v8, vcc_lo
.LBB2_3931:                             ;   in Loop: Header=BB2_3840 Depth=3
	s_or_b32 exec_lo, exec_lo, s23
.LBB2_3932:                             ;   in Loop: Header=BB2_3840 Depth=3
	s_or_b32 exec_lo, exec_lo, s22
	v_and_b32_sdwa v75, v9, v101 dst_sel:DWORD dst_unused:UNUSED_PAD src0_sel:WORD_1 src1_sel:DWORD
	s_mov_b32 s17, 0
	s_mov_b32 s22, exec_lo
	v_cmpx_lt_i16_e32 0x7f, v75
	s_xor_b32 s22, exec_lo, s22
	s_cbranch_execz .LBB2_4407
; %bb.3933:                             ;   in Loop: Header=BB2_3840 Depth=3
	s_mov_b32 s17, -1
	s_mov_b32 s23, exec_lo
	v_cmpx_eq_u16_e32 0x80, v75
; %bb.3934:                             ;   in Loop: Header=BB2_3840 Depth=3
	s_xor_b32 s17, exec_lo, -1
; %bb.3935:                             ;   in Loop: Header=BB2_3840 Depth=3
	s_or_b32 exec_lo, exec_lo, s23
	s_and_b32 s17, s17, exec_lo
                                        ; implicit-def: $vgpr75
	s_or_saveexec_b32 s22, s22
	v_mov_b32_e32 v8, 0x7f800001
	s_xor_b32 exec_lo, exec_lo, s22
	s_cbranch_execnz .LBB2_4408
.LBB2_3936:                             ;   in Loop: Header=BB2_3840 Depth=3
	s_or_b32 exec_lo, exec_lo, s22
	s_and_saveexec_b32 s22, s17
	s_cbranch_execz .LBB2_3938
.LBB2_3937:                             ;   in Loop: Header=BB2_3840 Depth=3
	v_bfe_u32 v8, v9, 16, 2
	v_bfe_u32 v78, v9, 18, 5
	v_lshlrev_b32_e32 v79, 8, v9
	v_ffbh_u32_e32 v75, v8
	v_cmp_eq_u32_e32 vcc_lo, 0, v78
	v_min_u32_e32 v75, 32, v75
	v_subrev_nc_u32_e32 v76, 29, v75
	v_sub_nc_u32_e32 v75, 30, v75
	v_lshlrev_b32_sdwa v76, v76, v9 dst_sel:DWORD dst_unused:UNUSED_PAD src0_sel:DWORD src1_sel:WORD_1
	v_cndmask_b32_e32 v75, v78, v75, vcc_lo
	v_and_b32_e32 v76, 3, v76
	v_lshl_add_u32 v75, v75, 23, 0x37800000
	v_cndmask_b32_e32 v8, v8, v76, vcc_lo
	v_and_b32_e32 v76, 0x80000000, v79
	v_lshlrev_b32_e32 v8, 21, v8
	v_or3_b32 v8, v76, v75, v8
.LBB2_3938:                             ;   in Loop: Header=BB2_3840 Depth=3
	s_or_b32 exec_lo, exec_lo, s22
	v_mul_f32_e32 v8, s18, v8
	v_mov_b32_e32 v92, 0x80
	s_mov_b32 s22, exec_lo
	v_and_b32_e32 v75, 0x7f800000, v8
	v_cmpx_ne_u32_e32 0x7f800000, v75
	s_cbranch_execz .LBB2_3946
; %bb.3939:                             ;   in Loop: Header=BB2_3840 Depth=3
	v_mov_b32_e32 v92, 0
	s_mov_b32 s23, exec_lo
	v_cmpx_ne_u32_e32 0, v8
	s_cbranch_execz .LBB2_3945
; %bb.3940:                             ;   in Loop: Header=BB2_3840 Depth=3
	v_bfe_u32 v75, v8, 23, 8
	v_and_b32_e32 v76, 0x7fffff, v8
	v_sub_nc_u32_e32 v78, 0x70, v75
	v_cmp_gt_u32_e32 vcc_lo, 0x71, v75
	v_or_b32_e32 v79, 0x800000, v76
	v_cndmask_b32_e32 v78, 0, v78, vcc_lo
	v_cmp_eq_u32_e32 vcc_lo, 0, v75
	v_add_nc_u32_e32 v75, 0xffffff91, v75
	v_cndmask_b32_e64 v78, v78, 0x6f, vcc_lo
	v_cndmask_b32_e32 v76, v79, v76, vcc_lo
	v_cndmask_b32_e64 v75, v75, 0xffffff92, vcc_lo
	v_lshl_add_u32 v79, 0x200000, v78, -1
	v_lshrrev_b32_e32 v88, v78, v76
	v_lshlrev_b32_e64 v91, v78, 0x100000
	v_add_nc_u32_e32 v78, v78, v75
	v_and_b32_e32 v76, v79, v76
	v_bfe_u32 v89, v88, 21, 1
	v_cmp_eq_u32_e64 s17, v76, v91
	v_add_nc_u32_e32 v79, -1, v89
	v_cndmask_b32_e64 v76, 0, v79, s17
	v_lshrrev_b32_e32 v79, 23, v88
	s_mov_b32 s17, exec_lo
	v_add_nc_u32_e32 v76, v76, v88
	v_xor_b32_e32 v79, 1, v79
	v_and_b32_e32 v75, 0x1fffff, v76
	v_add_nc_u32_e32 v76, v75, v88
                                        ; implicit-def: $vgpr75
	v_cmpx_ne_u32_e64 v78, v79
	s_xor_b32 s17, exec_lo, s17
; %bb.3941:                             ;   in Loop: Header=BB2_3840 Depth=3
	v_cmp_lt_u32_e32 vcc_lo, 0xffffff, v76
	v_sub_nc_u32_e32 v75, v78, v79
	v_cndmask_b32_e64 v78, 0, 1, vcc_lo
	v_add_co_ci_u32_e64 v75, null, 0, v75, vcc_lo
	v_lshrrev_b32_e32 v76, v78, v76
; %bb.3942:                             ;   in Loop: Header=BB2_3840 Depth=3
	s_andn2_saveexec_b32 s17, s17
; %bb.3943:                             ;   in Loop: Header=BB2_3840 Depth=3
	v_bfe_u32 v75, v76, 23, 1
; %bb.3944:                             ;   in Loop: Header=BB2_3840 Depth=3
	s_or_b32 exec_lo, exec_lo, s17
	v_lshrrev_b32_e32 v76, 21, v76
	v_min_i32_e32 v78, 31, v75
	v_cmp_gt_i32_e32 vcc_lo, 32, v75
	v_and_b32_sdwa v8, v8, v98 dst_sel:DWORD dst_unused:UNUSED_PAD src0_sel:BYTE_3 src1_sel:DWORD
	v_lshlrev_b32_e32 v78, 2, v78
	v_cndmask_b32_e32 v76, 3, v76, vcc_lo
	v_and_b32_e32 v78, 0xfc, v78
	v_and_b32_e32 v79, 3, v76
	v_or_b32_e32 v75, v75, v76
	v_or3_b32 v8, v78, v8, v79
	v_cmp_ne_u32_e32 vcc_lo, 0, v75
	v_cndmask_b32_e32 v92, 0, v8, vcc_lo
.LBB2_3945:                             ;   in Loop: Header=BB2_3840 Depth=3
	s_or_b32 exec_lo, exec_lo, s23
.LBB2_3946:                             ;   in Loop: Header=BB2_3840 Depth=3
	s_or_b32 exec_lo, exec_lo, s22
	v_cmp_gt_i16_sdwa s22, v9, v97 src0_sel:BYTE_3 src1_sel:DWORD
	s_mov_b32 s17, 0
	s_and_saveexec_b32 s23, s22
	s_xor_b32 s22, exec_lo, s23
	s_cbranch_execz .LBB2_4409
; %bb.3947:                             ;   in Loop: Header=BB2_3840 Depth=3
	v_cmp_eq_u16_sdwa s76, v9, v98 src0_sel:BYTE_3 src1_sel:DWORD
	s_mov_b32 s17, -1
	s_and_saveexec_b32 s23, s76
; %bb.3948:                             ;   in Loop: Header=BB2_3840 Depth=3
	s_xor_b32 s17, exec_lo, -1
; %bb.3949:                             ;   in Loop: Header=BB2_3840 Depth=3
	s_or_b32 exec_lo, exec_lo, s23
	s_and_b32 s17, s17, exec_lo
	s_or_saveexec_b32 s22, s22
	v_mov_b32_e32 v8, 0x7f800001
	s_xor_b32 exec_lo, exec_lo, s22
	s_cbranch_execnz .LBB2_4410
.LBB2_3950:                             ;   in Loop: Header=BB2_3840 Depth=3
	s_or_b32 exec_lo, exec_lo, s22
	s_and_saveexec_b32 s22, s17
	s_cbranch_execz .LBB2_3952
.LBB2_3951:                             ;   in Loop: Header=BB2_3840 Depth=3
	v_bfe_u32 v8, v9, 24, 2
	v_bfe_u32 v78, v9, 26, 5
	v_ffbh_u32_e32 v75, v8
	v_cmp_eq_u32_e32 vcc_lo, 0, v78
	v_min_u32_e32 v75, 32, v75
	v_subrev_nc_u32_e32 v76, 29, v75
	v_sub_nc_u32_e32 v75, 30, v75
	v_lshlrev_b32_sdwa v76, v76, v9 dst_sel:DWORD dst_unused:UNUSED_PAD src0_sel:DWORD src1_sel:BYTE_3
	v_cndmask_b32_e32 v75, v78, v75, vcc_lo
	v_and_b32_e32 v9, 0x80000000, v9
	v_and_b32_e32 v76, 3, v76
	v_lshl_add_u32 v75, v75, 23, 0x37800000
	v_cndmask_b32_e32 v8, v8, v76, vcc_lo
	v_lshlrev_b32_e32 v8, 21, v8
	v_or3_b32 v8, v9, v75, v8
.LBB2_3952:                             ;   in Loop: Header=BB2_3840 Depth=3
	s_or_b32 exec_lo, exec_lo, s22
	v_mul_f32_e32 v8, s18, v8
	v_mov_b32_e32 v95, 0x8000
	s_mov_b32 s22, exec_lo
	v_and_b32_e32 v9, 0x7f800000, v8
	v_cmpx_ne_u32_e32 0x7f800000, v9
	s_cbranch_execz .LBB2_3960
; %bb.3953:                             ;   in Loop: Header=BB2_3840 Depth=3
	v_mov_b32_e32 v95, 0
	s_mov_b32 s23, exec_lo
	v_cmpx_ne_u32_e32 0, v8
	s_cbranch_execz .LBB2_3959
; %bb.3954:                             ;   in Loop: Header=BB2_3840 Depth=3
	v_bfe_u32 v9, v8, 23, 8
	v_and_b32_e32 v75, 0x7fffff, v8
	v_sub_nc_u32_e32 v76, 0x70, v9
	v_cmp_gt_u32_e32 vcc_lo, 0x71, v9
	v_or_b32_e32 v78, 0x800000, v75
	v_cndmask_b32_e32 v76, 0, v76, vcc_lo
	v_cmp_eq_u32_e32 vcc_lo, 0, v9
	v_add_nc_u32_e32 v9, 0xffffff91, v9
	v_cndmask_b32_e64 v76, v76, 0x6f, vcc_lo
	v_cndmask_b32_e32 v75, v78, v75, vcc_lo
	v_cndmask_b32_e64 v9, v9, 0xffffff92, vcc_lo
	v_lshl_add_u32 v78, 0x200000, v76, -1
	v_lshrrev_b32_e32 v79, v76, v75
	v_lshlrev_b32_e64 v89, v76, 0x100000
	v_add_nc_u32_e32 v76, v76, v9
	v_and_b32_e32 v75, v78, v75
	v_bfe_u32 v88, v79, 21, 1
	v_cmp_eq_u32_e64 s17, v75, v89
	v_add_nc_u32_e32 v78, -1, v88
	v_cndmask_b32_e64 v75, 0, v78, s17
	v_lshrrev_b32_e32 v78, 23, v79
	s_mov_b32 s17, exec_lo
	v_add_nc_u32_e32 v75, v75, v79
	v_xor_b32_e32 v78, 1, v78
	v_and_b32_e32 v9, 0x1fffff, v75
	v_add_nc_u32_e32 v75, v9, v79
                                        ; implicit-def: $vgpr9
	v_cmpx_ne_u32_e64 v76, v78
	s_xor_b32 s17, exec_lo, s17
; %bb.3955:                             ;   in Loop: Header=BB2_3840 Depth=3
	v_cmp_lt_u32_e32 vcc_lo, 0xffffff, v75
	v_sub_nc_u32_e32 v9, v76, v78
	v_cndmask_b32_e64 v76, 0, 1, vcc_lo
	v_add_co_ci_u32_e64 v9, null, 0, v9, vcc_lo
	v_lshrrev_b32_e32 v75, v76, v75
; %bb.3956:                             ;   in Loop: Header=BB2_3840 Depth=3
	s_andn2_saveexec_b32 s17, s17
; %bb.3957:                             ;   in Loop: Header=BB2_3840 Depth=3
	v_bfe_u32 v9, v75, 23, 1
; %bb.3958:                             ;   in Loop: Header=BB2_3840 Depth=3
	s_or_b32 exec_lo, exec_lo, s17
	v_lshrrev_b32_e32 v75, 21, v75
	v_min_i32_e32 v76, 31, v9
	v_cmp_gt_i32_e32 vcc_lo, 32, v9
	v_and_b32_sdwa v8, v8, v98 dst_sel:DWORD dst_unused:UNUSED_PAD src0_sel:BYTE_3 src1_sel:DWORD
	v_lshlrev_b32_e32 v76, 2, v76
	v_cndmask_b32_e32 v75, 3, v75, vcc_lo
	v_and_b32_e32 v76, 0xfc, v76
	v_and_b32_e32 v78, 3, v75
	v_or_b32_e32 v9, v9, v75
	v_or3_b32 v8, v8, v76, v78
	v_cmp_ne_u32_e32 vcc_lo, 0, v9
	v_lshlrev_b32_e32 v8, 8, v8
	v_cndmask_b32_e32 v95, 0, v8, vcc_lo
.LBB2_3959:                             ;   in Loop: Header=BB2_3840 Depth=3
	s_or_b32 exec_lo, exec_lo, s23
.LBB2_3960:                             ;   in Loop: Header=BB2_3840 Depth=3
	s_or_b32 exec_lo, exec_lo, s22
	v_cmp_gt_i16_sdwa s22, v10, v97 src0_sel:BYTE_0 src1_sel:DWORD
	s_mov_b32 s17, 0
	s_and_saveexec_b32 s23, s22
	s_xor_b32 s22, exec_lo, s23
	s_cbranch_execz .LBB2_4411
; %bb.3961:                             ;   in Loop: Header=BB2_3840 Depth=3
	v_cmp_eq_u16_sdwa s76, v10, v98 src0_sel:BYTE_0 src1_sel:DWORD
	s_mov_b32 s17, -1
	s_and_saveexec_b32 s23, s76
; %bb.3962:                             ;   in Loop: Header=BB2_3840 Depth=3
	s_xor_b32 s17, exec_lo, -1
; %bb.3963:                             ;   in Loop: Header=BB2_3840 Depth=3
	s_or_b32 exec_lo, exec_lo, s23
	s_and_b32 s17, s17, exec_lo
	s_or_saveexec_b32 s22, s22
	v_mov_b32_e32 v8, 0x7f800001
	s_xor_b32 exec_lo, exec_lo, s22
	s_cbranch_execnz .LBB2_4412
.LBB2_3964:                             ;   in Loop: Header=BB2_3840 Depth=3
	s_or_b32 exec_lo, exec_lo, s22
	s_and_saveexec_b32 s22, s17
	s_cbranch_execz .LBB2_3966
.LBB2_3965:                             ;   in Loop: Header=BB2_3840 Depth=3
	v_and_b32_e32 v8, 3, v10
	v_bfe_u32 v76, v10, 2, 5
	v_lshlrev_b32_e32 v78, 24, v10
	v_ffbh_u32_e32 v9, v8
	v_cmp_eq_u32_e32 vcc_lo, 0, v76
	v_min_u32_e32 v9, 32, v9
	v_subrev_nc_u32_e32 v75, 29, v9
	v_sub_nc_u32_e32 v9, 30, v9
	v_lshlrev_b32_e32 v75, v75, v10
	v_cndmask_b32_e32 v9, v76, v9, vcc_lo
	v_and_b32_e32 v75, 3, v75
	v_lshl_add_u32 v9, v9, 23, 0x37800000
	v_cndmask_b32_e32 v8, v8, v75, vcc_lo
	v_and_b32_e32 v75, 0x80000000, v78
	v_lshlrev_b32_e32 v8, 21, v8
	v_or3_b32 v8, v75, v9, v8
.LBB2_3966:                             ;   in Loop: Header=BB2_3840 Depth=3
	s_or_b32 exec_lo, exec_lo, s22
	v_mul_f32_e32 v8, s18, v8
	v_mov_b32_e32 v89, 0x80
	s_mov_b32 s22, exec_lo
	v_and_b32_e32 v9, 0x7f800000, v8
	v_cmpx_ne_u32_e32 0x7f800000, v9
	s_cbranch_execz .LBB2_3974
; %bb.3967:                             ;   in Loop: Header=BB2_3840 Depth=3
	v_mov_b32_e32 v89, 0
	s_mov_b32 s23, exec_lo
	v_cmpx_ne_u32_e32 0, v8
	s_cbranch_execz .LBB2_3973
; %bb.3968:                             ;   in Loop: Header=BB2_3840 Depth=3
	v_bfe_u32 v9, v8, 23, 8
	v_and_b32_e32 v75, 0x7fffff, v8
	v_sub_nc_u32_e32 v76, 0x70, v9
	v_cmp_gt_u32_e32 vcc_lo, 0x71, v9
	v_or_b32_e32 v78, 0x800000, v75
	v_cndmask_b32_e32 v76, 0, v76, vcc_lo
	v_cmp_eq_u32_e32 vcc_lo, 0, v9
	v_add_nc_u32_e32 v9, 0xffffff91, v9
	v_cndmask_b32_e64 v76, v76, 0x6f, vcc_lo
	v_cndmask_b32_e32 v75, v78, v75, vcc_lo
	v_cndmask_b32_e64 v9, v9, 0xffffff92, vcc_lo
	v_lshl_add_u32 v78, 0x200000, v76, -1
	v_lshrrev_b32_e32 v79, v76, v75
	v_lshlrev_b32_e64 v89, v76, 0x100000
	v_add_nc_u32_e32 v76, v76, v9
	v_and_b32_e32 v75, v78, v75
	v_bfe_u32 v88, v79, 21, 1
	v_cmp_eq_u32_e64 s17, v75, v89
	v_add_nc_u32_e32 v78, -1, v88
	v_cndmask_b32_e64 v75, 0, v78, s17
	v_lshrrev_b32_e32 v78, 23, v79
	s_mov_b32 s17, exec_lo
	v_add_nc_u32_e32 v75, v75, v79
	v_xor_b32_e32 v78, 1, v78
	v_and_b32_e32 v9, 0x1fffff, v75
	v_add_nc_u32_e32 v75, v9, v79
                                        ; implicit-def: $vgpr9
	v_cmpx_ne_u32_e64 v76, v78
	s_xor_b32 s17, exec_lo, s17
; %bb.3969:                             ;   in Loop: Header=BB2_3840 Depth=3
	v_cmp_lt_u32_e32 vcc_lo, 0xffffff, v75
	v_sub_nc_u32_e32 v9, v76, v78
	v_cndmask_b32_e64 v76, 0, 1, vcc_lo
	v_add_co_ci_u32_e64 v9, null, 0, v9, vcc_lo
	v_lshrrev_b32_e32 v75, v76, v75
; %bb.3970:                             ;   in Loop: Header=BB2_3840 Depth=3
	s_andn2_saveexec_b32 s17, s17
; %bb.3971:                             ;   in Loop: Header=BB2_3840 Depth=3
	v_bfe_u32 v9, v75, 23, 1
; %bb.3972:                             ;   in Loop: Header=BB2_3840 Depth=3
	s_or_b32 exec_lo, exec_lo, s17
	v_lshrrev_b32_e32 v75, 21, v75
	v_min_i32_e32 v76, 31, v9
	v_cmp_gt_i32_e32 vcc_lo, 32, v9
	v_and_b32_sdwa v8, v8, v98 dst_sel:DWORD dst_unused:UNUSED_PAD src0_sel:BYTE_3 src1_sel:DWORD
	v_lshlrev_b32_e32 v76, 2, v76
	v_cndmask_b32_e32 v75, 3, v75, vcc_lo
	v_and_b32_e32 v76, 0xfc, v76
	v_and_b32_e32 v78, 3, v75
	v_or_b32_e32 v9, v9, v75
	v_or3_b32 v8, v76, v8, v78
	v_cmp_ne_u32_e32 vcc_lo, 0, v9
	v_cndmask_b32_e32 v89, 0, v8, vcc_lo
.LBB2_3973:                             ;   in Loop: Header=BB2_3840 Depth=3
	s_or_b32 exec_lo, exec_lo, s23
.LBB2_3974:                             ;   in Loop: Header=BB2_3840 Depth=3
	s_or_b32 exec_lo, exec_lo, s22
	v_cmp_gt_i16_sdwa s22, v10, v97 src0_sel:BYTE_1 src1_sel:DWORD
	s_mov_b32 s17, 0
	s_and_saveexec_b32 s23, s22
	s_xor_b32 s22, exec_lo, s23
	s_cbranch_execz .LBB2_4413
; %bb.3975:                             ;   in Loop: Header=BB2_3840 Depth=3
	v_cmp_eq_u16_sdwa s76, v10, v98 src0_sel:BYTE_1 src1_sel:DWORD
	s_mov_b32 s17, -1
	s_and_saveexec_b32 s23, s76
; %bb.3976:                             ;   in Loop: Header=BB2_3840 Depth=3
	s_xor_b32 s17, exec_lo, -1
; %bb.3977:                             ;   in Loop: Header=BB2_3840 Depth=3
	s_or_b32 exec_lo, exec_lo, s23
	s_and_b32 s17, s17, exec_lo
	s_or_saveexec_b32 s22, s22
	v_mov_b32_e32 v8, 0x7f800001
	s_xor_b32 exec_lo, exec_lo, s22
	s_cbranch_execnz .LBB2_4414
.LBB2_3978:                             ;   in Loop: Header=BB2_3840 Depth=3
	s_or_b32 exec_lo, exec_lo, s22
	s_and_saveexec_b32 s22, s17
	s_cbranch_execz .LBB2_3980
.LBB2_3979:                             ;   in Loop: Header=BB2_3840 Depth=3
	v_and_b32_sdwa v8, v99, v10 dst_sel:DWORD dst_unused:UNUSED_PAD src0_sel:DWORD src1_sel:BYTE_1
	v_and_b32_e32 v9, 3, v8
	v_bfe_u32 v78, v8, 2, 5
	v_ffbh_u32_e32 v75, v9
	v_cmp_eq_u32_e32 vcc_lo, 0, v78
	v_min_u32_e32 v75, 32, v75
	v_subrev_nc_u32_e32 v76, 29, v75
	v_sub_nc_u32_e32 v75, 30, v75
	v_lshlrev_b32_e32 v8, v76, v8
	v_lshlrev_b32_sdwa v76, v100, v10 dst_sel:DWORD dst_unused:UNUSED_PAD src0_sel:DWORD src1_sel:BYTE_1
	v_cndmask_b32_e32 v75, v78, v75, vcc_lo
	v_and_b32_e32 v8, 3, v8
	v_lshl_add_u32 v75, v75, 23, 0x37800000
	v_cndmask_b32_e32 v8, v9, v8, vcc_lo
	v_and_b32_e32 v9, 0x80000000, v76
	v_lshlrev_b32_e32 v8, 21, v8
	v_or3_b32 v8, v9, v75, v8
.LBB2_3980:                             ;   in Loop: Header=BB2_3840 Depth=3
	s_or_b32 exec_lo, exec_lo, s22
	v_mul_f32_e32 v8, s18, v8
	v_mov_b32_e32 v93, 0x8000
	s_mov_b32 s22, exec_lo
	v_and_b32_e32 v9, 0x7f800000, v8
	v_cmpx_ne_u32_e32 0x7f800000, v9
	s_cbranch_execz .LBB2_3988
; %bb.3981:                             ;   in Loop: Header=BB2_3840 Depth=3
	v_mov_b32_e32 v93, 0
	s_mov_b32 s23, exec_lo
	v_cmpx_ne_u32_e32 0, v8
	s_cbranch_execz .LBB2_3987
; %bb.3982:                             ;   in Loop: Header=BB2_3840 Depth=3
	v_bfe_u32 v9, v8, 23, 8
	v_and_b32_e32 v75, 0x7fffff, v8
	v_sub_nc_u32_e32 v76, 0x70, v9
	v_cmp_gt_u32_e32 vcc_lo, 0x71, v9
	v_or_b32_e32 v78, 0x800000, v75
	v_cndmask_b32_e32 v76, 0, v76, vcc_lo
	v_cmp_eq_u32_e32 vcc_lo, 0, v9
	v_add_nc_u32_e32 v9, 0xffffff91, v9
	v_cndmask_b32_e64 v76, v76, 0x6f, vcc_lo
	v_cndmask_b32_e32 v75, v78, v75, vcc_lo
	v_cndmask_b32_e64 v9, v9, 0xffffff92, vcc_lo
	v_lshl_add_u32 v78, 0x200000, v76, -1
	v_lshrrev_b32_e32 v79, v76, v75
	v_lshlrev_b32_e64 v91, v76, 0x100000
	v_add_nc_u32_e32 v76, v76, v9
	v_and_b32_e32 v75, v78, v75
	v_bfe_u32 v88, v79, 21, 1
	v_cmp_eq_u32_e64 s17, v75, v91
	v_add_nc_u32_e32 v78, -1, v88
	v_cndmask_b32_e64 v75, 0, v78, s17
	v_lshrrev_b32_e32 v78, 23, v79
	s_mov_b32 s17, exec_lo
	v_add_nc_u32_e32 v75, v75, v79
	v_xor_b32_e32 v78, 1, v78
	v_and_b32_e32 v9, 0x1fffff, v75
	v_add_nc_u32_e32 v75, v9, v79
                                        ; implicit-def: $vgpr9
	v_cmpx_ne_u32_e64 v76, v78
	s_xor_b32 s17, exec_lo, s17
; %bb.3983:                             ;   in Loop: Header=BB2_3840 Depth=3
	v_cmp_lt_u32_e32 vcc_lo, 0xffffff, v75
	v_sub_nc_u32_e32 v9, v76, v78
	v_cndmask_b32_e64 v76, 0, 1, vcc_lo
	v_add_co_ci_u32_e64 v9, null, 0, v9, vcc_lo
	v_lshrrev_b32_e32 v75, v76, v75
; %bb.3984:                             ;   in Loop: Header=BB2_3840 Depth=3
	s_andn2_saveexec_b32 s17, s17
; %bb.3985:                             ;   in Loop: Header=BB2_3840 Depth=3
	v_bfe_u32 v9, v75, 23, 1
; %bb.3986:                             ;   in Loop: Header=BB2_3840 Depth=3
	s_or_b32 exec_lo, exec_lo, s17
	v_lshrrev_b32_e32 v75, 21, v75
	v_min_i32_e32 v76, 31, v9
	v_cmp_gt_i32_e32 vcc_lo, 32, v9
	v_and_b32_sdwa v8, v8, v98 dst_sel:DWORD dst_unused:UNUSED_PAD src0_sel:BYTE_3 src1_sel:DWORD
	v_lshlrev_b32_e32 v76, 2, v76
	v_cndmask_b32_e32 v75, 3, v75, vcc_lo
	v_and_b32_e32 v76, 0xfc, v76
	v_and_b32_e32 v78, 3, v75
	v_or_b32_e32 v9, v9, v75
	v_or3_b32 v8, v8, v76, v78
	v_cmp_ne_u32_e32 vcc_lo, 0, v9
	v_lshlrev_b32_e32 v8, 8, v8
	v_cndmask_b32_e32 v93, 0, v8, vcc_lo
.LBB2_3987:                             ;   in Loop: Header=BB2_3840 Depth=3
	s_or_b32 exec_lo, exec_lo, s23
.LBB2_3988:                             ;   in Loop: Header=BB2_3840 Depth=3
	s_or_b32 exec_lo, exec_lo, s22
	v_and_b32_sdwa v9, v10, v101 dst_sel:DWORD dst_unused:UNUSED_PAD src0_sel:WORD_1 src1_sel:DWORD
	s_mov_b32 s17, 0
	s_mov_b32 s22, exec_lo
	v_cmpx_lt_i16_e32 0x7f, v9
	s_xor_b32 s22, exec_lo, s22
	s_cbranch_execz .LBB2_4415
; %bb.3989:                             ;   in Loop: Header=BB2_3840 Depth=3
	s_mov_b32 s17, -1
	s_mov_b32 s23, exec_lo
	v_cmpx_eq_u16_e32 0x80, v9
; %bb.3990:                             ;   in Loop: Header=BB2_3840 Depth=3
	s_xor_b32 s17, exec_lo, -1
; %bb.3991:                             ;   in Loop: Header=BB2_3840 Depth=3
	s_or_b32 exec_lo, exec_lo, s23
	s_and_b32 s17, s17, exec_lo
                                        ; implicit-def: $vgpr9
	s_or_saveexec_b32 s22, s22
	v_mov_b32_e32 v8, 0x7f800001
	s_xor_b32 exec_lo, exec_lo, s22
	s_cbranch_execnz .LBB2_4416
.LBB2_3992:                             ;   in Loop: Header=BB2_3840 Depth=3
	s_or_b32 exec_lo, exec_lo, s22
	s_and_saveexec_b32 s22, s17
	s_cbranch_execz .LBB2_3994
.LBB2_3993:                             ;   in Loop: Header=BB2_3840 Depth=3
	v_bfe_u32 v8, v10, 16, 2
	v_bfe_u32 v76, v10, 18, 5
	v_lshlrev_b32_e32 v78, 8, v10
	v_ffbh_u32_e32 v9, v8
	v_cmp_eq_u32_e32 vcc_lo, 0, v76
	v_min_u32_e32 v9, 32, v9
	v_subrev_nc_u32_e32 v75, 29, v9
	v_sub_nc_u32_e32 v9, 30, v9
	v_lshlrev_b32_sdwa v75, v75, v10 dst_sel:DWORD dst_unused:UNUSED_PAD src0_sel:DWORD src1_sel:WORD_1
	v_cndmask_b32_e32 v9, v76, v9, vcc_lo
	v_and_b32_e32 v75, 3, v75
	v_lshl_add_u32 v9, v9, 23, 0x37800000
	v_cndmask_b32_e32 v8, v8, v75, vcc_lo
	v_and_b32_e32 v75, 0x80000000, v78
	v_lshlrev_b32_e32 v8, 21, v8
	v_or3_b32 v8, v75, v9, v8
.LBB2_3994:                             ;   in Loop: Header=BB2_3840 Depth=3
	s_or_b32 exec_lo, exec_lo, s22
	v_mul_f32_e32 v8, s18, v8
	v_mov_b32_e32 v79, 0x80
	s_mov_b32 s22, exec_lo
	v_and_b32_e32 v9, 0x7f800000, v8
	v_cmpx_ne_u32_e32 0x7f800000, v9
	s_cbranch_execz .LBB2_4002
; %bb.3995:                             ;   in Loop: Header=BB2_3840 Depth=3
	v_mov_b32_e32 v79, 0
	s_mov_b32 s23, exec_lo
	v_cmpx_ne_u32_e32 0, v8
	s_cbranch_execz .LBB2_4001
; %bb.3996:                             ;   in Loop: Header=BB2_3840 Depth=3
	v_bfe_u32 v9, v8, 23, 8
	v_and_b32_e32 v75, 0x7fffff, v8
	v_sub_nc_u32_e32 v76, 0x70, v9
	v_cmp_gt_u32_e32 vcc_lo, 0x71, v9
	v_or_b32_e32 v78, 0x800000, v75
	v_cndmask_b32_e32 v76, 0, v76, vcc_lo
	v_cmp_eq_u32_e32 vcc_lo, 0, v9
	v_add_nc_u32_e32 v9, 0xffffff91, v9
	v_cndmask_b32_e64 v76, v76, 0x6f, vcc_lo
	v_cndmask_b32_e32 v75, v78, v75, vcc_lo
	v_cndmask_b32_e64 v9, v9, 0xffffff92, vcc_lo
	v_lshl_add_u32 v78, 0x200000, v76, -1
	v_lshrrev_b32_e32 v79, v76, v75
	v_lshlrev_b32_e64 v91, v76, 0x100000
	v_add_nc_u32_e32 v76, v76, v9
	v_and_b32_e32 v75, v78, v75
	v_bfe_u32 v88, v79, 21, 1
	v_cmp_eq_u32_e64 s17, v75, v91
	v_add_nc_u32_e32 v78, -1, v88
	v_cndmask_b32_e64 v75, 0, v78, s17
	v_lshrrev_b32_e32 v78, 23, v79
	s_mov_b32 s17, exec_lo
	v_add_nc_u32_e32 v75, v75, v79
	v_xor_b32_e32 v78, 1, v78
	v_and_b32_e32 v9, 0x1fffff, v75
	v_add_nc_u32_e32 v75, v9, v79
                                        ; implicit-def: $vgpr9
	v_cmpx_ne_u32_e64 v76, v78
	s_xor_b32 s17, exec_lo, s17
; %bb.3997:                             ;   in Loop: Header=BB2_3840 Depth=3
	v_cmp_lt_u32_e32 vcc_lo, 0xffffff, v75
	v_sub_nc_u32_e32 v9, v76, v78
	v_cndmask_b32_e64 v76, 0, 1, vcc_lo
	v_add_co_ci_u32_e64 v9, null, 0, v9, vcc_lo
	v_lshrrev_b32_e32 v75, v76, v75
; %bb.3998:                             ;   in Loop: Header=BB2_3840 Depth=3
	s_andn2_saveexec_b32 s17, s17
; %bb.3999:                             ;   in Loop: Header=BB2_3840 Depth=3
	v_bfe_u32 v9, v75, 23, 1
; %bb.4000:                             ;   in Loop: Header=BB2_3840 Depth=3
	s_or_b32 exec_lo, exec_lo, s17
	v_lshrrev_b32_e32 v75, 21, v75
	v_min_i32_e32 v76, 31, v9
	v_cmp_gt_i32_e32 vcc_lo, 32, v9
	v_and_b32_sdwa v8, v8, v98 dst_sel:DWORD dst_unused:UNUSED_PAD src0_sel:BYTE_3 src1_sel:DWORD
	v_lshlrev_b32_e32 v76, 2, v76
	v_cndmask_b32_e32 v75, 3, v75, vcc_lo
	v_and_b32_e32 v76, 0xfc, v76
	v_and_b32_e32 v78, 3, v75
	v_or_b32_e32 v9, v9, v75
	v_or3_b32 v8, v76, v8, v78
	v_cmp_ne_u32_e32 vcc_lo, 0, v9
	v_cndmask_b32_e32 v79, 0, v8, vcc_lo
.LBB2_4001:                             ;   in Loop: Header=BB2_3840 Depth=3
	s_or_b32 exec_lo, exec_lo, s23
.LBB2_4002:                             ;   in Loop: Header=BB2_3840 Depth=3
	s_or_b32 exec_lo, exec_lo, s22
	v_cmp_gt_i16_sdwa s22, v10, v97 src0_sel:BYTE_3 src1_sel:DWORD
	s_mov_b32 s17, 0
	s_and_saveexec_b32 s23, s22
	s_xor_b32 s22, exec_lo, s23
	s_cbranch_execz .LBB2_4417
; %bb.4003:                             ;   in Loop: Header=BB2_3840 Depth=3
	v_cmp_eq_u16_sdwa s76, v10, v98 src0_sel:BYTE_3 src1_sel:DWORD
	s_mov_b32 s17, -1
	s_and_saveexec_b32 s23, s76
; %bb.4004:                             ;   in Loop: Header=BB2_3840 Depth=3
	s_xor_b32 s17, exec_lo, -1
; %bb.4005:                             ;   in Loop: Header=BB2_3840 Depth=3
	s_or_b32 exec_lo, exec_lo, s23
	s_and_b32 s17, s17, exec_lo
	s_or_saveexec_b32 s22, s22
	v_mov_b32_e32 v8, 0x7f800001
	s_xor_b32 exec_lo, exec_lo, s22
	s_cbranch_execnz .LBB2_4418
.LBB2_4006:                             ;   in Loop: Header=BB2_3840 Depth=3
	s_or_b32 exec_lo, exec_lo, s22
	s_and_saveexec_b32 s22, s17
	s_cbranch_execz .LBB2_4008
.LBB2_4007:                             ;   in Loop: Header=BB2_3840 Depth=3
	v_bfe_u32 v8, v10, 24, 2
	v_bfe_u32 v76, v10, 26, 5
	v_ffbh_u32_e32 v9, v8
	v_cmp_eq_u32_e32 vcc_lo, 0, v76
	v_min_u32_e32 v9, 32, v9
	v_subrev_nc_u32_e32 v75, 29, v9
	v_sub_nc_u32_e32 v9, 30, v9
	v_lshlrev_b32_sdwa v75, v75, v10 dst_sel:DWORD dst_unused:UNUSED_PAD src0_sel:DWORD src1_sel:BYTE_3
	v_cndmask_b32_e32 v9, v76, v9, vcc_lo
	v_and_b32_e32 v10, 0x80000000, v10
	v_and_b32_e32 v75, 3, v75
	v_lshl_add_u32 v9, v9, 23, 0x37800000
	v_cndmask_b32_e32 v8, v8, v75, vcc_lo
	v_lshlrev_b32_e32 v8, 21, v8
	v_or3_b32 v8, v10, v9, v8
.LBB2_4008:                             ;   in Loop: Header=BB2_3840 Depth=3
	s_or_b32 exec_lo, exec_lo, s22
	v_mul_f32_e32 v8, s18, v8
	v_mov_b32_e32 v91, 0x8000
	s_mov_b32 s22, exec_lo
	v_and_b32_e32 v9, 0x7f800000, v8
	v_cmpx_ne_u32_e32 0x7f800000, v9
	s_cbranch_execz .LBB2_4016
; %bb.4009:                             ;   in Loop: Header=BB2_3840 Depth=3
	v_mov_b32_e32 v91, 0
	s_mov_b32 s23, exec_lo
	v_cmpx_ne_u32_e32 0, v8
	s_cbranch_execz .LBB2_4015
; %bb.4010:                             ;   in Loop: Header=BB2_3840 Depth=3
	v_bfe_u32 v9, v8, 23, 8
	v_and_b32_e32 v10, 0x7fffff, v8
	v_sub_nc_u32_e32 v75, 0x70, v9
	v_cmp_gt_u32_e32 vcc_lo, 0x71, v9
	v_or_b32_e32 v76, 0x800000, v10
	v_cndmask_b32_e32 v75, 0, v75, vcc_lo
	v_cmp_eq_u32_e32 vcc_lo, 0, v9
	v_add_nc_u32_e32 v9, 0xffffff91, v9
	v_cndmask_b32_e64 v75, v75, 0x6f, vcc_lo
	v_cndmask_b32_e32 v10, v76, v10, vcc_lo
	v_cndmask_b32_e64 v9, v9, 0xffffff92, vcc_lo
	v_lshl_add_u32 v76, 0x200000, v75, -1
	v_lshrrev_b32_e32 v78, v75, v10
	v_lshlrev_b32_e64 v91, v75, 0x100000
	v_add_nc_u32_e32 v75, v75, v9
	v_and_b32_e32 v10, v76, v10
	v_bfe_u32 v88, v78, 21, 1
	v_cmp_eq_u32_e64 s17, v10, v91
	v_add_nc_u32_e32 v76, -1, v88
	v_cndmask_b32_e64 v10, 0, v76, s17
	v_lshrrev_b32_e32 v76, 23, v78
	s_mov_b32 s17, exec_lo
	v_add_nc_u32_e32 v10, v10, v78
	v_xor_b32_e32 v76, 1, v76
	v_and_b32_e32 v9, 0x1fffff, v10
	v_add_nc_u32_e32 v10, v9, v78
                                        ; implicit-def: $vgpr9
	v_cmpx_ne_u32_e64 v75, v76
	s_xor_b32 s17, exec_lo, s17
; %bb.4011:                             ;   in Loop: Header=BB2_3840 Depth=3
	v_cmp_lt_u32_e32 vcc_lo, 0xffffff, v10
	v_sub_nc_u32_e32 v9, v75, v76
	v_cndmask_b32_e64 v75, 0, 1, vcc_lo
	v_add_co_ci_u32_e64 v9, null, 0, v9, vcc_lo
	v_lshrrev_b32_e32 v10, v75, v10
; %bb.4012:                             ;   in Loop: Header=BB2_3840 Depth=3
	s_andn2_saveexec_b32 s17, s17
; %bb.4013:                             ;   in Loop: Header=BB2_3840 Depth=3
	v_bfe_u32 v9, v10, 23, 1
; %bb.4014:                             ;   in Loop: Header=BB2_3840 Depth=3
	s_or_b32 exec_lo, exec_lo, s17
	v_lshrrev_b32_e32 v10, 21, v10
	v_min_i32_e32 v75, 31, v9
	v_cmp_gt_i32_e32 vcc_lo, 32, v9
	v_and_b32_sdwa v8, v8, v98 dst_sel:DWORD dst_unused:UNUSED_PAD src0_sel:BYTE_3 src1_sel:DWORD
	v_lshlrev_b32_e32 v75, 2, v75
	v_cndmask_b32_e32 v10, 3, v10, vcc_lo
	v_and_b32_e32 v75, 0xfc, v75
	v_and_b32_e32 v76, 3, v10
	v_or_b32_e32 v9, v9, v10
	v_or3_b32 v8, v8, v75, v76
	v_cmp_ne_u32_e32 vcc_lo, 0, v9
	v_lshlrev_b32_e32 v8, 8, v8
	v_cndmask_b32_e32 v91, 0, v8, vcc_lo
.LBB2_4015:                             ;   in Loop: Header=BB2_3840 Depth=3
	s_or_b32 exec_lo, exec_lo, s23
.LBB2_4016:                             ;   in Loop: Header=BB2_3840 Depth=3
	s_or_b32 exec_lo, exec_lo, s22
	v_cmp_gt_i16_sdwa s22, v11, v97 src0_sel:BYTE_0 src1_sel:DWORD
	s_mov_b32 s17, 0
	s_and_saveexec_b32 s23, s22
	s_xor_b32 s22, exec_lo, s23
	s_cbranch_execz .LBB2_4419
; %bb.4017:                             ;   in Loop: Header=BB2_3840 Depth=3
	v_cmp_eq_u16_sdwa s76, v11, v98 src0_sel:BYTE_0 src1_sel:DWORD
	s_mov_b32 s17, -1
	s_and_saveexec_b32 s23, s76
; %bb.4018:                             ;   in Loop: Header=BB2_3840 Depth=3
	s_xor_b32 s17, exec_lo, -1
; %bb.4019:                             ;   in Loop: Header=BB2_3840 Depth=3
	s_or_b32 exec_lo, exec_lo, s23
	s_and_b32 s17, s17, exec_lo
	s_or_saveexec_b32 s22, s22
	v_mov_b32_e32 v8, 0x7f800001
	s_xor_b32 exec_lo, exec_lo, s22
	s_cbranch_execnz .LBB2_4420
.LBB2_4020:                             ;   in Loop: Header=BB2_3840 Depth=3
	s_or_b32 exec_lo, exec_lo, s22
	s_and_saveexec_b32 s22, s17
	s_cbranch_execz .LBB2_4022
.LBB2_4021:                             ;   in Loop: Header=BB2_3840 Depth=3
	v_and_b32_e32 v8, 3, v11
	v_bfe_u32 v75, v11, 2, 5
	v_lshlrev_b32_e32 v76, 24, v11
	v_ffbh_u32_e32 v9, v8
	v_cmp_eq_u32_e32 vcc_lo, 0, v75
	v_min_u32_e32 v9, 32, v9
	v_subrev_nc_u32_e32 v10, 29, v9
	v_sub_nc_u32_e32 v9, 30, v9
	v_lshlrev_b32_e32 v10, v10, v11
	v_cndmask_b32_e32 v9, v75, v9, vcc_lo
	v_and_b32_e32 v10, 3, v10
	v_lshl_add_u32 v9, v9, 23, 0x37800000
	v_cndmask_b32_e32 v8, v8, v10, vcc_lo
	v_and_b32_e32 v10, 0x80000000, v76
	v_lshlrev_b32_e32 v8, 21, v8
	v_or3_b32 v8, v10, v9, v8
.LBB2_4022:                             ;   in Loop: Header=BB2_3840 Depth=3
	s_or_b32 exec_lo, exec_lo, s22
	v_mul_f32_e32 v8, s18, v8
	v_mov_b32_e32 v76, 0x80
	s_mov_b32 s22, exec_lo
	v_and_b32_e32 v9, 0x7f800000, v8
	v_cmpx_ne_u32_e32 0x7f800000, v9
	s_cbranch_execz .LBB2_4030
; %bb.4023:                             ;   in Loop: Header=BB2_3840 Depth=3
	v_mov_b32_e32 v76, 0
	s_mov_b32 s23, exec_lo
	v_cmpx_ne_u32_e32 0, v8
	s_cbranch_execz .LBB2_4029
; %bb.4024:                             ;   in Loop: Header=BB2_3840 Depth=3
	v_bfe_u32 v9, v8, 23, 8
	v_and_b32_e32 v10, 0x7fffff, v8
	v_sub_nc_u32_e32 v75, 0x70, v9
	v_cmp_gt_u32_e32 vcc_lo, 0x71, v9
	v_or_b32_e32 v76, 0x800000, v10
	v_cndmask_b32_e32 v75, 0, v75, vcc_lo
	v_cmp_eq_u32_e32 vcc_lo, 0, v9
	v_add_nc_u32_e32 v9, 0xffffff91, v9
	v_cndmask_b32_e64 v75, v75, 0x6f, vcc_lo
	v_cndmask_b32_e32 v10, v76, v10, vcc_lo
	v_cndmask_b32_e64 v9, v9, 0xffffff92, vcc_lo
	v_lshl_add_u32 v76, 0x200000, v75, -1
	v_lshrrev_b32_e32 v78, v75, v10
	v_lshlrev_b32_e64 v106, v75, 0x100000
	v_add_nc_u32_e32 v75, v75, v9
	v_and_b32_e32 v10, v76, v10
	v_bfe_u32 v88, v78, 21, 1
	v_cmp_eq_u32_e64 s17, v10, v106
	v_add_nc_u32_e32 v76, -1, v88
	v_cndmask_b32_e64 v10, 0, v76, s17
	v_lshrrev_b32_e32 v76, 23, v78
	s_mov_b32 s17, exec_lo
	v_add_nc_u32_e32 v10, v10, v78
	v_xor_b32_e32 v76, 1, v76
	v_and_b32_e32 v9, 0x1fffff, v10
	v_add_nc_u32_e32 v10, v9, v78
                                        ; implicit-def: $vgpr9
	v_cmpx_ne_u32_e64 v75, v76
	s_xor_b32 s17, exec_lo, s17
; %bb.4025:                             ;   in Loop: Header=BB2_3840 Depth=3
	v_cmp_lt_u32_e32 vcc_lo, 0xffffff, v10
	v_sub_nc_u32_e32 v9, v75, v76
	v_cndmask_b32_e64 v75, 0, 1, vcc_lo
	v_add_co_ci_u32_e64 v9, null, 0, v9, vcc_lo
	v_lshrrev_b32_e32 v10, v75, v10
; %bb.4026:                             ;   in Loop: Header=BB2_3840 Depth=3
	s_andn2_saveexec_b32 s17, s17
; %bb.4027:                             ;   in Loop: Header=BB2_3840 Depth=3
	v_bfe_u32 v9, v10, 23, 1
; %bb.4028:                             ;   in Loop: Header=BB2_3840 Depth=3
	s_or_b32 exec_lo, exec_lo, s17
	v_lshrrev_b32_e32 v10, 21, v10
	v_min_i32_e32 v75, 31, v9
	v_cmp_gt_i32_e32 vcc_lo, 32, v9
	v_and_b32_sdwa v8, v8, v98 dst_sel:DWORD dst_unused:UNUSED_PAD src0_sel:BYTE_3 src1_sel:DWORD
	v_lshlrev_b32_e32 v75, 2, v75
	v_cndmask_b32_e32 v10, 3, v10, vcc_lo
	v_and_b32_e32 v75, 0xfc, v75
	v_and_b32_e32 v76, 3, v10
	v_or_b32_e32 v9, v9, v10
	v_or3_b32 v8, v75, v8, v76
	v_cmp_ne_u32_e32 vcc_lo, 0, v9
	v_cndmask_b32_e32 v76, 0, v8, vcc_lo
.LBB2_4029:                             ;   in Loop: Header=BB2_3840 Depth=3
	s_or_b32 exec_lo, exec_lo, s23
.LBB2_4030:                             ;   in Loop: Header=BB2_3840 Depth=3
	s_or_b32 exec_lo, exec_lo, s22
	v_cmp_gt_i16_sdwa s22, v11, v97 src0_sel:BYTE_1 src1_sel:DWORD
	s_mov_b32 s17, 0
	s_and_saveexec_b32 s23, s22
	s_xor_b32 s22, exec_lo, s23
	s_cbranch_execz .LBB2_4421
; %bb.4031:                             ;   in Loop: Header=BB2_3840 Depth=3
	v_cmp_eq_u16_sdwa s76, v11, v98 src0_sel:BYTE_1 src1_sel:DWORD
	s_mov_b32 s17, -1
	s_and_saveexec_b32 s23, s76
; %bb.4032:                             ;   in Loop: Header=BB2_3840 Depth=3
	s_xor_b32 s17, exec_lo, -1
; %bb.4033:                             ;   in Loop: Header=BB2_3840 Depth=3
	s_or_b32 exec_lo, exec_lo, s23
	s_and_b32 s17, s17, exec_lo
	s_or_saveexec_b32 s22, s22
	v_mov_b32_e32 v8, 0x7f800001
	s_xor_b32 exec_lo, exec_lo, s22
	s_cbranch_execnz .LBB2_4422
.LBB2_4034:                             ;   in Loop: Header=BB2_3840 Depth=3
	s_or_b32 exec_lo, exec_lo, s22
	s_and_saveexec_b32 s22, s17
	s_cbranch_execz .LBB2_4036
.LBB2_4035:                             ;   in Loop: Header=BB2_3840 Depth=3
	v_and_b32_sdwa v8, v99, v11 dst_sel:DWORD dst_unused:UNUSED_PAD src0_sel:DWORD src1_sel:BYTE_1
	v_and_b32_e32 v9, 3, v8
	v_bfe_u32 v78, v8, 2, 5
	v_ffbh_u32_e32 v10, v9
	v_cmp_eq_u32_e32 vcc_lo, 0, v78
	v_min_u32_e32 v10, 32, v10
	v_subrev_nc_u32_e32 v75, 29, v10
	v_sub_nc_u32_e32 v10, 30, v10
	v_lshlrev_b32_e32 v8, v75, v8
	v_lshlrev_b32_sdwa v75, v100, v11 dst_sel:DWORD dst_unused:UNUSED_PAD src0_sel:DWORD src1_sel:BYTE_1
	v_cndmask_b32_e32 v10, v78, v10, vcc_lo
	v_and_b32_e32 v8, 3, v8
	v_lshl_add_u32 v10, v10, 23, 0x37800000
	v_cndmask_b32_e32 v8, v9, v8, vcc_lo
	v_and_b32_e32 v9, 0x80000000, v75
	v_lshlrev_b32_e32 v8, 21, v8
	v_or3_b32 v8, v9, v10, v8
.LBB2_4036:                             ;   in Loop: Header=BB2_3840 Depth=3
	s_or_b32 exec_lo, exec_lo, s22
	v_mul_f32_e32 v8, s18, v8
	v_mov_b32_e32 v88, 0x8000
	s_mov_b32 s22, exec_lo
	v_and_b32_e32 v9, 0x7f800000, v8
	v_cmpx_ne_u32_e32 0x7f800000, v9
	s_cbranch_execz .LBB2_4044
; %bb.4037:                             ;   in Loop: Header=BB2_3840 Depth=3
	v_mov_b32_e32 v88, 0
	s_mov_b32 s23, exec_lo
	v_cmpx_ne_u32_e32 0, v8
	s_cbranch_execz .LBB2_4043
; %bb.4038:                             ;   in Loop: Header=BB2_3840 Depth=3
	v_bfe_u32 v9, v8, 23, 8
	v_and_b32_e32 v10, 0x7fffff, v8
	v_sub_nc_u32_e32 v75, 0x70, v9
	v_cmp_gt_u32_e32 vcc_lo, 0x71, v9
	v_or_b32_e32 v78, 0x800000, v10
	v_cndmask_b32_e32 v75, 0, v75, vcc_lo
	v_cmp_eq_u32_e32 vcc_lo, 0, v9
	v_add_nc_u32_e32 v9, 0xffffff91, v9
	v_cndmask_b32_e64 v75, v75, 0x6f, vcc_lo
	v_cndmask_b32_e32 v10, v78, v10, vcc_lo
	v_cndmask_b32_e64 v9, v9, 0xffffff92, vcc_lo
	v_lshl_add_u32 v78, 0x200000, v75, -1
	v_lshrrev_b32_e32 v88, v75, v10
	v_lshlrev_b32_e64 v107, v75, 0x100000
	v_add_nc_u32_e32 v75, v75, v9
	v_and_b32_e32 v10, v78, v10
	v_bfe_u32 v106, v88, 21, 1
	v_cmp_eq_u32_e64 s17, v10, v107
	v_add_nc_u32_e32 v78, -1, v106
	v_cndmask_b32_e64 v10, 0, v78, s17
	v_lshrrev_b32_e32 v78, 23, v88
	s_mov_b32 s17, exec_lo
	v_add_nc_u32_e32 v10, v10, v88
	v_xor_b32_e32 v78, 1, v78
	v_and_b32_e32 v9, 0x1fffff, v10
	v_add_nc_u32_e32 v10, v9, v88
                                        ; implicit-def: $vgpr9
	v_cmpx_ne_u32_e64 v75, v78
	s_xor_b32 s17, exec_lo, s17
; %bb.4039:                             ;   in Loop: Header=BB2_3840 Depth=3
	v_cmp_lt_u32_e32 vcc_lo, 0xffffff, v10
	v_sub_nc_u32_e32 v9, v75, v78
	v_cndmask_b32_e64 v75, 0, 1, vcc_lo
	v_add_co_ci_u32_e64 v9, null, 0, v9, vcc_lo
	v_lshrrev_b32_e32 v10, v75, v10
; %bb.4040:                             ;   in Loop: Header=BB2_3840 Depth=3
	s_andn2_saveexec_b32 s17, s17
; %bb.4041:                             ;   in Loop: Header=BB2_3840 Depth=3
	v_bfe_u32 v9, v10, 23, 1
; %bb.4042:                             ;   in Loop: Header=BB2_3840 Depth=3
	s_or_b32 exec_lo, exec_lo, s17
	v_lshrrev_b32_e32 v10, 21, v10
	v_min_i32_e32 v75, 31, v9
	v_cmp_gt_i32_e32 vcc_lo, 32, v9
	v_and_b32_sdwa v8, v8, v98 dst_sel:DWORD dst_unused:UNUSED_PAD src0_sel:BYTE_3 src1_sel:DWORD
	v_lshlrev_b32_e32 v75, 2, v75
	v_cndmask_b32_e32 v10, 3, v10, vcc_lo
	v_and_b32_e32 v75, 0xfc, v75
	v_and_b32_e32 v78, 3, v10
	v_or_b32_e32 v9, v9, v10
	v_or3_b32 v8, v8, v75, v78
	v_cmp_ne_u32_e32 vcc_lo, 0, v9
	v_lshlrev_b32_e32 v8, 8, v8
	v_cndmask_b32_e32 v88, 0, v8, vcc_lo
.LBB2_4043:                             ;   in Loop: Header=BB2_3840 Depth=3
	s_or_b32 exec_lo, exec_lo, s23
.LBB2_4044:                             ;   in Loop: Header=BB2_3840 Depth=3
	s_or_b32 exec_lo, exec_lo, s22
	v_and_b32_sdwa v9, v11, v101 dst_sel:DWORD dst_unused:UNUSED_PAD src0_sel:WORD_1 src1_sel:DWORD
	s_mov_b32 s17, 0
	s_mov_b32 s22, exec_lo
	v_cmpx_lt_i16_e32 0x7f, v9
	s_xor_b32 s22, exec_lo, s22
	s_cbranch_execz .LBB2_4423
; %bb.4045:                             ;   in Loop: Header=BB2_3840 Depth=3
	s_mov_b32 s17, -1
	s_mov_b32 s23, exec_lo
	v_cmpx_eq_u16_e32 0x80, v9
; %bb.4046:                             ;   in Loop: Header=BB2_3840 Depth=3
	s_xor_b32 s17, exec_lo, -1
; %bb.4047:                             ;   in Loop: Header=BB2_3840 Depth=3
	s_or_b32 exec_lo, exec_lo, s23
	s_and_b32 s17, s17, exec_lo
                                        ; implicit-def: $vgpr9
	s_or_saveexec_b32 s22, s22
	v_mov_b32_e32 v8, 0x7f800001
	s_xor_b32 exec_lo, exec_lo, s22
	s_cbranch_execnz .LBB2_4424
.LBB2_4048:                             ;   in Loop: Header=BB2_3840 Depth=3
	s_or_b32 exec_lo, exec_lo, s22
	s_and_saveexec_b32 s22, s17
	s_cbranch_execz .LBB2_4050
.LBB2_4049:                             ;   in Loop: Header=BB2_3840 Depth=3
	v_bfe_u32 v8, v11, 16, 2
	v_bfe_u32 v75, v11, 18, 5
	v_lshlrev_b32_e32 v78, 8, v11
	v_ffbh_u32_e32 v9, v8
	v_cmp_eq_u32_e32 vcc_lo, 0, v75
	v_min_u32_e32 v9, 32, v9
	v_subrev_nc_u32_e32 v10, 29, v9
	v_sub_nc_u32_e32 v9, 30, v9
	v_lshlrev_b32_sdwa v10, v10, v11 dst_sel:DWORD dst_unused:UNUSED_PAD src0_sel:DWORD src1_sel:WORD_1
	v_cndmask_b32_e32 v9, v75, v9, vcc_lo
	v_and_b32_e32 v10, 3, v10
	v_lshl_add_u32 v9, v9, 23, 0x37800000
	v_cndmask_b32_e32 v8, v8, v10, vcc_lo
	v_and_b32_e32 v10, 0x80000000, v78
	v_lshlrev_b32_e32 v8, 21, v8
	v_or3_b32 v8, v10, v9, v8
.LBB2_4050:                             ;   in Loop: Header=BB2_3840 Depth=3
	s_or_b32 exec_lo, exec_lo, s22
	v_mul_f32_e32 v8, s18, v8
	v_mov_b32_e32 v75, 0x80
	s_mov_b32 s22, exec_lo
	v_and_b32_e32 v9, 0x7f800000, v8
	v_cmpx_ne_u32_e32 0x7f800000, v9
	s_cbranch_execz .LBB2_4058
; %bb.4051:                             ;   in Loop: Header=BB2_3840 Depth=3
	v_mov_b32_e32 v75, 0
	s_mov_b32 s23, exec_lo
	v_cmpx_ne_u32_e32 0, v8
	s_cbranch_execz .LBB2_4057
; %bb.4052:                             ;   in Loop: Header=BB2_3840 Depth=3
	v_bfe_u32 v9, v8, 23, 8
	v_and_b32_e32 v10, 0x7fffff, v8
	v_sub_nc_u32_e32 v75, 0x70, v9
	v_cmp_gt_u32_e32 vcc_lo, 0x71, v9
	v_or_b32_e32 v78, 0x800000, v10
	v_cndmask_b32_e32 v75, 0, v75, vcc_lo
	v_cmp_eq_u32_e32 vcc_lo, 0, v9
	v_add_nc_u32_e32 v9, 0xffffff91, v9
	v_cndmask_b32_e64 v75, v75, 0x6f, vcc_lo
	v_cndmask_b32_e32 v10, v78, v10, vcc_lo
	v_cndmask_b32_e64 v9, v9, 0xffffff92, vcc_lo
	v_lshl_add_u32 v78, 0x200000, v75, -1
	v_lshrrev_b32_e32 v106, v75, v10
	v_lshlrev_b32_e64 v108, v75, 0x100000
	v_add_nc_u32_e32 v75, v75, v9
	v_and_b32_e32 v10, v78, v10
	v_bfe_u32 v107, v106, 21, 1
	v_cmp_eq_u32_e64 s17, v10, v108
	v_add_nc_u32_e32 v78, -1, v107
	v_cndmask_b32_e64 v10, 0, v78, s17
	v_lshrrev_b32_e32 v78, 23, v106
	s_mov_b32 s17, exec_lo
	v_add_nc_u32_e32 v10, v10, v106
	v_xor_b32_e32 v78, 1, v78
	v_and_b32_e32 v9, 0x1fffff, v10
	v_add_nc_u32_e32 v10, v9, v106
                                        ; implicit-def: $vgpr9
	v_cmpx_ne_u32_e64 v75, v78
	s_xor_b32 s17, exec_lo, s17
; %bb.4053:                             ;   in Loop: Header=BB2_3840 Depth=3
	v_cmp_lt_u32_e32 vcc_lo, 0xffffff, v10
	v_sub_nc_u32_e32 v9, v75, v78
	v_cndmask_b32_e64 v75, 0, 1, vcc_lo
	v_add_co_ci_u32_e64 v9, null, 0, v9, vcc_lo
	v_lshrrev_b32_e32 v10, v75, v10
; %bb.4054:                             ;   in Loop: Header=BB2_3840 Depth=3
	s_andn2_saveexec_b32 s17, s17
; %bb.4055:                             ;   in Loop: Header=BB2_3840 Depth=3
	v_bfe_u32 v9, v10, 23, 1
; %bb.4056:                             ;   in Loop: Header=BB2_3840 Depth=3
	s_or_b32 exec_lo, exec_lo, s17
	v_lshrrev_b32_e32 v10, 21, v10
	v_min_i32_e32 v75, 31, v9
	v_cmp_gt_i32_e32 vcc_lo, 32, v9
	v_and_b32_sdwa v8, v8, v98 dst_sel:DWORD dst_unused:UNUSED_PAD src0_sel:BYTE_3 src1_sel:DWORD
	v_lshlrev_b32_e32 v75, 2, v75
	v_cndmask_b32_e32 v10, 3, v10, vcc_lo
	v_and_b32_e32 v75, 0xfc, v75
	v_and_b32_e32 v78, 3, v10
	v_or_b32_e32 v9, v9, v10
	v_or3_b32 v8, v75, v8, v78
	v_cmp_ne_u32_e32 vcc_lo, 0, v9
	v_cndmask_b32_e32 v75, 0, v8, vcc_lo
.LBB2_4057:                             ;   in Loop: Header=BB2_3840 Depth=3
	s_or_b32 exec_lo, exec_lo, s23
.LBB2_4058:                             ;   in Loop: Header=BB2_3840 Depth=3
	s_or_b32 exec_lo, exec_lo, s22
	v_cmp_gt_i16_sdwa s22, v11, v97 src0_sel:BYTE_3 src1_sel:DWORD
	s_mov_b32 s17, 0
	s_and_saveexec_b32 s23, s22
	s_xor_b32 s22, exec_lo, s23
	s_cbranch_execz .LBB2_4425
; %bb.4059:                             ;   in Loop: Header=BB2_3840 Depth=3
	v_cmp_eq_u16_sdwa s76, v11, v98 src0_sel:BYTE_3 src1_sel:DWORD
	s_mov_b32 s17, -1
	s_and_saveexec_b32 s23, s76
; %bb.4060:                             ;   in Loop: Header=BB2_3840 Depth=3
	s_xor_b32 s17, exec_lo, -1
; %bb.4061:                             ;   in Loop: Header=BB2_3840 Depth=3
	s_or_b32 exec_lo, exec_lo, s23
	s_and_b32 s17, s17, exec_lo
	s_or_saveexec_b32 s22, s22
	v_mov_b32_e32 v8, 0x7f800001
	s_xor_b32 exec_lo, exec_lo, s22
	s_cbranch_execnz .LBB2_4426
.LBB2_4062:                             ;   in Loop: Header=BB2_3840 Depth=3
	s_or_b32 exec_lo, exec_lo, s22
	s_and_saveexec_b32 s22, s17
	s_cbranch_execz .LBB2_4064
.LBB2_4063:                             ;   in Loop: Header=BB2_3840 Depth=3
	v_bfe_u32 v8, v11, 24, 2
	v_bfe_u32 v78, v11, 26, 5
	v_ffbh_u32_e32 v9, v8
	v_cmp_eq_u32_e32 vcc_lo, 0, v78
	v_min_u32_e32 v9, 32, v9
	v_subrev_nc_u32_e32 v10, 29, v9
	v_sub_nc_u32_e32 v9, 30, v9
	v_lshlrev_b32_sdwa v10, v10, v11 dst_sel:DWORD dst_unused:UNUSED_PAD src0_sel:DWORD src1_sel:BYTE_3
	v_cndmask_b32_e32 v9, v78, v9, vcc_lo
	v_and_b32_e32 v10, 3, v10
	v_lshl_add_u32 v9, v9, 23, 0x37800000
	v_cndmask_b32_e32 v8, v8, v10, vcc_lo
	v_and_b32_e32 v10, 0x80000000, v11
	v_lshlrev_b32_e32 v8, 21, v8
	v_or3_b32 v8, v10, v9, v8
.LBB2_4064:                             ;   in Loop: Header=BB2_3840 Depth=3
	s_or_b32 exec_lo, exec_lo, s22
	v_mul_f32_e32 v8, s18, v8
	v_mov_b32_e32 v78, 0x8000
	s_mov_b32 s18, exec_lo
	v_and_b32_e32 v9, 0x7f800000, v8
	v_cmpx_ne_u32_e32 0x7f800000, v9
	s_cbranch_execz .LBB2_4072
; %bb.4065:                             ;   in Loop: Header=BB2_3840 Depth=3
	v_mov_b32_e32 v78, 0
	s_mov_b32 s22, exec_lo
	v_cmpx_ne_u32_e32 0, v8
	s_cbranch_execz .LBB2_4071
; %bb.4066:                             ;   in Loop: Header=BB2_3840 Depth=3
	v_bfe_u32 v9, v8, 23, 8
	v_and_b32_e32 v10, 0x7fffff, v8
	v_sub_nc_u32_e32 v11, 0x70, v9
	v_cmp_gt_u32_e32 vcc_lo, 0x71, v9
	v_or_b32_e32 v78, 0x800000, v10
	v_cndmask_b32_e32 v11, 0, v11, vcc_lo
	v_cmp_eq_u32_e32 vcc_lo, 0, v9
	v_add_nc_u32_e32 v9, 0xffffff91, v9
	v_cndmask_b32_e64 v11, v11, 0x6f, vcc_lo
	v_cndmask_b32_e32 v10, v78, v10, vcc_lo
	v_cndmask_b32_e64 v9, v9, 0xffffff92, vcc_lo
	v_lshl_add_u32 v78, 0x200000, v11, -1
	v_lshrrev_b32_e32 v106, v11, v10
	v_lshlrev_b32_e64 v108, v11, 0x100000
	v_add_nc_u32_e32 v11, v11, v9
	v_and_b32_e32 v10, v78, v10
	v_bfe_u32 v107, v106, 21, 1
	v_cmp_eq_u32_e64 s17, v10, v108
	v_add_nc_u32_e32 v78, -1, v107
	v_cndmask_b32_e64 v10, 0, v78, s17
	v_lshrrev_b32_e32 v78, 23, v106
	s_mov_b32 s17, exec_lo
	v_add_nc_u32_e32 v10, v10, v106
	v_xor_b32_e32 v78, 1, v78
	v_and_b32_e32 v9, 0x1fffff, v10
	v_add_nc_u32_e32 v10, v9, v106
                                        ; implicit-def: $vgpr9
	v_cmpx_ne_u32_e64 v11, v78
	s_xor_b32 s17, exec_lo, s17
; %bb.4067:                             ;   in Loop: Header=BB2_3840 Depth=3
	v_cmp_lt_u32_e32 vcc_lo, 0xffffff, v10
	v_sub_nc_u32_e32 v9, v11, v78
	v_cndmask_b32_e64 v11, 0, 1, vcc_lo
	v_add_co_ci_u32_e64 v9, null, 0, v9, vcc_lo
	v_lshrrev_b32_e32 v10, v11, v10
; %bb.4068:                             ;   in Loop: Header=BB2_3840 Depth=3
	s_andn2_saveexec_b32 s17, s17
; %bb.4069:                             ;   in Loop: Header=BB2_3840 Depth=3
	v_bfe_u32 v9, v10, 23, 1
; %bb.4070:                             ;   in Loop: Header=BB2_3840 Depth=3
	s_or_b32 exec_lo, exec_lo, s17
	v_lshrrev_b32_e32 v10, 21, v10
	v_min_i32_e32 v11, 31, v9
	v_cmp_gt_i32_e32 vcc_lo, 32, v9
	v_and_b32_sdwa v8, v8, v98 dst_sel:DWORD dst_unused:UNUSED_PAD src0_sel:BYTE_3 src1_sel:DWORD
	v_lshlrev_b32_e32 v11, 2, v11
	v_cndmask_b32_e32 v10, 3, v10, vcc_lo
	v_and_b32_e32 v11, 0xfc, v11
	v_and_b32_e32 v78, 3, v10
	v_or_b32_e32 v9, v9, v10
	v_or3_b32 v8, v8, v11, v78
	v_cmp_ne_u32_e32 vcc_lo, 0, v9
	v_lshlrev_b32_e32 v8, 8, v8
	v_cndmask_b32_e32 v78, 0, v8, vcc_lo
.LBB2_4071:                             ;   in Loop: Header=BB2_3840 Depth=3
	s_or_b32 exec_lo, exec_lo, s22
.LBB2_4072:                             ;   in Loop: Header=BB2_3840 Depth=3
	s_or_b32 exec_lo, exec_lo, s18
	global_load_dwordx4 v[8:11], v[68:69], off slc
	v_or_b32_e32 v106, v77, v74
	s_mov_b32 s17, 0
	v_cmp_gt_i16_sdwa s18, v106, v97 src0_sel:BYTE_0 src1_sel:DWORD
	s_and_saveexec_b32 s22, s18
	s_xor_b32 s18, exec_lo, s22
	s_cbranch_execz .LBB2_4427
; %bb.4073:                             ;   in Loop: Header=BB2_3840 Depth=3
	v_cmp_eq_u16_sdwa s23, v106, v98 src0_sel:BYTE_0 src1_sel:DWORD
	s_mov_b32 s17, -1
	s_and_saveexec_b32 s22, s23
; %bb.4074:                             ;   in Loop: Header=BB2_3840 Depth=3
	s_xor_b32 s17, exec_lo, -1
; %bb.4075:                             ;   in Loop: Header=BB2_3840 Depth=3
	s_or_b32 exec_lo, exec_lo, s22
	s_and_b32 s17, s17, exec_lo
	s_or_saveexec_b32 s18, s18
	v_mov_b32_e32 v74, 0x7f800001
	s_xor_b32 exec_lo, exec_lo, s18
	s_cbranch_execnz .LBB2_4428
.LBB2_4076:                             ;   in Loop: Header=BB2_3840 Depth=3
	s_or_b32 exec_lo, exec_lo, s18
	s_and_saveexec_b32 s18, s17
	s_cbranch_execz .LBB2_4078
.LBB2_4077:                             ;   in Loop: Header=BB2_3840 Depth=3
	v_and_b32_e32 v74, 3, v106
	v_bfe_u32 v108, v106, 2, 5
	v_lshlrev_b32_e32 v109, 24, v106
	v_ffbh_u32_e32 v77, v74
	v_cmp_eq_u32_e32 vcc_lo, 0, v108
	v_min_u32_e32 v77, 32, v77
	v_subrev_nc_u32_e32 v107, 29, v77
	v_sub_nc_u32_e32 v77, 30, v77
	v_lshlrev_b32_e32 v107, v107, v106
	v_cndmask_b32_e32 v77, v108, v77, vcc_lo
	v_and_b32_e32 v107, 3, v107
	v_lshl_add_u32 v77, v77, 23, 0x37800000
	v_cndmask_b32_e32 v74, v74, v107, vcc_lo
	v_and_b32_e32 v107, 0x80000000, v109
	v_lshlrev_b32_e32 v74, 21, v74
	v_or3_b32 v74, v107, v77, v74
.LBB2_4078:                             ;   in Loop: Header=BB2_3840 Depth=3
	s_or_b32 exec_lo, exec_lo, s18
	s_waitcnt vmcnt(0)
	v_cmp_gt_i16_sdwa s18, v8, v97 src0_sel:BYTE_0 src1_sel:DWORD
	s_mov_b32 s17, 0
	s_and_saveexec_b32 s22, s18
	s_xor_b32 s18, exec_lo, s22
	s_cbranch_execz .LBB2_4429
; %bb.4079:                             ;   in Loop: Header=BB2_3840 Depth=3
	v_cmp_eq_u16_sdwa s23, v8, v98 src0_sel:BYTE_0 src1_sel:DWORD
	s_mov_b32 s17, -1
	s_and_saveexec_b32 s22, s23
; %bb.4080:                             ;   in Loop: Header=BB2_3840 Depth=3
	s_xor_b32 s17, exec_lo, -1
; %bb.4081:                             ;   in Loop: Header=BB2_3840 Depth=3
	s_or_b32 exec_lo, exec_lo, s22
	s_and_b32 s17, s17, exec_lo
	s_or_saveexec_b32 s18, s18
	v_mov_b32_e32 v77, 0x7f800001
	s_xor_b32 exec_lo, exec_lo, s18
	s_cbranch_execnz .LBB2_4430
.LBB2_4082:                             ;   in Loop: Header=BB2_3840 Depth=3
	s_or_b32 exec_lo, exec_lo, s18
	s_and_saveexec_b32 s18, s17
	s_cbranch_execz .LBB2_4084
.LBB2_4083:                             ;   in Loop: Header=BB2_3840 Depth=3
	v_and_b32_e32 v77, 3, v8
	v_bfe_u32 v109, v8, 2, 5
	v_lshlrev_b32_e32 v110, 24, v8
	v_ffbh_u32_e32 v107, v77
	v_cmp_eq_u32_e32 vcc_lo, 0, v109
	v_min_u32_e32 v107, 32, v107
	v_subrev_nc_u32_e32 v108, 29, v107
	v_sub_nc_u32_e32 v107, 30, v107
	v_lshlrev_b32_e32 v108, v108, v8
	v_cndmask_b32_e32 v107, v109, v107, vcc_lo
	v_and_b32_e32 v108, 3, v108
	v_lshl_add_u32 v107, v107, 23, 0x37800000
	v_cndmask_b32_e32 v77, v77, v108, vcc_lo
	v_and_b32_e32 v108, 0x80000000, v110
	v_lshlrev_b32_e32 v77, 21, v77
	v_or3_b32 v77, v108, v107, v77
.LBB2_4084:                             ;   in Loop: Header=BB2_3840 Depth=3
	s_or_b32 exec_lo, exec_lo, s18
	v_add_f32_e32 v77, v74, v77
	v_and_b32_e32 v74, 0x7f800000, v77
	v_cmp_ne_u32_e32 vcc_lo, 0x7f800000, v74
	v_mov_b32_e32 v74, 0x80
	s_and_saveexec_b32 s18, vcc_lo
	s_cbranch_execz .LBB2_4092
; %bb.4085:                             ;   in Loop: Header=BB2_3840 Depth=3
	v_mov_b32_e32 v74, 0
	s_mov_b32 s22, exec_lo
	v_cmpx_ne_u32_e32 0, v77
	s_cbranch_execz .LBB2_4091
; %bb.4086:                             ;   in Loop: Header=BB2_3840 Depth=3
	v_bfe_u32 v74, v77, 23, 8
	v_and_b32_e32 v107, 0x7fffff, v77
	v_sub_nc_u32_e32 v108, 0x70, v74
	v_cmp_gt_u32_e32 vcc_lo, 0x71, v74
	v_or_b32_e32 v109, 0x800000, v107
	v_cndmask_b32_e32 v108, 0, v108, vcc_lo
	v_cmp_eq_u32_e32 vcc_lo, 0, v74
	v_add_nc_u32_e32 v74, 0xffffff91, v74
	v_cndmask_b32_e64 v108, v108, 0x6f, vcc_lo
	v_cndmask_b32_e32 v107, v109, v107, vcc_lo
	v_cndmask_b32_e64 v74, v74, 0xffffff92, vcc_lo
	v_lshl_add_u32 v109, 0x200000, v108, -1
	v_lshrrev_b32_e32 v110, v108, v107
	v_lshlrev_b32_e64 v120, v108, 0x100000
	v_add_nc_u32_e32 v108, v108, v74
	v_and_b32_e32 v107, v109, v107
	v_bfe_u32 v111, v110, 21, 1
	v_cmp_eq_u32_e64 s17, v107, v120
	v_add_nc_u32_e32 v109, -1, v111
	v_cndmask_b32_e64 v107, 0, v109, s17
	v_lshrrev_b32_e32 v109, 23, v110
	s_mov_b32 s17, exec_lo
	v_add_nc_u32_e32 v107, v107, v110
	v_xor_b32_e32 v109, 1, v109
	v_and_b32_e32 v74, 0x1fffff, v107
	v_add_nc_u32_e32 v107, v74, v110
                                        ; implicit-def: $vgpr74
	v_cmpx_ne_u32_e64 v108, v109
	s_xor_b32 s17, exec_lo, s17
; %bb.4087:                             ;   in Loop: Header=BB2_3840 Depth=3
	v_cmp_lt_u32_e32 vcc_lo, 0xffffff, v107
	v_sub_nc_u32_e32 v74, v108, v109
	v_cndmask_b32_e64 v108, 0, 1, vcc_lo
	v_add_co_ci_u32_e64 v74, null, 0, v74, vcc_lo
	v_lshrrev_b32_e32 v107, v108, v107
; %bb.4088:                             ;   in Loop: Header=BB2_3840 Depth=3
	s_andn2_saveexec_b32 s17, s17
; %bb.4089:                             ;   in Loop: Header=BB2_3840 Depth=3
	v_bfe_u32 v74, v107, 23, 1
; %bb.4090:                             ;   in Loop: Header=BB2_3840 Depth=3
	s_or_b32 exec_lo, exec_lo, s17
	v_lshrrev_b32_e32 v107, 21, v107
	v_min_i32_e32 v108, 31, v74
	v_cmp_gt_i32_e32 vcc_lo, 32, v74
	v_and_b32_sdwa v77, v77, v98 dst_sel:DWORD dst_unused:UNUSED_PAD src0_sel:BYTE_3 src1_sel:DWORD
	v_lshlrev_b32_e32 v108, 2, v108
	v_cndmask_b32_e32 v107, 3, v107, vcc_lo
	v_and_b32_e32 v108, 0xfc, v108
	v_and_b32_e32 v109, 3, v107
	v_or_b32_e32 v74, v74, v107
	v_or3_b32 v77, v108, v77, v109
	v_cmp_ne_u32_e32 vcc_lo, 0, v74
	v_cndmask_b32_e32 v74, 0, v77, vcc_lo
.LBB2_4091:                             ;   in Loop: Header=BB2_3840 Depth=3
	s_or_b32 exec_lo, exec_lo, s22
.LBB2_4092:                             ;   in Loop: Header=BB2_3840 Depth=3
	s_or_b32 exec_lo, exec_lo, s18
	v_cmp_gt_i16_sdwa s18, v106, v97 src0_sel:BYTE_1 src1_sel:DWORD
	s_mov_b32 s17, 0
	s_and_saveexec_b32 s22, s18
	s_xor_b32 s18, exec_lo, s22
	s_cbranch_execz .LBB2_4431
; %bb.4093:                             ;   in Loop: Header=BB2_3840 Depth=3
	v_cmp_eq_u16_sdwa s23, v106, v98 src0_sel:BYTE_1 src1_sel:DWORD
	s_mov_b32 s17, -1
	s_and_saveexec_b32 s22, s23
; %bb.4094:                             ;   in Loop: Header=BB2_3840 Depth=3
	s_xor_b32 s17, exec_lo, -1
; %bb.4095:                             ;   in Loop: Header=BB2_3840 Depth=3
	s_or_b32 exec_lo, exec_lo, s22
	s_and_b32 s17, s17, exec_lo
	s_or_saveexec_b32 s18, s18
	v_mov_b32_e32 v77, 0x7f800001
	s_xor_b32 exec_lo, exec_lo, s18
	s_cbranch_execnz .LBB2_4432
.LBB2_4096:                             ;   in Loop: Header=BB2_3840 Depth=3
	s_or_b32 exec_lo, exec_lo, s18
	s_and_saveexec_b32 s18, s17
	s_cbranch_execz .LBB2_4098
.LBB2_4097:                             ;   in Loop: Header=BB2_3840 Depth=3
	v_and_b32_sdwa v77, v99, v106 dst_sel:DWORD dst_unused:UNUSED_PAD src0_sel:DWORD src1_sel:BYTE_1
	v_and_b32_e32 v107, 3, v77
	v_bfe_u32 v110, v77, 2, 5
	v_ffbh_u32_e32 v108, v107
	v_cmp_eq_u32_e32 vcc_lo, 0, v110
	v_min_u32_e32 v108, 32, v108
	v_subrev_nc_u32_e32 v109, 29, v108
	v_sub_nc_u32_e32 v108, 30, v108
	v_lshlrev_b32_e32 v77, v109, v77
	v_lshlrev_b32_sdwa v109, v100, v106 dst_sel:DWORD dst_unused:UNUSED_PAD src0_sel:DWORD src1_sel:BYTE_1
	v_cndmask_b32_e32 v108, v110, v108, vcc_lo
	v_and_b32_e32 v77, 3, v77
	v_lshl_add_u32 v108, v108, 23, 0x37800000
	v_cndmask_b32_e32 v77, v107, v77, vcc_lo
	v_and_b32_e32 v107, 0x80000000, v109
	v_lshlrev_b32_e32 v77, 21, v77
	v_or3_b32 v77, v107, v108, v77
.LBB2_4098:                             ;   in Loop: Header=BB2_3840 Depth=3
	s_or_b32 exec_lo, exec_lo, s18
	v_cmp_gt_i16_sdwa s18, v8, v97 src0_sel:BYTE_1 src1_sel:DWORD
	s_mov_b32 s17, 0
	s_and_saveexec_b32 s22, s18
	s_xor_b32 s18, exec_lo, s22
	s_cbranch_execz .LBB2_4433
; %bb.4099:                             ;   in Loop: Header=BB2_3840 Depth=3
	v_cmp_eq_u16_sdwa s23, v8, v98 src0_sel:BYTE_1 src1_sel:DWORD
	s_mov_b32 s17, -1
	s_and_saveexec_b32 s22, s23
; %bb.4100:                             ;   in Loop: Header=BB2_3840 Depth=3
	s_xor_b32 s17, exec_lo, -1
; %bb.4101:                             ;   in Loop: Header=BB2_3840 Depth=3
	s_or_b32 exec_lo, exec_lo, s22
	s_and_b32 s17, s17, exec_lo
	s_or_saveexec_b32 s18, s18
	v_mov_b32_e32 v107, 0x7f800001
	s_xor_b32 exec_lo, exec_lo, s18
	s_cbranch_execnz .LBB2_4434
.LBB2_4102:                             ;   in Loop: Header=BB2_3840 Depth=3
	s_or_b32 exec_lo, exec_lo, s18
	s_and_saveexec_b32 s18, s17
	s_cbranch_execz .LBB2_4104
.LBB2_4103:                             ;   in Loop: Header=BB2_3840 Depth=3
	v_and_b32_sdwa v107, v99, v8 dst_sel:DWORD dst_unused:UNUSED_PAD src0_sel:DWORD src1_sel:BYTE_1
	v_and_b32_e32 v108, 3, v107
	v_bfe_u32 v111, v107, 2, 5
	v_ffbh_u32_e32 v109, v108
	v_cmp_eq_u32_e32 vcc_lo, 0, v111
	v_min_u32_e32 v109, 32, v109
	v_subrev_nc_u32_e32 v110, 29, v109
	v_sub_nc_u32_e32 v109, 30, v109
	v_lshlrev_b32_e32 v107, v110, v107
	v_lshlrev_b32_sdwa v110, v100, v8 dst_sel:DWORD dst_unused:UNUSED_PAD src0_sel:DWORD src1_sel:BYTE_1
	v_cndmask_b32_e32 v109, v111, v109, vcc_lo
	v_and_b32_e32 v107, 3, v107
	v_lshl_add_u32 v109, v109, 23, 0x37800000
	v_cndmask_b32_e32 v107, v108, v107, vcc_lo
	v_and_b32_e32 v108, 0x80000000, v110
	v_lshlrev_b32_e32 v107, 21, v107
	v_or3_b32 v107, v108, v109, v107
.LBB2_4104:                             ;   in Loop: Header=BB2_3840 Depth=3
	s_or_b32 exec_lo, exec_lo, s18
	v_add_f32_e32 v107, v77, v107
	v_and_b32_e32 v77, 0x7f800000, v107
	v_cmp_ne_u32_e32 vcc_lo, 0x7f800000, v77
	v_mov_b32_e32 v77, 0x8000
	s_and_saveexec_b32 s18, vcc_lo
	s_cbranch_execz .LBB2_4112
; %bb.4105:                             ;   in Loop: Header=BB2_3840 Depth=3
	v_mov_b32_e32 v77, 0
	s_mov_b32 s22, exec_lo
	v_cmpx_ne_u32_e32 0, v107
	s_cbranch_execz .LBB2_4111
; %bb.4106:                             ;   in Loop: Header=BB2_3840 Depth=3
	v_bfe_u32 v77, v107, 23, 8
	v_and_b32_e32 v108, 0x7fffff, v107
	v_sub_nc_u32_e32 v109, 0x70, v77
	v_cmp_gt_u32_e32 vcc_lo, 0x71, v77
	v_or_b32_e32 v110, 0x800000, v108
	v_cndmask_b32_e32 v109, 0, v109, vcc_lo
	v_cmp_eq_u32_e32 vcc_lo, 0, v77
	v_add_nc_u32_e32 v77, 0xffffff91, v77
	v_cndmask_b32_e64 v109, v109, 0x6f, vcc_lo
	v_cndmask_b32_e32 v108, v110, v108, vcc_lo
	v_cndmask_b32_e64 v77, v77, 0xffffff92, vcc_lo
	v_lshl_add_u32 v110, 0x200000, v109, -1
	v_lshrrev_b32_e32 v111, v109, v108
	v_lshlrev_b32_e64 v121, v109, 0x100000
	v_add_nc_u32_e32 v109, v109, v77
	v_and_b32_e32 v108, v110, v108
	v_bfe_u32 v120, v111, 21, 1
	v_cmp_eq_u32_e64 s17, v108, v121
	v_add_nc_u32_e32 v110, -1, v120
	v_cndmask_b32_e64 v108, 0, v110, s17
	v_lshrrev_b32_e32 v110, 23, v111
	s_mov_b32 s17, exec_lo
	v_add_nc_u32_e32 v108, v108, v111
	v_xor_b32_e32 v110, 1, v110
	v_and_b32_e32 v77, 0x1fffff, v108
	v_add_nc_u32_e32 v108, v77, v111
                                        ; implicit-def: $vgpr77
	v_cmpx_ne_u32_e64 v109, v110
	s_xor_b32 s17, exec_lo, s17
; %bb.4107:                             ;   in Loop: Header=BB2_3840 Depth=3
	v_cmp_lt_u32_e32 vcc_lo, 0xffffff, v108
	v_sub_nc_u32_e32 v77, v109, v110
	v_cndmask_b32_e64 v109, 0, 1, vcc_lo
	v_add_co_ci_u32_e64 v77, null, 0, v77, vcc_lo
	v_lshrrev_b32_e32 v108, v109, v108
; %bb.4108:                             ;   in Loop: Header=BB2_3840 Depth=3
	s_andn2_saveexec_b32 s17, s17
; %bb.4109:                             ;   in Loop: Header=BB2_3840 Depth=3
	v_bfe_u32 v77, v108, 23, 1
; %bb.4110:                             ;   in Loop: Header=BB2_3840 Depth=3
	s_or_b32 exec_lo, exec_lo, s17
	v_lshrrev_b32_e32 v108, 21, v108
	v_min_i32_e32 v109, 31, v77
	v_cmp_gt_i32_e32 vcc_lo, 32, v77
	v_and_b32_sdwa v107, v107, v98 dst_sel:DWORD dst_unused:UNUSED_PAD src0_sel:BYTE_3 src1_sel:DWORD
	v_lshlrev_b32_e32 v109, 2, v109
	v_cndmask_b32_e32 v108, 3, v108, vcc_lo
	v_and_b32_e32 v109, 0xfc, v109
	v_and_b32_e32 v110, 3, v108
	v_or_b32_e32 v77, v77, v108
	v_or3_b32 v107, v107, v109, v110
	v_cmp_ne_u32_e32 vcc_lo, 0, v77
	v_lshlrev_b32_e32 v107, 8, v107
	v_cndmask_b32_e32 v77, 0, v107, vcc_lo
.LBB2_4111:                             ;   in Loop: Header=BB2_3840 Depth=3
	s_or_b32 exec_lo, exec_lo, s22
.LBB2_4112:                             ;   in Loop: Header=BB2_3840 Depth=3
	s_or_b32 exec_lo, exec_lo, s18
	v_or_b32_e32 v105, v105, v90
	s_mov_b32 s17, 0
	v_cmp_gt_i16_sdwa s18, v105, v97 src0_sel:BYTE_0 src1_sel:DWORD
	s_and_saveexec_b32 s22, s18
	s_xor_b32 s18, exec_lo, s22
	s_cbranch_execz .LBB2_4435
; %bb.4113:                             ;   in Loop: Header=BB2_3840 Depth=3
	v_cmp_eq_u16_sdwa s23, v105, v98 src0_sel:BYTE_0 src1_sel:DWORD
	s_mov_b32 s17, -1
	s_and_saveexec_b32 s22, s23
; %bb.4114:                             ;   in Loop: Header=BB2_3840 Depth=3
	s_xor_b32 s17, exec_lo, -1
; %bb.4115:                             ;   in Loop: Header=BB2_3840 Depth=3
	s_or_b32 exec_lo, exec_lo, s22
	s_and_b32 s17, s17, exec_lo
	s_or_saveexec_b32 s18, s18
	v_mov_b32_e32 v90, 0x7f800001
	s_xor_b32 exec_lo, exec_lo, s18
	s_cbranch_execnz .LBB2_4436
.LBB2_4116:                             ;   in Loop: Header=BB2_3840 Depth=3
	s_or_b32 exec_lo, exec_lo, s18
	v_lshl_or_b32 v105, v105, 16, v106
	s_and_saveexec_b32 s18, s17
	s_cbranch_execz .LBB2_4118
.LBB2_4117:                             ;   in Loop: Header=BB2_3840 Depth=3
	v_bfe_u32 v90, v105, 16, 2
	v_bfe_u32 v108, v105, 18, 5
	v_lshlrev_b32_e32 v109, 8, v105
	v_ffbh_u32_e32 v106, v90
	v_cmp_eq_u32_e32 vcc_lo, 0, v108
	v_min_u32_e32 v106, 32, v106
	v_subrev_nc_u32_e32 v107, 29, v106
	v_sub_nc_u32_e32 v106, 30, v106
	v_lshlrev_b32_sdwa v107, v107, v105 dst_sel:DWORD dst_unused:UNUSED_PAD src0_sel:DWORD src1_sel:WORD_1
	v_cndmask_b32_e32 v106, v108, v106, vcc_lo
	v_and_b32_e32 v107, 3, v107
	v_lshl_add_u32 v106, v106, 23, 0x37800000
	v_cndmask_b32_e32 v90, v90, v107, vcc_lo
	v_and_b32_e32 v107, 0x80000000, v109
	v_lshlrev_b32_e32 v90, 21, v90
	v_or3_b32 v90, v107, v106, v90
.LBB2_4118:                             ;   in Loop: Header=BB2_3840 Depth=3
	s_or_b32 exec_lo, exec_lo, s18
	v_and_b32_sdwa v107, v8, v101 dst_sel:DWORD dst_unused:UNUSED_PAD src0_sel:WORD_1 src1_sel:DWORD
	s_mov_b32 s17, 0
	s_mov_b32 s18, exec_lo
	v_cmpx_lt_i16_e32 0x7f, v107
	s_xor_b32 s18, exec_lo, s18
	s_cbranch_execz .LBB2_4437
; %bb.4119:                             ;   in Loop: Header=BB2_3840 Depth=3
	s_mov_b32 s17, -1
	s_mov_b32 s22, exec_lo
	v_cmpx_eq_u16_e32 0x80, v107
; %bb.4120:                             ;   in Loop: Header=BB2_3840 Depth=3
	s_xor_b32 s17, exec_lo, -1
; %bb.4121:                             ;   in Loop: Header=BB2_3840 Depth=3
	s_or_b32 exec_lo, exec_lo, s22
	s_and_b32 s17, s17, exec_lo
                                        ; implicit-def: $vgpr107
	s_or_saveexec_b32 s18, s18
	v_mov_b32_e32 v106, 0x7f800001
	s_xor_b32 exec_lo, exec_lo, s18
	s_cbranch_execnz .LBB2_4438
.LBB2_4122:                             ;   in Loop: Header=BB2_3840 Depth=3
	s_or_b32 exec_lo, exec_lo, s18
	s_and_saveexec_b32 s18, s17
	s_cbranch_execz .LBB2_4124
.LBB2_4123:                             ;   in Loop: Header=BB2_3840 Depth=3
	v_and_b32_sdwa v106, v8, v103 dst_sel:DWORD dst_unused:UNUSED_PAD src0_sel:WORD_1 src1_sel:DWORD
	v_bfe_u32 v109, v8, 18, 5
	v_lshlrev_b32_sdwa v110, v100, v8 dst_sel:DWORD dst_unused:UNUSED_PAD src0_sel:DWORD src1_sel:WORD_1
	v_ffbh_u32_e32 v107, v106
	v_cmp_eq_u32_e32 vcc_lo, 0, v109
	v_min_u32_e32 v107, 32, v107
	v_subrev_nc_u32_e32 v108, 29, v107
	v_sub_nc_u32_e32 v107, 30, v107
	v_lshlrev_b32_sdwa v108, v108, v8 dst_sel:DWORD dst_unused:UNUSED_PAD src0_sel:DWORD src1_sel:WORD_1
	v_cndmask_b32_e32 v107, v109, v107, vcc_lo
	v_and_b32_e32 v108, 3, v108
	v_lshl_add_u32 v107, v107, 23, 0x37800000
	v_cndmask_b32_e32 v106, v106, v108, vcc_lo
	v_and_b32_e32 v108, 0x80000000, v110
	v_lshlrev_b32_e32 v106, 21, v106
	v_or3_b32 v106, v108, v107, v106
.LBB2_4124:                             ;   in Loop: Header=BB2_3840 Depth=3
	s_or_b32 exec_lo, exec_lo, s18
	v_add_f32_e32 v106, v90, v106
	v_and_b32_e32 v90, 0x7f800000, v106
	v_cmp_ne_u32_e32 vcc_lo, 0x7f800000, v90
	v_mov_b32_e32 v90, 0x80
	s_and_saveexec_b32 s18, vcc_lo
	s_cbranch_execz .LBB2_4132
; %bb.4125:                             ;   in Loop: Header=BB2_3840 Depth=3
	v_mov_b32_e32 v90, 0
	s_mov_b32 s22, exec_lo
	v_cmpx_ne_u32_e32 0, v106
	s_cbranch_execz .LBB2_4131
; %bb.4126:                             ;   in Loop: Header=BB2_3840 Depth=3
	v_bfe_u32 v90, v106, 23, 8
	v_and_b32_e32 v107, 0x7fffff, v106
	v_sub_nc_u32_e32 v108, 0x70, v90
	v_cmp_gt_u32_e32 vcc_lo, 0x71, v90
	v_or_b32_e32 v109, 0x800000, v107
	v_cndmask_b32_e32 v108, 0, v108, vcc_lo
	v_cmp_eq_u32_e32 vcc_lo, 0, v90
	v_add_nc_u32_e32 v90, 0xffffff91, v90
	v_cndmask_b32_e64 v108, v108, 0x6f, vcc_lo
	v_cndmask_b32_e32 v107, v109, v107, vcc_lo
	v_cndmask_b32_e64 v90, v90, 0xffffff92, vcc_lo
	v_lshl_add_u32 v109, 0x200000, v108, -1
	v_lshrrev_b32_e32 v110, v108, v107
	v_lshlrev_b32_e64 v120, v108, 0x100000
	v_add_nc_u32_e32 v108, v108, v90
	v_and_b32_e32 v107, v109, v107
	v_bfe_u32 v111, v110, 21, 1
	v_cmp_eq_u32_e64 s17, v107, v120
	v_add_nc_u32_e32 v109, -1, v111
	v_cndmask_b32_e64 v107, 0, v109, s17
	v_lshrrev_b32_e32 v109, 23, v110
	s_mov_b32 s17, exec_lo
	v_add_nc_u32_e32 v107, v107, v110
	v_xor_b32_e32 v109, 1, v109
	v_and_b32_e32 v90, 0x1fffff, v107
	v_add_nc_u32_e32 v107, v90, v110
                                        ; implicit-def: $vgpr90
	v_cmpx_ne_u32_e64 v108, v109
	s_xor_b32 s17, exec_lo, s17
; %bb.4127:                             ;   in Loop: Header=BB2_3840 Depth=3
	v_cmp_lt_u32_e32 vcc_lo, 0xffffff, v107
	v_sub_nc_u32_e32 v90, v108, v109
	v_cndmask_b32_e64 v108, 0, 1, vcc_lo
	v_add_co_ci_u32_e64 v90, null, 0, v90, vcc_lo
	v_lshrrev_b32_e32 v107, v108, v107
; %bb.4128:                             ;   in Loop: Header=BB2_3840 Depth=3
	s_andn2_saveexec_b32 s17, s17
; %bb.4129:                             ;   in Loop: Header=BB2_3840 Depth=3
	v_bfe_u32 v90, v107, 23, 1
; %bb.4130:                             ;   in Loop: Header=BB2_3840 Depth=3
	s_or_b32 exec_lo, exec_lo, s17
	v_lshrrev_b32_e32 v107, 21, v107
	v_min_i32_e32 v108, 31, v90
	v_cmp_gt_i32_e32 vcc_lo, 32, v90
	v_and_b32_sdwa v106, v106, v98 dst_sel:DWORD dst_unused:UNUSED_PAD src0_sel:BYTE_3 src1_sel:DWORD
	v_lshlrev_b32_e32 v108, 2, v108
	v_cndmask_b32_e32 v107, 3, v107, vcc_lo
	v_and_b32_e32 v108, 0xfc, v108
	v_and_b32_e32 v109, 3, v107
	v_or_b32_e32 v90, v90, v107
	v_or3_b32 v106, v108, v106, v109
	v_cmp_ne_u32_e32 vcc_lo, 0, v90
	v_cndmask_b32_e32 v90, 0, v106, vcc_lo
.LBB2_4131:                             ;   in Loop: Header=BB2_3840 Depth=3
	s_or_b32 exec_lo, exec_lo, s22
.LBB2_4132:                             ;   in Loop: Header=BB2_3840 Depth=3
	s_or_b32 exec_lo, exec_lo, s18
	v_cmp_gt_i16_sdwa s18, v105, v97 src0_sel:BYTE_3 src1_sel:DWORD
	s_mov_b32 s17, 0
	s_and_saveexec_b32 s22, s18
	s_xor_b32 s18, exec_lo, s22
	s_cbranch_execz .LBB2_4439
; %bb.4133:                             ;   in Loop: Header=BB2_3840 Depth=3
	v_cmp_eq_u16_sdwa s23, v105, v98 src0_sel:BYTE_3 src1_sel:DWORD
	s_mov_b32 s17, -1
	s_and_saveexec_b32 s22, s23
; %bb.4134:                             ;   in Loop: Header=BB2_3840 Depth=3
	s_xor_b32 s17, exec_lo, -1
; %bb.4135:                             ;   in Loop: Header=BB2_3840 Depth=3
	s_or_b32 exec_lo, exec_lo, s22
	s_and_b32 s17, s17, exec_lo
	s_or_saveexec_b32 s18, s18
	v_mov_b32_e32 v106, 0x7f800001
	s_xor_b32 exec_lo, exec_lo, s18
	s_cbranch_execnz .LBB2_4440
.LBB2_4136:                             ;   in Loop: Header=BB2_3840 Depth=3
	s_or_b32 exec_lo, exec_lo, s18
	s_and_saveexec_b32 s18, s17
	s_cbranch_execz .LBB2_4138
.LBB2_4137:                             ;   in Loop: Header=BB2_3840 Depth=3
	v_bfe_u32 v106, v105, 24, 2
	v_bfe_u32 v109, v105, 26, 5
	v_ffbh_u32_e32 v107, v106
	v_cmp_eq_u32_e32 vcc_lo, 0, v109
	v_min_u32_e32 v107, 32, v107
	v_subrev_nc_u32_e32 v108, 29, v107
	v_sub_nc_u32_e32 v107, 30, v107
	v_lshlrev_b32_sdwa v108, v108, v105 dst_sel:DWORD dst_unused:UNUSED_PAD src0_sel:DWORD src1_sel:BYTE_3
	v_cndmask_b32_e32 v107, v109, v107, vcc_lo
	v_and_b32_e32 v105, 0x80000000, v105
	v_and_b32_e32 v108, 3, v108
	v_lshl_add_u32 v107, v107, 23, 0x37800000
	v_cndmask_b32_e32 v106, v106, v108, vcc_lo
	v_lshlrev_b32_e32 v106, 21, v106
	v_or3_b32 v106, v105, v107, v106
.LBB2_4138:                             ;   in Loop: Header=BB2_3840 Depth=3
	s_or_b32 exec_lo, exec_lo, s18
	v_cmp_gt_i16_sdwa s18, v8, v97 src0_sel:BYTE_3 src1_sel:DWORD
	s_mov_b32 s17, 0
	s_and_saveexec_b32 s22, s18
	s_xor_b32 s18, exec_lo, s22
	s_cbranch_execz .LBB2_4441
; %bb.4139:                             ;   in Loop: Header=BB2_3840 Depth=3
	v_cmp_eq_u16_sdwa s23, v8, v98 src0_sel:BYTE_3 src1_sel:DWORD
	s_mov_b32 s17, -1
	s_and_saveexec_b32 s22, s23
; %bb.4140:                             ;   in Loop: Header=BB2_3840 Depth=3
	s_xor_b32 s17, exec_lo, -1
; %bb.4141:                             ;   in Loop: Header=BB2_3840 Depth=3
	s_or_b32 exec_lo, exec_lo, s22
	s_and_b32 s17, s17, exec_lo
	s_or_saveexec_b32 s18, s18
	v_mov_b32_e32 v105, 0x7f800001
	s_xor_b32 exec_lo, exec_lo, s18
	s_cbranch_execnz .LBB2_4442
.LBB2_4142:                             ;   in Loop: Header=BB2_3840 Depth=3
	s_or_b32 exec_lo, exec_lo, s18
	s_and_saveexec_b32 s18, s17
	s_cbranch_execz .LBB2_4144
.LBB2_4143:                             ;   in Loop: Header=BB2_3840 Depth=3
	v_and_b32_sdwa v105, v8, v103 dst_sel:DWORD dst_unused:UNUSED_PAD src0_sel:BYTE_3 src1_sel:DWORD
	v_bfe_u32 v109, v8, 26, 5
	v_ffbh_u32_e32 v107, v105
	v_cmp_eq_u32_e32 vcc_lo, 0, v109
	v_min_u32_e32 v107, 32, v107
	v_subrev_nc_u32_e32 v108, 29, v107
	v_sub_nc_u32_e32 v107, 30, v107
	v_lshlrev_b32_sdwa v108, v108, v8 dst_sel:DWORD dst_unused:UNUSED_PAD src0_sel:DWORD src1_sel:BYTE_3
	v_cndmask_b32_e32 v107, v109, v107, vcc_lo
	v_and_b32_e32 v8, 0x80000000, v8
	v_and_b32_e32 v108, 3, v108
	v_lshl_add_u32 v107, v107, 23, 0x37800000
	v_cndmask_b32_e32 v105, v105, v108, vcc_lo
	v_lshlrev_b32_e32 v105, 21, v105
	v_or3_b32 v105, v8, v107, v105
.LBB2_4144:                             ;   in Loop: Header=BB2_3840 Depth=3
	s_or_b32 exec_lo, exec_lo, s18
	v_add_f32_e32 v105, v106, v105
	v_and_b32_e32 v8, 0x7f800000, v105
	v_cmp_ne_u32_e32 vcc_lo, 0x7f800000, v8
	v_mov_b32_e32 v8, 0x8000
	s_and_saveexec_b32 s18, vcc_lo
	s_cbranch_execz .LBB2_4152
; %bb.4145:                             ;   in Loop: Header=BB2_3840 Depth=3
	v_mov_b32_e32 v8, 0
	s_mov_b32 s22, exec_lo
	v_cmpx_ne_u32_e32 0, v105
	s_cbranch_execz .LBB2_4151
; %bb.4146:                             ;   in Loop: Header=BB2_3840 Depth=3
	v_bfe_u32 v8, v105, 23, 8
	v_and_b32_e32 v106, 0x7fffff, v105
	v_sub_nc_u32_e32 v107, 0x70, v8
	v_cmp_gt_u32_e32 vcc_lo, 0x71, v8
	v_or_b32_e32 v108, 0x800000, v106
	v_cndmask_b32_e32 v107, 0, v107, vcc_lo
	v_cmp_eq_u32_e32 vcc_lo, 0, v8
	v_add_nc_u32_e32 v8, 0xffffff91, v8
	v_cndmask_b32_e64 v107, v107, 0x6f, vcc_lo
	v_cndmask_b32_e32 v106, v108, v106, vcc_lo
	v_cndmask_b32_e64 v8, v8, 0xffffff92, vcc_lo
	v_lshl_add_u32 v108, 0x200000, v107, -1
	v_lshrrev_b32_e32 v109, v107, v106
	v_lshlrev_b32_e64 v111, v107, 0x100000
	v_add_nc_u32_e32 v107, v107, v8
	v_and_b32_e32 v106, v108, v106
	v_bfe_u32 v110, v109, 21, 1
	v_cmp_eq_u32_e64 s17, v106, v111
	v_add_nc_u32_e32 v108, -1, v110
	v_cndmask_b32_e64 v106, 0, v108, s17
	v_lshrrev_b32_e32 v108, 23, v109
	s_mov_b32 s17, exec_lo
	v_add_nc_u32_e32 v106, v106, v109
	v_xor_b32_e32 v108, 1, v108
	v_and_b32_e32 v8, 0x1fffff, v106
	v_add_nc_u32_e32 v106, v8, v109
                                        ; implicit-def: $vgpr8
	v_cmpx_ne_u32_e64 v107, v108
	s_xor_b32 s17, exec_lo, s17
; %bb.4147:                             ;   in Loop: Header=BB2_3840 Depth=3
	v_cmp_lt_u32_e32 vcc_lo, 0xffffff, v106
	v_sub_nc_u32_e32 v8, v107, v108
	v_cndmask_b32_e64 v107, 0, 1, vcc_lo
	v_add_co_ci_u32_e64 v8, null, 0, v8, vcc_lo
	v_lshrrev_b32_e32 v106, v107, v106
; %bb.4148:                             ;   in Loop: Header=BB2_3840 Depth=3
	s_andn2_saveexec_b32 s17, s17
; %bb.4149:                             ;   in Loop: Header=BB2_3840 Depth=3
	v_bfe_u32 v8, v106, 23, 1
; %bb.4150:                             ;   in Loop: Header=BB2_3840 Depth=3
	s_or_b32 exec_lo, exec_lo, s17
	v_lshrrev_b32_e32 v106, 21, v106
	v_min_i32_e32 v107, 31, v8
	v_cmp_gt_i32_e32 vcc_lo, 32, v8
	v_and_b32_sdwa v105, v105, v98 dst_sel:DWORD dst_unused:UNUSED_PAD src0_sel:BYTE_3 src1_sel:DWORD
	v_lshlrev_b32_e32 v107, 2, v107
	v_cndmask_b32_e32 v106, 3, v106, vcc_lo
	v_and_b32_e32 v107, 0xfc, v107
	v_and_b32_e32 v108, 3, v106
	v_or_b32_e32 v8, v8, v106
	v_or3_b32 v105, v105, v107, v108
	v_cmp_ne_u32_e32 vcc_lo, 0, v8
	v_lshlrev_b32_e32 v105, 8, v105
	v_cndmask_b32_e32 v8, 0, v105, vcc_lo
.LBB2_4151:                             ;   in Loop: Header=BB2_3840 Depth=3
	s_or_b32 exec_lo, exec_lo, s22
.LBB2_4152:                             ;   in Loop: Header=BB2_3840 Depth=3
	s_or_b32 exec_lo, exec_lo, s18
	v_or_b32_e32 v105, v104, v94
	s_mov_b32 s17, 0
	v_cmp_gt_i16_sdwa s18, v105, v97 src0_sel:BYTE_0 src1_sel:DWORD
	s_and_saveexec_b32 s22, s18
	s_xor_b32 s18, exec_lo, s22
	s_cbranch_execz .LBB2_4443
; %bb.4153:                             ;   in Loop: Header=BB2_3840 Depth=3
	v_cmp_eq_u16_sdwa s23, v105, v98 src0_sel:BYTE_0 src1_sel:DWORD
	s_mov_b32 s17, -1
	s_and_saveexec_b32 s22, s23
; %bb.4154:                             ;   in Loop: Header=BB2_3840 Depth=3
	s_xor_b32 s17, exec_lo, -1
; %bb.4155:                             ;   in Loop: Header=BB2_3840 Depth=3
	s_or_b32 exec_lo, exec_lo, s22
	s_and_b32 s17, s17, exec_lo
	s_or_saveexec_b32 s18, s18
	v_mov_b32_e32 v94, 0x7f800001
	s_xor_b32 exec_lo, exec_lo, s18
	s_cbranch_execnz .LBB2_4444
.LBB2_4156:                             ;   in Loop: Header=BB2_3840 Depth=3
	s_or_b32 exec_lo, exec_lo, s18
	s_and_saveexec_b32 s18, s17
	s_cbranch_execz .LBB2_4158
.LBB2_4157:                             ;   in Loop: Header=BB2_3840 Depth=3
	v_and_b32_e32 v94, 3, v105
	v_bfe_u32 v107, v105, 2, 5
	v_lshlrev_b32_e32 v108, 24, v105
	v_ffbh_u32_e32 v104, v94
	v_cmp_eq_u32_e32 vcc_lo, 0, v107
	v_min_u32_e32 v104, 32, v104
	v_subrev_nc_u32_e32 v106, 29, v104
	v_sub_nc_u32_e32 v104, 30, v104
	v_lshlrev_b32_e32 v106, v106, v105
	v_cndmask_b32_e32 v104, v107, v104, vcc_lo
	v_and_b32_e32 v106, 3, v106
	v_lshl_add_u32 v104, v104, 23, 0x37800000
	v_cndmask_b32_e32 v94, v94, v106, vcc_lo
	v_and_b32_e32 v106, 0x80000000, v108
	v_lshlrev_b32_e32 v94, 21, v94
	v_or3_b32 v94, v106, v104, v94
.LBB2_4158:                             ;   in Loop: Header=BB2_3840 Depth=3
	s_or_b32 exec_lo, exec_lo, s18
	v_cmp_gt_i16_sdwa s18, v9, v97 src0_sel:BYTE_0 src1_sel:DWORD
	s_mov_b32 s17, 0
	s_and_saveexec_b32 s22, s18
	s_xor_b32 s18, exec_lo, s22
	s_cbranch_execz .LBB2_4445
; %bb.4159:                             ;   in Loop: Header=BB2_3840 Depth=3
	v_cmp_eq_u16_sdwa s23, v9, v98 src0_sel:BYTE_0 src1_sel:DWORD
	s_mov_b32 s17, -1
	s_and_saveexec_b32 s22, s23
; %bb.4160:                             ;   in Loop: Header=BB2_3840 Depth=3
	s_xor_b32 s17, exec_lo, -1
; %bb.4161:                             ;   in Loop: Header=BB2_3840 Depth=3
	s_or_b32 exec_lo, exec_lo, s22
	s_and_b32 s17, s17, exec_lo
	s_or_saveexec_b32 s18, s18
	v_mov_b32_e32 v104, 0x7f800001
	s_xor_b32 exec_lo, exec_lo, s18
	s_cbranch_execnz .LBB2_4446
.LBB2_4162:                             ;   in Loop: Header=BB2_3840 Depth=3
	s_or_b32 exec_lo, exec_lo, s18
	s_and_saveexec_b32 s18, s17
	s_cbranch_execz .LBB2_4164
.LBB2_4163:                             ;   in Loop: Header=BB2_3840 Depth=3
	v_and_b32_e32 v104, 3, v9
	v_bfe_u32 v108, v9, 2, 5
	v_lshlrev_b32_e32 v109, 24, v9
	v_ffbh_u32_e32 v106, v104
	v_cmp_eq_u32_e32 vcc_lo, 0, v108
	v_min_u32_e32 v106, 32, v106
	v_subrev_nc_u32_e32 v107, 29, v106
	v_sub_nc_u32_e32 v106, 30, v106
	v_lshlrev_b32_e32 v107, v107, v9
	v_cndmask_b32_e32 v106, v108, v106, vcc_lo
	v_and_b32_e32 v107, 3, v107
	v_lshl_add_u32 v106, v106, 23, 0x37800000
	v_cndmask_b32_e32 v104, v104, v107, vcc_lo
	v_and_b32_e32 v107, 0x80000000, v109
	v_lshlrev_b32_e32 v104, 21, v104
	v_or3_b32 v104, v107, v106, v104
.LBB2_4164:                             ;   in Loop: Header=BB2_3840 Depth=3
	s_or_b32 exec_lo, exec_lo, s18
	v_add_f32_e32 v104, v94, v104
	v_and_b32_e32 v94, 0x7f800000, v104
	v_cmp_ne_u32_e32 vcc_lo, 0x7f800000, v94
	v_mov_b32_e32 v94, 0x80
	s_and_saveexec_b32 s18, vcc_lo
	s_cbranch_execz .LBB2_4172
; %bb.4165:                             ;   in Loop: Header=BB2_3840 Depth=3
	v_mov_b32_e32 v94, 0
	s_mov_b32 s22, exec_lo
	v_cmpx_ne_u32_e32 0, v104
	s_cbranch_execz .LBB2_4171
; %bb.4166:                             ;   in Loop: Header=BB2_3840 Depth=3
	v_bfe_u32 v94, v104, 23, 8
	v_and_b32_e32 v106, 0x7fffff, v104
	v_sub_nc_u32_e32 v107, 0x70, v94
	v_cmp_gt_u32_e32 vcc_lo, 0x71, v94
	v_or_b32_e32 v108, 0x800000, v106
	v_cndmask_b32_e32 v107, 0, v107, vcc_lo
	v_cmp_eq_u32_e32 vcc_lo, 0, v94
	v_add_nc_u32_e32 v94, 0xffffff91, v94
	v_cndmask_b32_e64 v107, v107, 0x6f, vcc_lo
	v_cndmask_b32_e32 v106, v108, v106, vcc_lo
	v_cndmask_b32_e64 v94, v94, 0xffffff92, vcc_lo
	v_lshl_add_u32 v108, 0x200000, v107, -1
	v_lshrrev_b32_e32 v109, v107, v106
	v_lshlrev_b32_e64 v111, v107, 0x100000
	v_add_nc_u32_e32 v107, v107, v94
	v_and_b32_e32 v106, v108, v106
	v_bfe_u32 v110, v109, 21, 1
	v_cmp_eq_u32_e64 s17, v106, v111
	v_add_nc_u32_e32 v108, -1, v110
	v_cndmask_b32_e64 v106, 0, v108, s17
	v_lshrrev_b32_e32 v108, 23, v109
	s_mov_b32 s17, exec_lo
	v_add_nc_u32_e32 v106, v106, v109
	v_xor_b32_e32 v108, 1, v108
	v_and_b32_e32 v94, 0x1fffff, v106
	v_add_nc_u32_e32 v106, v94, v109
                                        ; implicit-def: $vgpr94
	v_cmpx_ne_u32_e64 v107, v108
	s_xor_b32 s17, exec_lo, s17
; %bb.4167:                             ;   in Loop: Header=BB2_3840 Depth=3
	v_cmp_lt_u32_e32 vcc_lo, 0xffffff, v106
	v_sub_nc_u32_e32 v94, v107, v108
	v_cndmask_b32_e64 v107, 0, 1, vcc_lo
	v_add_co_ci_u32_e64 v94, null, 0, v94, vcc_lo
	v_lshrrev_b32_e32 v106, v107, v106
; %bb.4168:                             ;   in Loop: Header=BB2_3840 Depth=3
	s_andn2_saveexec_b32 s17, s17
; %bb.4169:                             ;   in Loop: Header=BB2_3840 Depth=3
	v_bfe_u32 v94, v106, 23, 1
; %bb.4170:                             ;   in Loop: Header=BB2_3840 Depth=3
	s_or_b32 exec_lo, exec_lo, s17
	v_lshrrev_b32_e32 v106, 21, v106
	v_min_i32_e32 v107, 31, v94
	v_cmp_gt_i32_e32 vcc_lo, 32, v94
	v_and_b32_sdwa v104, v104, v98 dst_sel:DWORD dst_unused:UNUSED_PAD src0_sel:BYTE_3 src1_sel:DWORD
	v_lshlrev_b32_e32 v107, 2, v107
	v_cndmask_b32_e32 v106, 3, v106, vcc_lo
	v_and_b32_e32 v107, 0xfc, v107
	v_and_b32_e32 v108, 3, v106
	v_or_b32_e32 v94, v94, v106
	v_or3_b32 v104, v107, v104, v108
	v_cmp_ne_u32_e32 vcc_lo, 0, v94
	v_cndmask_b32_e32 v94, 0, v104, vcc_lo
.LBB2_4171:                             ;   in Loop: Header=BB2_3840 Depth=3
	s_or_b32 exec_lo, exec_lo, s22
.LBB2_4172:                             ;   in Loop: Header=BB2_3840 Depth=3
	s_or_b32 exec_lo, exec_lo, s18
	v_cmp_gt_i16_sdwa s18, v105, v97 src0_sel:BYTE_1 src1_sel:DWORD
	s_mov_b32 s17, 0
	s_and_saveexec_b32 s22, s18
	s_xor_b32 s18, exec_lo, s22
	s_cbranch_execz .LBB2_4447
; %bb.4173:                             ;   in Loop: Header=BB2_3840 Depth=3
	v_cmp_eq_u16_sdwa s23, v105, v98 src0_sel:BYTE_1 src1_sel:DWORD
	s_mov_b32 s17, -1
	s_and_saveexec_b32 s22, s23
; %bb.4174:                             ;   in Loop: Header=BB2_3840 Depth=3
	s_xor_b32 s17, exec_lo, -1
; %bb.4175:                             ;   in Loop: Header=BB2_3840 Depth=3
	s_or_b32 exec_lo, exec_lo, s22
	s_and_b32 s17, s17, exec_lo
	s_or_saveexec_b32 s18, s18
	v_mov_b32_e32 v104, 0x7f800001
	s_xor_b32 exec_lo, exec_lo, s18
	s_cbranch_execnz .LBB2_4448
.LBB2_4176:                             ;   in Loop: Header=BB2_3840 Depth=3
	s_or_b32 exec_lo, exec_lo, s18
	s_and_saveexec_b32 s18, s17
	s_cbranch_execz .LBB2_4178
.LBB2_4177:                             ;   in Loop: Header=BB2_3840 Depth=3
	v_and_b32_sdwa v104, v99, v105 dst_sel:DWORD dst_unused:UNUSED_PAD src0_sel:DWORD src1_sel:BYTE_1
	v_and_b32_e32 v106, 3, v104
	v_bfe_u32 v109, v104, 2, 5
	v_ffbh_u32_e32 v107, v106
	v_cmp_eq_u32_e32 vcc_lo, 0, v109
	v_min_u32_e32 v107, 32, v107
	v_subrev_nc_u32_e32 v108, 29, v107
	v_sub_nc_u32_e32 v107, 30, v107
	v_lshlrev_b32_e32 v104, v108, v104
	v_lshlrev_b32_sdwa v108, v100, v105 dst_sel:DWORD dst_unused:UNUSED_PAD src0_sel:DWORD src1_sel:BYTE_1
	v_cndmask_b32_e32 v107, v109, v107, vcc_lo
	v_and_b32_e32 v104, 3, v104
	v_lshl_add_u32 v107, v107, 23, 0x37800000
	v_cndmask_b32_e32 v104, v106, v104, vcc_lo
	v_and_b32_e32 v106, 0x80000000, v108
	v_lshlrev_b32_e32 v104, 21, v104
	v_or3_b32 v104, v106, v107, v104
.LBB2_4178:                             ;   in Loop: Header=BB2_3840 Depth=3
	s_or_b32 exec_lo, exec_lo, s18
	v_cmp_gt_i16_sdwa s18, v9, v97 src0_sel:BYTE_1 src1_sel:DWORD
	s_mov_b32 s17, 0
	s_and_saveexec_b32 s22, s18
	s_xor_b32 s18, exec_lo, s22
	s_cbranch_execz .LBB2_4449
; %bb.4179:                             ;   in Loop: Header=BB2_3840 Depth=3
	v_cmp_eq_u16_sdwa s23, v9, v98 src0_sel:BYTE_1 src1_sel:DWORD
	s_mov_b32 s17, -1
	s_and_saveexec_b32 s22, s23
; %bb.4180:                             ;   in Loop: Header=BB2_3840 Depth=3
	s_xor_b32 s17, exec_lo, -1
; %bb.4181:                             ;   in Loop: Header=BB2_3840 Depth=3
	s_or_b32 exec_lo, exec_lo, s22
	s_and_b32 s17, s17, exec_lo
	s_or_saveexec_b32 s18, s18
	v_mov_b32_e32 v106, 0x7f800001
	s_xor_b32 exec_lo, exec_lo, s18
	s_cbranch_execnz .LBB2_4450
.LBB2_4182:                             ;   in Loop: Header=BB2_3840 Depth=3
	s_or_b32 exec_lo, exec_lo, s18
	s_and_saveexec_b32 s18, s17
	s_cbranch_execz .LBB2_4184
.LBB2_4183:                             ;   in Loop: Header=BB2_3840 Depth=3
	v_and_b32_sdwa v106, v99, v9 dst_sel:DWORD dst_unused:UNUSED_PAD src0_sel:DWORD src1_sel:BYTE_1
	v_and_b32_e32 v107, 3, v106
	v_bfe_u32 v110, v106, 2, 5
	v_ffbh_u32_e32 v108, v107
	v_cmp_eq_u32_e32 vcc_lo, 0, v110
	v_min_u32_e32 v108, 32, v108
	v_subrev_nc_u32_e32 v109, 29, v108
	v_sub_nc_u32_e32 v108, 30, v108
	v_lshlrev_b32_e32 v106, v109, v106
	v_lshlrev_b32_sdwa v109, v100, v9 dst_sel:DWORD dst_unused:UNUSED_PAD src0_sel:DWORD src1_sel:BYTE_1
	v_cndmask_b32_e32 v108, v110, v108, vcc_lo
	v_and_b32_e32 v106, 3, v106
	v_lshl_add_u32 v108, v108, 23, 0x37800000
	v_cndmask_b32_e32 v106, v107, v106, vcc_lo
	v_and_b32_e32 v107, 0x80000000, v109
	v_lshlrev_b32_e32 v106, 21, v106
	v_or3_b32 v106, v107, v108, v106
.LBB2_4184:                             ;   in Loop: Header=BB2_3840 Depth=3
	s_or_b32 exec_lo, exec_lo, s18
	v_add_f32_e32 v106, v104, v106
	v_and_b32_e32 v104, 0x7f800000, v106
	v_cmp_ne_u32_e32 vcc_lo, 0x7f800000, v104
	v_mov_b32_e32 v104, 0x8000
	s_and_saveexec_b32 s18, vcc_lo
	s_cbranch_execz .LBB2_4192
; %bb.4185:                             ;   in Loop: Header=BB2_3840 Depth=3
	v_mov_b32_e32 v104, 0
	s_mov_b32 s22, exec_lo
	v_cmpx_ne_u32_e32 0, v106
	s_cbranch_execz .LBB2_4191
; %bb.4186:                             ;   in Loop: Header=BB2_3840 Depth=3
	v_bfe_u32 v104, v106, 23, 8
	v_and_b32_e32 v107, 0x7fffff, v106
	v_sub_nc_u32_e32 v108, 0x70, v104
	v_cmp_gt_u32_e32 vcc_lo, 0x71, v104
	v_or_b32_e32 v109, 0x800000, v107
	v_cndmask_b32_e32 v108, 0, v108, vcc_lo
	v_cmp_eq_u32_e32 vcc_lo, 0, v104
	v_add_nc_u32_e32 v104, 0xffffff91, v104
	v_cndmask_b32_e64 v108, v108, 0x6f, vcc_lo
	v_cndmask_b32_e32 v107, v109, v107, vcc_lo
	v_cndmask_b32_e64 v104, v104, 0xffffff92, vcc_lo
	v_lshl_add_u32 v109, 0x200000, v108, -1
	v_lshrrev_b32_e32 v110, v108, v107
	v_lshlrev_b32_e64 v120, v108, 0x100000
	v_add_nc_u32_e32 v108, v108, v104
	v_and_b32_e32 v107, v109, v107
	v_bfe_u32 v111, v110, 21, 1
	v_cmp_eq_u32_e64 s17, v107, v120
	v_add_nc_u32_e32 v109, -1, v111
	v_cndmask_b32_e64 v107, 0, v109, s17
	v_lshrrev_b32_e32 v109, 23, v110
	s_mov_b32 s17, exec_lo
	v_add_nc_u32_e32 v107, v107, v110
	v_xor_b32_e32 v109, 1, v109
	v_and_b32_e32 v104, 0x1fffff, v107
	v_add_nc_u32_e32 v107, v104, v110
                                        ; implicit-def: $vgpr104
	v_cmpx_ne_u32_e64 v108, v109
	s_xor_b32 s17, exec_lo, s17
; %bb.4187:                             ;   in Loop: Header=BB2_3840 Depth=3
	v_cmp_lt_u32_e32 vcc_lo, 0xffffff, v107
	v_sub_nc_u32_e32 v104, v108, v109
	v_cndmask_b32_e64 v108, 0, 1, vcc_lo
	v_add_co_ci_u32_e64 v104, null, 0, v104, vcc_lo
	v_lshrrev_b32_e32 v107, v108, v107
; %bb.4188:                             ;   in Loop: Header=BB2_3840 Depth=3
	s_andn2_saveexec_b32 s17, s17
; %bb.4189:                             ;   in Loop: Header=BB2_3840 Depth=3
	v_bfe_u32 v104, v107, 23, 1
; %bb.4190:                             ;   in Loop: Header=BB2_3840 Depth=3
	s_or_b32 exec_lo, exec_lo, s17
	v_lshrrev_b32_e32 v107, 21, v107
	v_min_i32_e32 v108, 31, v104
	v_cmp_gt_i32_e32 vcc_lo, 32, v104
	v_and_b32_sdwa v106, v106, v98 dst_sel:DWORD dst_unused:UNUSED_PAD src0_sel:BYTE_3 src1_sel:DWORD
	v_lshlrev_b32_e32 v108, 2, v108
	v_cndmask_b32_e32 v107, 3, v107, vcc_lo
	v_and_b32_e32 v108, 0xfc, v108
	v_and_b32_e32 v109, 3, v107
	v_or_b32_e32 v104, v104, v107
	v_or3_b32 v106, v106, v108, v109
	v_cmp_ne_u32_e32 vcc_lo, 0, v104
	v_lshlrev_b32_e32 v106, 8, v106
	v_cndmask_b32_e32 v104, 0, v106, vcc_lo
.LBB2_4191:                             ;   in Loop: Header=BB2_3840 Depth=3
	s_or_b32 exec_lo, exec_lo, s22
.LBB2_4192:                             ;   in Loop: Header=BB2_3840 Depth=3
	s_or_b32 exec_lo, exec_lo, s18
	v_or_b32_e32 v95, v95, v92
	s_mov_b32 s17, 0
	v_cmp_gt_i16_sdwa s18, v95, v97 src0_sel:BYTE_0 src1_sel:DWORD
	s_and_saveexec_b32 s22, s18
	s_xor_b32 s18, exec_lo, s22
	s_cbranch_execz .LBB2_4451
; %bb.4193:                             ;   in Loop: Header=BB2_3840 Depth=3
	v_cmp_eq_u16_sdwa s23, v95, v98 src0_sel:BYTE_0 src1_sel:DWORD
	s_mov_b32 s17, -1
	s_and_saveexec_b32 s22, s23
; %bb.4194:                             ;   in Loop: Header=BB2_3840 Depth=3
	s_xor_b32 s17, exec_lo, -1
; %bb.4195:                             ;   in Loop: Header=BB2_3840 Depth=3
	s_or_b32 exec_lo, exec_lo, s22
	s_and_b32 s17, s17, exec_lo
	s_or_saveexec_b32 s18, s18
	v_mov_b32_e32 v92, 0x7f800001
	s_xor_b32 exec_lo, exec_lo, s18
	s_cbranch_execnz .LBB2_4452
.LBB2_4196:                             ;   in Loop: Header=BB2_3840 Depth=3
	s_or_b32 exec_lo, exec_lo, s18
	v_lshl_or_b32 v95, v95, 16, v105
	s_and_saveexec_b32 s18, s17
	s_cbranch_execz .LBB2_4198
.LBB2_4197:                             ;   in Loop: Header=BB2_3840 Depth=3
	v_bfe_u32 v92, v95, 16, 2
	v_bfe_u32 v107, v95, 18, 5
	v_lshlrev_b32_e32 v108, 8, v95
	v_ffbh_u32_e32 v105, v92
	v_cmp_eq_u32_e32 vcc_lo, 0, v107
	v_min_u32_e32 v105, 32, v105
	v_subrev_nc_u32_e32 v106, 29, v105
	v_sub_nc_u32_e32 v105, 30, v105
	v_lshlrev_b32_sdwa v106, v106, v95 dst_sel:DWORD dst_unused:UNUSED_PAD src0_sel:DWORD src1_sel:WORD_1
	v_cndmask_b32_e32 v105, v107, v105, vcc_lo
	v_and_b32_e32 v106, 3, v106
	v_lshl_add_u32 v105, v105, 23, 0x37800000
	v_cndmask_b32_e32 v92, v92, v106, vcc_lo
	v_and_b32_e32 v106, 0x80000000, v108
	v_lshlrev_b32_e32 v92, 21, v92
	v_or3_b32 v92, v106, v105, v92
.LBB2_4198:                             ;   in Loop: Header=BB2_3840 Depth=3
	s_or_b32 exec_lo, exec_lo, s18
	v_and_b32_sdwa v106, v9, v101 dst_sel:DWORD dst_unused:UNUSED_PAD src0_sel:WORD_1 src1_sel:DWORD
	s_mov_b32 s17, 0
	s_mov_b32 s18, exec_lo
	v_cmpx_lt_i16_e32 0x7f, v106
	s_xor_b32 s18, exec_lo, s18
	s_cbranch_execz .LBB2_4453
; %bb.4199:                             ;   in Loop: Header=BB2_3840 Depth=3
	s_mov_b32 s17, -1
	s_mov_b32 s22, exec_lo
	v_cmpx_eq_u16_e32 0x80, v106
; %bb.4200:                             ;   in Loop: Header=BB2_3840 Depth=3
	s_xor_b32 s17, exec_lo, -1
; %bb.4201:                             ;   in Loop: Header=BB2_3840 Depth=3
	s_or_b32 exec_lo, exec_lo, s22
	s_and_b32 s17, s17, exec_lo
                                        ; implicit-def: $vgpr106
	s_or_saveexec_b32 s18, s18
	v_mov_b32_e32 v105, 0x7f800001
	s_xor_b32 exec_lo, exec_lo, s18
	s_cbranch_execnz .LBB2_4454
.LBB2_4202:                             ;   in Loop: Header=BB2_3840 Depth=3
	s_or_b32 exec_lo, exec_lo, s18
	s_and_saveexec_b32 s18, s17
	s_cbranch_execz .LBB2_4204
.LBB2_4203:                             ;   in Loop: Header=BB2_3840 Depth=3
	v_and_b32_sdwa v105, v9, v103 dst_sel:DWORD dst_unused:UNUSED_PAD src0_sel:WORD_1 src1_sel:DWORD
	v_bfe_u32 v108, v9, 18, 5
	v_lshlrev_b32_sdwa v109, v100, v9 dst_sel:DWORD dst_unused:UNUSED_PAD src0_sel:DWORD src1_sel:WORD_1
	v_ffbh_u32_e32 v106, v105
	v_cmp_eq_u32_e32 vcc_lo, 0, v108
	v_min_u32_e32 v106, 32, v106
	v_subrev_nc_u32_e32 v107, 29, v106
	v_sub_nc_u32_e32 v106, 30, v106
	v_lshlrev_b32_sdwa v107, v107, v9 dst_sel:DWORD dst_unused:UNUSED_PAD src0_sel:DWORD src1_sel:WORD_1
	v_cndmask_b32_e32 v106, v108, v106, vcc_lo
	v_and_b32_e32 v107, 3, v107
	v_lshl_add_u32 v106, v106, 23, 0x37800000
	v_cndmask_b32_e32 v105, v105, v107, vcc_lo
	v_and_b32_e32 v107, 0x80000000, v109
	v_lshlrev_b32_e32 v105, 21, v105
	v_or3_b32 v105, v107, v106, v105
.LBB2_4204:                             ;   in Loop: Header=BB2_3840 Depth=3
	s_or_b32 exec_lo, exec_lo, s18
	v_add_f32_e32 v105, v92, v105
	v_and_b32_e32 v92, 0x7f800000, v105
	v_cmp_ne_u32_e32 vcc_lo, 0x7f800000, v92
	v_mov_b32_e32 v92, 0x80
	s_and_saveexec_b32 s18, vcc_lo
	s_cbranch_execz .LBB2_4212
; %bb.4205:                             ;   in Loop: Header=BB2_3840 Depth=3
	v_mov_b32_e32 v92, 0
	s_mov_b32 s22, exec_lo
	v_cmpx_ne_u32_e32 0, v105
	s_cbranch_execz .LBB2_4211
; %bb.4206:                             ;   in Loop: Header=BB2_3840 Depth=3
	v_bfe_u32 v92, v105, 23, 8
	v_and_b32_e32 v106, 0x7fffff, v105
	v_sub_nc_u32_e32 v107, 0x70, v92
	v_cmp_gt_u32_e32 vcc_lo, 0x71, v92
	v_or_b32_e32 v108, 0x800000, v106
	v_cndmask_b32_e32 v107, 0, v107, vcc_lo
	v_cmp_eq_u32_e32 vcc_lo, 0, v92
	v_add_nc_u32_e32 v92, 0xffffff91, v92
	v_cndmask_b32_e64 v107, v107, 0x6f, vcc_lo
	v_cndmask_b32_e32 v106, v108, v106, vcc_lo
	v_cndmask_b32_e64 v92, v92, 0xffffff92, vcc_lo
	v_lshl_add_u32 v108, 0x200000, v107, -1
	v_lshrrev_b32_e32 v109, v107, v106
	v_lshlrev_b32_e64 v111, v107, 0x100000
	v_add_nc_u32_e32 v107, v107, v92
	v_and_b32_e32 v106, v108, v106
	v_bfe_u32 v110, v109, 21, 1
	v_cmp_eq_u32_e64 s17, v106, v111
	v_add_nc_u32_e32 v108, -1, v110
	v_cndmask_b32_e64 v106, 0, v108, s17
	v_lshrrev_b32_e32 v108, 23, v109
	s_mov_b32 s17, exec_lo
	v_add_nc_u32_e32 v106, v106, v109
	v_xor_b32_e32 v108, 1, v108
	v_and_b32_e32 v92, 0x1fffff, v106
	v_add_nc_u32_e32 v106, v92, v109
                                        ; implicit-def: $vgpr92
	v_cmpx_ne_u32_e64 v107, v108
	s_xor_b32 s17, exec_lo, s17
; %bb.4207:                             ;   in Loop: Header=BB2_3840 Depth=3
	v_cmp_lt_u32_e32 vcc_lo, 0xffffff, v106
	v_sub_nc_u32_e32 v92, v107, v108
	v_cndmask_b32_e64 v107, 0, 1, vcc_lo
	v_add_co_ci_u32_e64 v92, null, 0, v92, vcc_lo
	v_lshrrev_b32_e32 v106, v107, v106
; %bb.4208:                             ;   in Loop: Header=BB2_3840 Depth=3
	s_andn2_saveexec_b32 s17, s17
; %bb.4209:                             ;   in Loop: Header=BB2_3840 Depth=3
	v_bfe_u32 v92, v106, 23, 1
; %bb.4210:                             ;   in Loop: Header=BB2_3840 Depth=3
	s_or_b32 exec_lo, exec_lo, s17
	v_lshrrev_b32_e32 v106, 21, v106
	v_min_i32_e32 v107, 31, v92
	v_cmp_gt_i32_e32 vcc_lo, 32, v92
	v_and_b32_sdwa v105, v105, v98 dst_sel:DWORD dst_unused:UNUSED_PAD src0_sel:BYTE_3 src1_sel:DWORD
	v_lshlrev_b32_e32 v107, 2, v107
	v_cndmask_b32_e32 v106, 3, v106, vcc_lo
	v_and_b32_e32 v107, 0xfc, v107
	v_and_b32_e32 v108, 3, v106
	v_or_b32_e32 v92, v92, v106
	v_or3_b32 v105, v107, v105, v108
	v_cmp_ne_u32_e32 vcc_lo, 0, v92
	v_cndmask_b32_e32 v92, 0, v105, vcc_lo
.LBB2_4211:                             ;   in Loop: Header=BB2_3840 Depth=3
	s_or_b32 exec_lo, exec_lo, s22
.LBB2_4212:                             ;   in Loop: Header=BB2_3840 Depth=3
	s_or_b32 exec_lo, exec_lo, s18
	v_cmp_gt_i16_sdwa s18, v95, v97 src0_sel:BYTE_3 src1_sel:DWORD
	s_mov_b32 s17, 0
	s_and_saveexec_b32 s22, s18
	s_xor_b32 s18, exec_lo, s22
	s_cbranch_execz .LBB2_4455
; %bb.4213:                             ;   in Loop: Header=BB2_3840 Depth=3
	v_cmp_eq_u16_sdwa s23, v95, v98 src0_sel:BYTE_3 src1_sel:DWORD
	s_mov_b32 s17, -1
	s_and_saveexec_b32 s22, s23
; %bb.4214:                             ;   in Loop: Header=BB2_3840 Depth=3
	s_xor_b32 s17, exec_lo, -1
; %bb.4215:                             ;   in Loop: Header=BB2_3840 Depth=3
	s_or_b32 exec_lo, exec_lo, s22
	s_and_b32 s17, s17, exec_lo
	s_or_saveexec_b32 s18, s18
	v_mov_b32_e32 v105, 0x7f800001
	s_xor_b32 exec_lo, exec_lo, s18
	s_cbranch_execnz .LBB2_4456
.LBB2_4216:                             ;   in Loop: Header=BB2_3840 Depth=3
	s_or_b32 exec_lo, exec_lo, s18
	s_and_saveexec_b32 s18, s17
	s_cbranch_execz .LBB2_4218
.LBB2_4217:                             ;   in Loop: Header=BB2_3840 Depth=3
	v_bfe_u32 v105, v95, 24, 2
	v_bfe_u32 v108, v95, 26, 5
	v_ffbh_u32_e32 v106, v105
	v_cmp_eq_u32_e32 vcc_lo, 0, v108
	v_min_u32_e32 v106, 32, v106
	v_subrev_nc_u32_e32 v107, 29, v106
	v_sub_nc_u32_e32 v106, 30, v106
	v_lshlrev_b32_sdwa v107, v107, v95 dst_sel:DWORD dst_unused:UNUSED_PAD src0_sel:DWORD src1_sel:BYTE_3
	v_cndmask_b32_e32 v106, v108, v106, vcc_lo
	v_and_b32_e32 v95, 0x80000000, v95
	v_and_b32_e32 v107, 3, v107
	v_lshl_add_u32 v106, v106, 23, 0x37800000
	v_cndmask_b32_e32 v105, v105, v107, vcc_lo
	v_lshlrev_b32_e32 v105, 21, v105
	v_or3_b32 v105, v95, v106, v105
.LBB2_4218:                             ;   in Loop: Header=BB2_3840 Depth=3
	s_or_b32 exec_lo, exec_lo, s18
	v_cmp_gt_i16_sdwa s18, v9, v97 src0_sel:BYTE_3 src1_sel:DWORD
	s_mov_b32 s17, 0
	s_and_saveexec_b32 s22, s18
	s_xor_b32 s18, exec_lo, s22
	s_cbranch_execz .LBB2_4457
; %bb.4219:                             ;   in Loop: Header=BB2_3840 Depth=3
	v_cmp_eq_u16_sdwa s23, v9, v98 src0_sel:BYTE_3 src1_sel:DWORD
	s_mov_b32 s17, -1
	s_and_saveexec_b32 s22, s23
; %bb.4220:                             ;   in Loop: Header=BB2_3840 Depth=3
	s_xor_b32 s17, exec_lo, -1
; %bb.4221:                             ;   in Loop: Header=BB2_3840 Depth=3
	s_or_b32 exec_lo, exec_lo, s22
	s_and_b32 s17, s17, exec_lo
	s_or_saveexec_b32 s18, s18
	v_mov_b32_e32 v95, 0x7f800001
	s_xor_b32 exec_lo, exec_lo, s18
	s_cbranch_execnz .LBB2_4458
.LBB2_4222:                             ;   in Loop: Header=BB2_3840 Depth=3
	s_or_b32 exec_lo, exec_lo, s18
	s_and_saveexec_b32 s18, s17
	s_cbranch_execz .LBB2_4224
.LBB2_4223:                             ;   in Loop: Header=BB2_3840 Depth=3
	v_and_b32_sdwa v95, v9, v103 dst_sel:DWORD dst_unused:UNUSED_PAD src0_sel:BYTE_3 src1_sel:DWORD
	v_bfe_u32 v108, v9, 26, 5
	v_ffbh_u32_e32 v106, v95
	v_cmp_eq_u32_e32 vcc_lo, 0, v108
	v_min_u32_e32 v106, 32, v106
	v_subrev_nc_u32_e32 v107, 29, v106
	v_sub_nc_u32_e32 v106, 30, v106
	v_lshlrev_b32_sdwa v107, v107, v9 dst_sel:DWORD dst_unused:UNUSED_PAD src0_sel:DWORD src1_sel:BYTE_3
	v_cndmask_b32_e32 v106, v108, v106, vcc_lo
	v_and_b32_e32 v9, 0x80000000, v9
	v_and_b32_e32 v107, 3, v107
	v_lshl_add_u32 v106, v106, 23, 0x37800000
	v_cndmask_b32_e32 v95, v95, v107, vcc_lo
	v_lshlrev_b32_e32 v95, 21, v95
	v_or3_b32 v95, v9, v106, v95
.LBB2_4224:                             ;   in Loop: Header=BB2_3840 Depth=3
	s_or_b32 exec_lo, exec_lo, s18
	v_add_f32_e32 v95, v105, v95
	v_and_b32_e32 v9, 0x7f800000, v95
	v_cmp_ne_u32_e32 vcc_lo, 0x7f800000, v9
	v_mov_b32_e32 v9, 0x8000
	s_and_saveexec_b32 s18, vcc_lo
	s_cbranch_execz .LBB2_4232
; %bb.4225:                             ;   in Loop: Header=BB2_3840 Depth=3
	v_mov_b32_e32 v9, 0
	s_mov_b32 s22, exec_lo
	v_cmpx_ne_u32_e32 0, v95
	s_cbranch_execz .LBB2_4231
; %bb.4226:                             ;   in Loop: Header=BB2_3840 Depth=3
	v_bfe_u32 v9, v95, 23, 8
	v_and_b32_e32 v105, 0x7fffff, v95
	v_sub_nc_u32_e32 v106, 0x70, v9
	v_cmp_gt_u32_e32 vcc_lo, 0x71, v9
	v_or_b32_e32 v107, 0x800000, v105
	v_cndmask_b32_e32 v106, 0, v106, vcc_lo
	v_cmp_eq_u32_e32 vcc_lo, 0, v9
	v_add_nc_u32_e32 v9, 0xffffff91, v9
	v_cndmask_b32_e64 v106, v106, 0x6f, vcc_lo
	v_cndmask_b32_e32 v105, v107, v105, vcc_lo
	v_cndmask_b32_e64 v9, v9, 0xffffff92, vcc_lo
	v_lshl_add_u32 v107, 0x200000, v106, -1
	v_lshrrev_b32_e32 v108, v106, v105
	v_lshlrev_b32_e64 v110, v106, 0x100000
	v_add_nc_u32_e32 v106, v106, v9
	v_and_b32_e32 v105, v107, v105
	v_bfe_u32 v109, v108, 21, 1
	v_cmp_eq_u32_e64 s17, v105, v110
	v_add_nc_u32_e32 v107, -1, v109
	v_cndmask_b32_e64 v105, 0, v107, s17
	v_lshrrev_b32_e32 v107, 23, v108
	s_mov_b32 s17, exec_lo
	v_add_nc_u32_e32 v105, v105, v108
	v_xor_b32_e32 v107, 1, v107
	v_and_b32_e32 v9, 0x1fffff, v105
	v_add_nc_u32_e32 v105, v9, v108
                                        ; implicit-def: $vgpr9
	v_cmpx_ne_u32_e64 v106, v107
	s_xor_b32 s17, exec_lo, s17
; %bb.4227:                             ;   in Loop: Header=BB2_3840 Depth=3
	v_cmp_lt_u32_e32 vcc_lo, 0xffffff, v105
	v_sub_nc_u32_e32 v9, v106, v107
	v_cndmask_b32_e64 v106, 0, 1, vcc_lo
	v_add_co_ci_u32_e64 v9, null, 0, v9, vcc_lo
	v_lshrrev_b32_e32 v105, v106, v105
; %bb.4228:                             ;   in Loop: Header=BB2_3840 Depth=3
	s_andn2_saveexec_b32 s17, s17
; %bb.4229:                             ;   in Loop: Header=BB2_3840 Depth=3
	v_bfe_u32 v9, v105, 23, 1
; %bb.4230:                             ;   in Loop: Header=BB2_3840 Depth=3
	s_or_b32 exec_lo, exec_lo, s17
	v_lshrrev_b32_e32 v105, 21, v105
	v_min_i32_e32 v106, 31, v9
	v_cmp_gt_i32_e32 vcc_lo, 32, v9
	v_and_b32_sdwa v95, v95, v98 dst_sel:DWORD dst_unused:UNUSED_PAD src0_sel:BYTE_3 src1_sel:DWORD
	v_lshlrev_b32_e32 v106, 2, v106
	v_cndmask_b32_e32 v105, 3, v105, vcc_lo
	v_and_b32_e32 v106, 0xfc, v106
	v_and_b32_e32 v107, 3, v105
	v_or_b32_e32 v9, v9, v105
	v_or3_b32 v95, v95, v106, v107
	v_cmp_ne_u32_e32 vcc_lo, 0, v9
	v_lshlrev_b32_e32 v95, 8, v95
	v_cndmask_b32_e32 v9, 0, v95, vcc_lo
.LBB2_4231:                             ;   in Loop: Header=BB2_3840 Depth=3
	s_or_b32 exec_lo, exec_lo, s22
.LBB2_4232:                             ;   in Loop: Header=BB2_3840 Depth=3
	s_or_b32 exec_lo, exec_lo, s18
	v_or_b32_e32 v95, v93, v89
	s_mov_b32 s17, 0
	v_cmp_gt_i16_sdwa s18, v95, v97 src0_sel:BYTE_0 src1_sel:DWORD
	s_and_saveexec_b32 s22, s18
	s_xor_b32 s18, exec_lo, s22
	s_cbranch_execz .LBB2_4459
; %bb.4233:                             ;   in Loop: Header=BB2_3840 Depth=3
	v_cmp_eq_u16_sdwa s23, v95, v98 src0_sel:BYTE_0 src1_sel:DWORD
	s_mov_b32 s17, -1
	s_and_saveexec_b32 s22, s23
; %bb.4234:                             ;   in Loop: Header=BB2_3840 Depth=3
	s_xor_b32 s17, exec_lo, -1
; %bb.4235:                             ;   in Loop: Header=BB2_3840 Depth=3
	s_or_b32 exec_lo, exec_lo, s22
	s_and_b32 s17, s17, exec_lo
	s_or_saveexec_b32 s18, s18
	v_mov_b32_e32 v89, 0x7f800001
	s_xor_b32 exec_lo, exec_lo, s18
	s_cbranch_execnz .LBB2_4460
.LBB2_4236:                             ;   in Loop: Header=BB2_3840 Depth=3
	s_or_b32 exec_lo, exec_lo, s18
	s_and_saveexec_b32 s18, s17
	s_cbranch_execz .LBB2_4238
.LBB2_4237:                             ;   in Loop: Header=BB2_3840 Depth=3
	v_and_b32_e32 v89, 3, v95
	v_bfe_u32 v106, v95, 2, 5
	v_lshlrev_b32_e32 v107, 24, v95
	v_ffbh_u32_e32 v93, v89
	v_cmp_eq_u32_e32 vcc_lo, 0, v106
	v_min_u32_e32 v93, 32, v93
	v_subrev_nc_u32_e32 v105, 29, v93
	v_sub_nc_u32_e32 v93, 30, v93
	v_lshlrev_b32_e32 v105, v105, v95
	v_cndmask_b32_e32 v93, v106, v93, vcc_lo
	v_and_b32_e32 v105, 3, v105
	v_lshl_add_u32 v93, v93, 23, 0x37800000
	v_cndmask_b32_e32 v89, v89, v105, vcc_lo
	v_and_b32_e32 v105, 0x80000000, v107
	v_lshlrev_b32_e32 v89, 21, v89
	v_or3_b32 v89, v105, v93, v89
.LBB2_4238:                             ;   in Loop: Header=BB2_3840 Depth=3
	s_or_b32 exec_lo, exec_lo, s18
	v_cmp_gt_i16_sdwa s18, v10, v97 src0_sel:BYTE_0 src1_sel:DWORD
	s_mov_b32 s17, 0
	s_and_saveexec_b32 s22, s18
	s_xor_b32 s18, exec_lo, s22
	s_cbranch_execz .LBB2_4461
; %bb.4239:                             ;   in Loop: Header=BB2_3840 Depth=3
	v_cmp_eq_u16_sdwa s23, v10, v98 src0_sel:BYTE_0 src1_sel:DWORD
	s_mov_b32 s17, -1
	s_and_saveexec_b32 s22, s23
; %bb.4240:                             ;   in Loop: Header=BB2_3840 Depth=3
	s_xor_b32 s17, exec_lo, -1
; %bb.4241:                             ;   in Loop: Header=BB2_3840 Depth=3
	s_or_b32 exec_lo, exec_lo, s22
	s_and_b32 s17, s17, exec_lo
	s_or_saveexec_b32 s18, s18
	v_mov_b32_e32 v93, 0x7f800001
	s_xor_b32 exec_lo, exec_lo, s18
	s_cbranch_execnz .LBB2_4462
.LBB2_4242:                             ;   in Loop: Header=BB2_3840 Depth=3
	s_or_b32 exec_lo, exec_lo, s18
	s_and_saveexec_b32 s18, s17
	s_cbranch_execz .LBB2_4244
.LBB2_4243:                             ;   in Loop: Header=BB2_3840 Depth=3
	v_and_b32_e32 v93, 3, v10
	v_bfe_u32 v107, v10, 2, 5
	v_lshlrev_b32_e32 v108, 24, v10
	v_ffbh_u32_e32 v105, v93
	v_cmp_eq_u32_e32 vcc_lo, 0, v107
	v_min_u32_e32 v105, 32, v105
	v_subrev_nc_u32_e32 v106, 29, v105
	v_sub_nc_u32_e32 v105, 30, v105
	v_lshlrev_b32_e32 v106, v106, v10
	v_cndmask_b32_e32 v105, v107, v105, vcc_lo
	v_and_b32_e32 v106, 3, v106
	v_lshl_add_u32 v105, v105, 23, 0x37800000
	v_cndmask_b32_e32 v93, v93, v106, vcc_lo
	v_and_b32_e32 v106, 0x80000000, v108
	v_lshlrev_b32_e32 v93, 21, v93
	v_or3_b32 v93, v106, v105, v93
.LBB2_4244:                             ;   in Loop: Header=BB2_3840 Depth=3
	s_or_b32 exec_lo, exec_lo, s18
	v_add_f32_e32 v93, v89, v93
	v_and_b32_e32 v89, 0x7f800000, v93
	v_cmp_ne_u32_e32 vcc_lo, 0x7f800000, v89
	v_mov_b32_e32 v89, 0x80
	s_and_saveexec_b32 s18, vcc_lo
	s_cbranch_execz .LBB2_4252
; %bb.4245:                             ;   in Loop: Header=BB2_3840 Depth=3
	v_mov_b32_e32 v89, 0
	s_mov_b32 s22, exec_lo
	v_cmpx_ne_u32_e32 0, v93
	s_cbranch_execz .LBB2_4251
; %bb.4246:                             ;   in Loop: Header=BB2_3840 Depth=3
	v_bfe_u32 v89, v93, 23, 8
	v_and_b32_e32 v105, 0x7fffff, v93
	v_sub_nc_u32_e32 v106, 0x70, v89
	v_cmp_gt_u32_e32 vcc_lo, 0x71, v89
	v_or_b32_e32 v107, 0x800000, v105
	v_cndmask_b32_e32 v106, 0, v106, vcc_lo
	v_cmp_eq_u32_e32 vcc_lo, 0, v89
	v_add_nc_u32_e32 v89, 0xffffff91, v89
	v_cndmask_b32_e64 v106, v106, 0x6f, vcc_lo
	v_cndmask_b32_e32 v105, v107, v105, vcc_lo
	v_cndmask_b32_e64 v89, v89, 0xffffff92, vcc_lo
	v_lshl_add_u32 v107, 0x200000, v106, -1
	v_lshrrev_b32_e32 v108, v106, v105
	v_lshlrev_b32_e64 v110, v106, 0x100000
	v_add_nc_u32_e32 v106, v106, v89
	v_and_b32_e32 v105, v107, v105
	v_bfe_u32 v109, v108, 21, 1
	v_cmp_eq_u32_e64 s17, v105, v110
	v_add_nc_u32_e32 v107, -1, v109
	v_cndmask_b32_e64 v105, 0, v107, s17
	v_lshrrev_b32_e32 v107, 23, v108
	s_mov_b32 s17, exec_lo
	v_add_nc_u32_e32 v105, v105, v108
	v_xor_b32_e32 v107, 1, v107
	v_and_b32_e32 v89, 0x1fffff, v105
	v_add_nc_u32_e32 v105, v89, v108
                                        ; implicit-def: $vgpr89
	v_cmpx_ne_u32_e64 v106, v107
	s_xor_b32 s17, exec_lo, s17
; %bb.4247:                             ;   in Loop: Header=BB2_3840 Depth=3
	v_cmp_lt_u32_e32 vcc_lo, 0xffffff, v105
	v_sub_nc_u32_e32 v89, v106, v107
	v_cndmask_b32_e64 v106, 0, 1, vcc_lo
	v_add_co_ci_u32_e64 v89, null, 0, v89, vcc_lo
	v_lshrrev_b32_e32 v105, v106, v105
; %bb.4248:                             ;   in Loop: Header=BB2_3840 Depth=3
	s_andn2_saveexec_b32 s17, s17
; %bb.4249:                             ;   in Loop: Header=BB2_3840 Depth=3
	v_bfe_u32 v89, v105, 23, 1
; %bb.4250:                             ;   in Loop: Header=BB2_3840 Depth=3
	s_or_b32 exec_lo, exec_lo, s17
	v_lshrrev_b32_e32 v105, 21, v105
	v_min_i32_e32 v106, 31, v89
	v_cmp_gt_i32_e32 vcc_lo, 32, v89
	v_and_b32_sdwa v93, v93, v98 dst_sel:DWORD dst_unused:UNUSED_PAD src0_sel:BYTE_3 src1_sel:DWORD
	v_lshlrev_b32_e32 v106, 2, v106
	v_cndmask_b32_e32 v105, 3, v105, vcc_lo
	v_and_b32_e32 v106, 0xfc, v106
	v_and_b32_e32 v107, 3, v105
	v_or_b32_e32 v89, v89, v105
	v_or3_b32 v93, v106, v93, v107
	v_cmp_ne_u32_e32 vcc_lo, 0, v89
	v_cndmask_b32_e32 v89, 0, v93, vcc_lo
.LBB2_4251:                             ;   in Loop: Header=BB2_3840 Depth=3
	s_or_b32 exec_lo, exec_lo, s22
.LBB2_4252:                             ;   in Loop: Header=BB2_3840 Depth=3
	s_or_b32 exec_lo, exec_lo, s18
	v_cmp_gt_i16_sdwa s18, v95, v97 src0_sel:BYTE_1 src1_sel:DWORD
	s_mov_b32 s17, 0
	s_and_saveexec_b32 s22, s18
	s_xor_b32 s18, exec_lo, s22
	s_cbranch_execz .LBB2_4463
; %bb.4253:                             ;   in Loop: Header=BB2_3840 Depth=3
	v_cmp_eq_u16_sdwa s23, v95, v98 src0_sel:BYTE_1 src1_sel:DWORD
	s_mov_b32 s17, -1
	s_and_saveexec_b32 s22, s23
; %bb.4254:                             ;   in Loop: Header=BB2_3840 Depth=3
	s_xor_b32 s17, exec_lo, -1
; %bb.4255:                             ;   in Loop: Header=BB2_3840 Depth=3
	s_or_b32 exec_lo, exec_lo, s22
	s_and_b32 s17, s17, exec_lo
	s_or_saveexec_b32 s18, s18
	v_mov_b32_e32 v93, 0x7f800001
	s_xor_b32 exec_lo, exec_lo, s18
	s_cbranch_execnz .LBB2_4464
.LBB2_4256:                             ;   in Loop: Header=BB2_3840 Depth=3
	s_or_b32 exec_lo, exec_lo, s18
	s_and_saveexec_b32 s18, s17
	s_cbranch_execz .LBB2_4258
.LBB2_4257:                             ;   in Loop: Header=BB2_3840 Depth=3
	v_and_b32_sdwa v93, v99, v95 dst_sel:DWORD dst_unused:UNUSED_PAD src0_sel:DWORD src1_sel:BYTE_1
	v_and_b32_e32 v105, 3, v93
	v_bfe_u32 v108, v93, 2, 5
	v_ffbh_u32_e32 v106, v105
	v_cmp_eq_u32_e32 vcc_lo, 0, v108
	v_min_u32_e32 v106, 32, v106
	v_subrev_nc_u32_e32 v107, 29, v106
	v_sub_nc_u32_e32 v106, 30, v106
	v_lshlrev_b32_e32 v93, v107, v93
	v_lshlrev_b32_sdwa v107, v100, v95 dst_sel:DWORD dst_unused:UNUSED_PAD src0_sel:DWORD src1_sel:BYTE_1
	v_cndmask_b32_e32 v106, v108, v106, vcc_lo
	v_and_b32_e32 v93, 3, v93
	v_lshl_add_u32 v106, v106, 23, 0x37800000
	v_cndmask_b32_e32 v93, v105, v93, vcc_lo
	v_and_b32_e32 v105, 0x80000000, v107
	v_lshlrev_b32_e32 v93, 21, v93
	v_or3_b32 v93, v105, v106, v93
.LBB2_4258:                             ;   in Loop: Header=BB2_3840 Depth=3
	s_or_b32 exec_lo, exec_lo, s18
	v_cmp_gt_i16_sdwa s18, v10, v97 src0_sel:BYTE_1 src1_sel:DWORD
	s_mov_b32 s17, 0
	s_and_saveexec_b32 s22, s18
	s_xor_b32 s18, exec_lo, s22
	s_cbranch_execz .LBB2_4465
; %bb.4259:                             ;   in Loop: Header=BB2_3840 Depth=3
	v_cmp_eq_u16_sdwa s23, v10, v98 src0_sel:BYTE_1 src1_sel:DWORD
	s_mov_b32 s17, -1
	s_and_saveexec_b32 s22, s23
; %bb.4260:                             ;   in Loop: Header=BB2_3840 Depth=3
	s_xor_b32 s17, exec_lo, -1
; %bb.4261:                             ;   in Loop: Header=BB2_3840 Depth=3
	s_or_b32 exec_lo, exec_lo, s22
	s_and_b32 s17, s17, exec_lo
	s_or_saveexec_b32 s18, s18
	v_mov_b32_e32 v105, 0x7f800001
	s_xor_b32 exec_lo, exec_lo, s18
	s_cbranch_execnz .LBB2_4466
.LBB2_4262:                             ;   in Loop: Header=BB2_3840 Depth=3
	s_or_b32 exec_lo, exec_lo, s18
	s_and_saveexec_b32 s18, s17
	s_cbranch_execz .LBB2_4264
.LBB2_4263:                             ;   in Loop: Header=BB2_3840 Depth=3
	v_and_b32_sdwa v105, v99, v10 dst_sel:DWORD dst_unused:UNUSED_PAD src0_sel:DWORD src1_sel:BYTE_1
	v_and_b32_e32 v106, 3, v105
	v_bfe_u32 v109, v105, 2, 5
	v_ffbh_u32_e32 v107, v106
	v_cmp_eq_u32_e32 vcc_lo, 0, v109
	v_min_u32_e32 v107, 32, v107
	v_subrev_nc_u32_e32 v108, 29, v107
	v_sub_nc_u32_e32 v107, 30, v107
	v_lshlrev_b32_e32 v105, v108, v105
	v_lshlrev_b32_sdwa v108, v100, v10 dst_sel:DWORD dst_unused:UNUSED_PAD src0_sel:DWORD src1_sel:BYTE_1
	v_cndmask_b32_e32 v107, v109, v107, vcc_lo
	v_and_b32_e32 v105, 3, v105
	v_lshl_add_u32 v107, v107, 23, 0x37800000
	v_cndmask_b32_e32 v105, v106, v105, vcc_lo
	v_and_b32_e32 v106, 0x80000000, v108
	v_lshlrev_b32_e32 v105, 21, v105
	v_or3_b32 v105, v106, v107, v105
.LBB2_4264:                             ;   in Loop: Header=BB2_3840 Depth=3
	s_or_b32 exec_lo, exec_lo, s18
	v_add_f32_e32 v105, v93, v105
	v_and_b32_e32 v93, 0x7f800000, v105
	v_cmp_ne_u32_e32 vcc_lo, 0x7f800000, v93
	v_mov_b32_e32 v93, 0x8000
	s_and_saveexec_b32 s18, vcc_lo
	s_cbranch_execz .LBB2_4272
; %bb.4265:                             ;   in Loop: Header=BB2_3840 Depth=3
	v_mov_b32_e32 v93, 0
	s_mov_b32 s22, exec_lo
	v_cmpx_ne_u32_e32 0, v105
	s_cbranch_execz .LBB2_4271
; %bb.4266:                             ;   in Loop: Header=BB2_3840 Depth=3
	v_bfe_u32 v93, v105, 23, 8
	v_and_b32_e32 v106, 0x7fffff, v105
	v_sub_nc_u32_e32 v107, 0x70, v93
	v_cmp_gt_u32_e32 vcc_lo, 0x71, v93
	v_or_b32_e32 v108, 0x800000, v106
	v_cndmask_b32_e32 v107, 0, v107, vcc_lo
	v_cmp_eq_u32_e32 vcc_lo, 0, v93
	v_add_nc_u32_e32 v93, 0xffffff91, v93
	v_cndmask_b32_e64 v107, v107, 0x6f, vcc_lo
	v_cndmask_b32_e32 v106, v108, v106, vcc_lo
	v_cndmask_b32_e64 v93, v93, 0xffffff92, vcc_lo
	v_lshl_add_u32 v108, 0x200000, v107, -1
	v_lshrrev_b32_e32 v109, v107, v106
	v_lshlrev_b32_e64 v111, v107, 0x100000
	v_add_nc_u32_e32 v107, v107, v93
	v_and_b32_e32 v106, v108, v106
	v_bfe_u32 v110, v109, 21, 1
	v_cmp_eq_u32_e64 s17, v106, v111
	v_add_nc_u32_e32 v108, -1, v110
	v_cndmask_b32_e64 v106, 0, v108, s17
	v_lshrrev_b32_e32 v108, 23, v109
	s_mov_b32 s17, exec_lo
	v_add_nc_u32_e32 v106, v106, v109
	v_xor_b32_e32 v108, 1, v108
	v_and_b32_e32 v93, 0x1fffff, v106
	v_add_nc_u32_e32 v106, v93, v109
                                        ; implicit-def: $vgpr93
	v_cmpx_ne_u32_e64 v107, v108
	s_xor_b32 s17, exec_lo, s17
; %bb.4267:                             ;   in Loop: Header=BB2_3840 Depth=3
	v_cmp_lt_u32_e32 vcc_lo, 0xffffff, v106
	v_sub_nc_u32_e32 v93, v107, v108
	v_cndmask_b32_e64 v107, 0, 1, vcc_lo
	v_add_co_ci_u32_e64 v93, null, 0, v93, vcc_lo
	v_lshrrev_b32_e32 v106, v107, v106
; %bb.4268:                             ;   in Loop: Header=BB2_3840 Depth=3
	s_andn2_saveexec_b32 s17, s17
; %bb.4269:                             ;   in Loop: Header=BB2_3840 Depth=3
	v_bfe_u32 v93, v106, 23, 1
; %bb.4270:                             ;   in Loop: Header=BB2_3840 Depth=3
	s_or_b32 exec_lo, exec_lo, s17
	v_lshrrev_b32_e32 v106, 21, v106
	v_min_i32_e32 v107, 31, v93
	v_cmp_gt_i32_e32 vcc_lo, 32, v93
	v_and_b32_sdwa v105, v105, v98 dst_sel:DWORD dst_unused:UNUSED_PAD src0_sel:BYTE_3 src1_sel:DWORD
	v_lshlrev_b32_e32 v107, 2, v107
	v_cndmask_b32_e32 v106, 3, v106, vcc_lo
	v_and_b32_e32 v107, 0xfc, v107
	v_and_b32_e32 v108, 3, v106
	v_or_b32_e32 v93, v93, v106
	v_or3_b32 v105, v105, v107, v108
	v_cmp_ne_u32_e32 vcc_lo, 0, v93
	v_lshlrev_b32_e32 v105, 8, v105
	v_cndmask_b32_e32 v93, 0, v105, vcc_lo
.LBB2_4271:                             ;   in Loop: Header=BB2_3840 Depth=3
	s_or_b32 exec_lo, exec_lo, s22
.LBB2_4272:                             ;   in Loop: Header=BB2_3840 Depth=3
	s_or_b32 exec_lo, exec_lo, s18
	v_or_b32_e32 v91, v91, v79
	s_mov_b32 s17, 0
	v_cmp_gt_i16_sdwa s18, v91, v97 src0_sel:BYTE_0 src1_sel:DWORD
	s_and_saveexec_b32 s22, s18
	s_xor_b32 s18, exec_lo, s22
	s_cbranch_execz .LBB2_4467
; %bb.4273:                             ;   in Loop: Header=BB2_3840 Depth=3
	v_cmp_eq_u16_sdwa s23, v91, v98 src0_sel:BYTE_0 src1_sel:DWORD
	s_mov_b32 s17, -1
	s_and_saveexec_b32 s22, s23
; %bb.4274:                             ;   in Loop: Header=BB2_3840 Depth=3
	s_xor_b32 s17, exec_lo, -1
; %bb.4275:                             ;   in Loop: Header=BB2_3840 Depth=3
	s_or_b32 exec_lo, exec_lo, s22
	s_and_b32 s17, s17, exec_lo
	s_or_saveexec_b32 s18, s18
	v_mov_b32_e32 v79, 0x7f800001
	s_xor_b32 exec_lo, exec_lo, s18
	s_cbranch_execnz .LBB2_4468
.LBB2_4276:                             ;   in Loop: Header=BB2_3840 Depth=3
	s_or_b32 exec_lo, exec_lo, s18
	v_lshl_or_b32 v91, v91, 16, v95
	s_and_saveexec_b32 s18, s17
	s_cbranch_execz .LBB2_4278
.LBB2_4277:                             ;   in Loop: Header=BB2_3840 Depth=3
	v_bfe_u32 v79, v91, 16, 2
	v_bfe_u32 v106, v91, 18, 5
	v_lshlrev_b32_e32 v107, 8, v91
	v_ffbh_u32_e32 v95, v79
	v_cmp_eq_u32_e32 vcc_lo, 0, v106
	v_min_u32_e32 v95, 32, v95
	v_subrev_nc_u32_e32 v105, 29, v95
	v_sub_nc_u32_e32 v95, 30, v95
	v_lshlrev_b32_sdwa v105, v105, v91 dst_sel:DWORD dst_unused:UNUSED_PAD src0_sel:DWORD src1_sel:WORD_1
	v_cndmask_b32_e32 v95, v106, v95, vcc_lo
	v_and_b32_e32 v105, 3, v105
	v_lshl_add_u32 v95, v95, 23, 0x37800000
	v_cndmask_b32_e32 v79, v79, v105, vcc_lo
	v_and_b32_e32 v105, 0x80000000, v107
	v_lshlrev_b32_e32 v79, 21, v79
	v_or3_b32 v79, v105, v95, v79
.LBB2_4278:                             ;   in Loop: Header=BB2_3840 Depth=3
	s_or_b32 exec_lo, exec_lo, s18
	v_and_b32_sdwa v105, v10, v101 dst_sel:DWORD dst_unused:UNUSED_PAD src0_sel:WORD_1 src1_sel:DWORD
	s_mov_b32 s17, 0
	s_mov_b32 s18, exec_lo
	v_cmpx_lt_i16_e32 0x7f, v105
	s_xor_b32 s18, exec_lo, s18
	s_cbranch_execz .LBB2_4469
; %bb.4279:                             ;   in Loop: Header=BB2_3840 Depth=3
	s_mov_b32 s17, -1
	s_mov_b32 s22, exec_lo
	v_cmpx_eq_u16_e32 0x80, v105
; %bb.4280:                             ;   in Loop: Header=BB2_3840 Depth=3
	s_xor_b32 s17, exec_lo, -1
; %bb.4281:                             ;   in Loop: Header=BB2_3840 Depth=3
	s_or_b32 exec_lo, exec_lo, s22
	s_and_b32 s17, s17, exec_lo
                                        ; implicit-def: $vgpr105
	s_or_saveexec_b32 s18, s18
	v_mov_b32_e32 v95, 0x7f800001
	s_xor_b32 exec_lo, exec_lo, s18
	s_cbranch_execnz .LBB2_4470
.LBB2_4282:                             ;   in Loop: Header=BB2_3840 Depth=3
	s_or_b32 exec_lo, exec_lo, s18
	s_and_saveexec_b32 s18, s17
	s_cbranch_execz .LBB2_4284
.LBB2_4283:                             ;   in Loop: Header=BB2_3840 Depth=3
	v_and_b32_sdwa v95, v10, v103 dst_sel:DWORD dst_unused:UNUSED_PAD src0_sel:WORD_1 src1_sel:DWORD
	v_bfe_u32 v107, v10, 18, 5
	v_lshlrev_b32_sdwa v108, v100, v10 dst_sel:DWORD dst_unused:UNUSED_PAD src0_sel:DWORD src1_sel:WORD_1
	v_ffbh_u32_e32 v105, v95
	v_cmp_eq_u32_e32 vcc_lo, 0, v107
	v_min_u32_e32 v105, 32, v105
	v_subrev_nc_u32_e32 v106, 29, v105
	v_sub_nc_u32_e32 v105, 30, v105
	v_lshlrev_b32_sdwa v106, v106, v10 dst_sel:DWORD dst_unused:UNUSED_PAD src0_sel:DWORD src1_sel:WORD_1
	v_cndmask_b32_e32 v105, v107, v105, vcc_lo
	v_and_b32_e32 v106, 3, v106
	v_lshl_add_u32 v105, v105, 23, 0x37800000
	v_cndmask_b32_e32 v95, v95, v106, vcc_lo
	v_and_b32_e32 v106, 0x80000000, v108
	v_lshlrev_b32_e32 v95, 21, v95
	v_or3_b32 v95, v106, v105, v95
.LBB2_4284:                             ;   in Loop: Header=BB2_3840 Depth=3
	s_or_b32 exec_lo, exec_lo, s18
	v_add_f32_e32 v95, v79, v95
	v_and_b32_e32 v79, 0x7f800000, v95
	v_cmp_ne_u32_e32 vcc_lo, 0x7f800000, v79
	v_mov_b32_e32 v79, 0x80
	s_and_saveexec_b32 s18, vcc_lo
	s_cbranch_execz .LBB2_4292
; %bb.4285:                             ;   in Loop: Header=BB2_3840 Depth=3
	v_mov_b32_e32 v79, 0
	s_mov_b32 s22, exec_lo
	v_cmpx_ne_u32_e32 0, v95
	s_cbranch_execz .LBB2_4291
; %bb.4286:                             ;   in Loop: Header=BB2_3840 Depth=3
	v_bfe_u32 v79, v95, 23, 8
	v_and_b32_e32 v105, 0x7fffff, v95
	v_sub_nc_u32_e32 v106, 0x70, v79
	v_cmp_gt_u32_e32 vcc_lo, 0x71, v79
	v_or_b32_e32 v107, 0x800000, v105
	v_cndmask_b32_e32 v106, 0, v106, vcc_lo
	v_cmp_eq_u32_e32 vcc_lo, 0, v79
	v_add_nc_u32_e32 v79, 0xffffff91, v79
	v_cndmask_b32_e64 v106, v106, 0x6f, vcc_lo
	v_cndmask_b32_e32 v105, v107, v105, vcc_lo
	v_cndmask_b32_e64 v79, v79, 0xffffff92, vcc_lo
	v_lshl_add_u32 v107, 0x200000, v106, -1
	v_lshrrev_b32_e32 v108, v106, v105
	v_lshlrev_b32_e64 v110, v106, 0x100000
	v_add_nc_u32_e32 v106, v106, v79
	v_and_b32_e32 v105, v107, v105
	v_bfe_u32 v109, v108, 21, 1
	v_cmp_eq_u32_e64 s17, v105, v110
	v_add_nc_u32_e32 v107, -1, v109
	v_cndmask_b32_e64 v105, 0, v107, s17
	v_lshrrev_b32_e32 v107, 23, v108
	s_mov_b32 s17, exec_lo
	v_add_nc_u32_e32 v105, v105, v108
	v_xor_b32_e32 v107, 1, v107
	v_and_b32_e32 v79, 0x1fffff, v105
	v_add_nc_u32_e32 v105, v79, v108
                                        ; implicit-def: $vgpr79
	v_cmpx_ne_u32_e64 v106, v107
	s_xor_b32 s17, exec_lo, s17
; %bb.4287:                             ;   in Loop: Header=BB2_3840 Depth=3
	v_cmp_lt_u32_e32 vcc_lo, 0xffffff, v105
	v_sub_nc_u32_e32 v79, v106, v107
	v_cndmask_b32_e64 v106, 0, 1, vcc_lo
	v_add_co_ci_u32_e64 v79, null, 0, v79, vcc_lo
	v_lshrrev_b32_e32 v105, v106, v105
; %bb.4288:                             ;   in Loop: Header=BB2_3840 Depth=3
	s_andn2_saveexec_b32 s17, s17
; %bb.4289:                             ;   in Loop: Header=BB2_3840 Depth=3
	v_bfe_u32 v79, v105, 23, 1
; %bb.4290:                             ;   in Loop: Header=BB2_3840 Depth=3
	s_or_b32 exec_lo, exec_lo, s17
	v_lshrrev_b32_e32 v105, 21, v105
	v_min_i32_e32 v106, 31, v79
	v_cmp_gt_i32_e32 vcc_lo, 32, v79
	v_and_b32_sdwa v95, v95, v98 dst_sel:DWORD dst_unused:UNUSED_PAD src0_sel:BYTE_3 src1_sel:DWORD
	v_lshlrev_b32_e32 v106, 2, v106
	v_cndmask_b32_e32 v105, 3, v105, vcc_lo
	v_and_b32_e32 v106, 0xfc, v106
	v_and_b32_e32 v107, 3, v105
	v_or_b32_e32 v79, v79, v105
	v_or3_b32 v95, v106, v95, v107
	v_cmp_ne_u32_e32 vcc_lo, 0, v79
	v_cndmask_b32_e32 v79, 0, v95, vcc_lo
.LBB2_4291:                             ;   in Loop: Header=BB2_3840 Depth=3
	s_or_b32 exec_lo, exec_lo, s22
.LBB2_4292:                             ;   in Loop: Header=BB2_3840 Depth=3
	s_or_b32 exec_lo, exec_lo, s18
	v_cmp_gt_i16_sdwa s18, v91, v97 src0_sel:BYTE_3 src1_sel:DWORD
	s_mov_b32 s17, 0
	s_and_saveexec_b32 s22, s18
	s_xor_b32 s18, exec_lo, s22
	s_cbranch_execz .LBB2_4471
; %bb.4293:                             ;   in Loop: Header=BB2_3840 Depth=3
	v_cmp_eq_u16_sdwa s23, v91, v98 src0_sel:BYTE_3 src1_sel:DWORD
	s_mov_b32 s17, -1
	s_and_saveexec_b32 s22, s23
; %bb.4294:                             ;   in Loop: Header=BB2_3840 Depth=3
	s_xor_b32 s17, exec_lo, -1
; %bb.4295:                             ;   in Loop: Header=BB2_3840 Depth=3
	s_or_b32 exec_lo, exec_lo, s22
	s_and_b32 s17, s17, exec_lo
	s_or_saveexec_b32 s18, s18
	v_mov_b32_e32 v95, 0x7f800001
	s_xor_b32 exec_lo, exec_lo, s18
	s_cbranch_execnz .LBB2_4472
.LBB2_4296:                             ;   in Loop: Header=BB2_3840 Depth=3
	s_or_b32 exec_lo, exec_lo, s18
	s_and_saveexec_b32 s18, s17
	s_cbranch_execz .LBB2_4298
.LBB2_4297:                             ;   in Loop: Header=BB2_3840 Depth=3
	v_bfe_u32 v95, v91, 24, 2
	v_bfe_u32 v107, v91, 26, 5
	v_ffbh_u32_e32 v105, v95
	v_cmp_eq_u32_e32 vcc_lo, 0, v107
	v_min_u32_e32 v105, 32, v105
	v_subrev_nc_u32_e32 v106, 29, v105
	v_sub_nc_u32_e32 v105, 30, v105
	v_lshlrev_b32_sdwa v106, v106, v91 dst_sel:DWORD dst_unused:UNUSED_PAD src0_sel:DWORD src1_sel:BYTE_3
	v_cndmask_b32_e32 v105, v107, v105, vcc_lo
	v_and_b32_e32 v91, 0x80000000, v91
	v_and_b32_e32 v106, 3, v106
	v_lshl_add_u32 v105, v105, 23, 0x37800000
	v_cndmask_b32_e32 v95, v95, v106, vcc_lo
	v_lshlrev_b32_e32 v95, 21, v95
	v_or3_b32 v95, v91, v105, v95
.LBB2_4298:                             ;   in Loop: Header=BB2_3840 Depth=3
	s_or_b32 exec_lo, exec_lo, s18
	v_cmp_gt_i16_sdwa s18, v10, v97 src0_sel:BYTE_3 src1_sel:DWORD
	s_mov_b32 s17, 0
	s_and_saveexec_b32 s22, s18
	s_xor_b32 s18, exec_lo, s22
	s_cbranch_execz .LBB2_4473
; %bb.4299:                             ;   in Loop: Header=BB2_3840 Depth=3
	v_cmp_eq_u16_sdwa s23, v10, v98 src0_sel:BYTE_3 src1_sel:DWORD
	s_mov_b32 s17, -1
	s_and_saveexec_b32 s22, s23
; %bb.4300:                             ;   in Loop: Header=BB2_3840 Depth=3
	s_xor_b32 s17, exec_lo, -1
; %bb.4301:                             ;   in Loop: Header=BB2_3840 Depth=3
	s_or_b32 exec_lo, exec_lo, s22
	s_and_b32 s17, s17, exec_lo
	s_or_saveexec_b32 s18, s18
	v_mov_b32_e32 v91, 0x7f800001
	s_xor_b32 exec_lo, exec_lo, s18
	s_cbranch_execnz .LBB2_4474
.LBB2_4302:                             ;   in Loop: Header=BB2_3840 Depth=3
	s_or_b32 exec_lo, exec_lo, s18
	s_and_saveexec_b32 s18, s17
	s_cbranch_execz .LBB2_4304
.LBB2_4303:                             ;   in Loop: Header=BB2_3840 Depth=3
	v_and_b32_sdwa v91, v10, v103 dst_sel:DWORD dst_unused:UNUSED_PAD src0_sel:BYTE_3 src1_sel:DWORD
	v_bfe_u32 v107, v10, 26, 5
	v_ffbh_u32_e32 v105, v91
	v_cmp_eq_u32_e32 vcc_lo, 0, v107
	v_min_u32_e32 v105, 32, v105
	v_subrev_nc_u32_e32 v106, 29, v105
	v_sub_nc_u32_e32 v105, 30, v105
	v_lshlrev_b32_sdwa v106, v106, v10 dst_sel:DWORD dst_unused:UNUSED_PAD src0_sel:DWORD src1_sel:BYTE_3
	v_cndmask_b32_e32 v105, v107, v105, vcc_lo
	v_and_b32_e32 v10, 0x80000000, v10
	v_and_b32_e32 v106, 3, v106
	v_lshl_add_u32 v105, v105, 23, 0x37800000
	v_cndmask_b32_e32 v91, v91, v106, vcc_lo
	v_lshlrev_b32_e32 v91, 21, v91
	v_or3_b32 v91, v10, v105, v91
.LBB2_4304:                             ;   in Loop: Header=BB2_3840 Depth=3
	s_or_b32 exec_lo, exec_lo, s18
	v_add_f32_e32 v91, v95, v91
	v_and_b32_e32 v10, 0x7f800000, v91
	v_cmp_ne_u32_e32 vcc_lo, 0x7f800000, v10
	v_mov_b32_e32 v10, 0x8000
	s_and_saveexec_b32 s18, vcc_lo
	s_cbranch_execz .LBB2_4312
; %bb.4305:                             ;   in Loop: Header=BB2_3840 Depth=3
	v_mov_b32_e32 v10, 0
	s_mov_b32 s22, exec_lo
	v_cmpx_ne_u32_e32 0, v91
	s_cbranch_execz .LBB2_4311
; %bb.4306:                             ;   in Loop: Header=BB2_3840 Depth=3
	v_bfe_u32 v10, v91, 23, 8
	v_and_b32_e32 v95, 0x7fffff, v91
	v_sub_nc_u32_e32 v105, 0x70, v10
	v_cmp_gt_u32_e32 vcc_lo, 0x71, v10
	v_or_b32_e32 v106, 0x800000, v95
	v_cndmask_b32_e32 v105, 0, v105, vcc_lo
	v_cmp_eq_u32_e32 vcc_lo, 0, v10
	v_add_nc_u32_e32 v10, 0xffffff91, v10
	v_cndmask_b32_e64 v105, v105, 0x6f, vcc_lo
	v_cndmask_b32_e32 v95, v106, v95, vcc_lo
	v_cndmask_b32_e64 v10, v10, 0xffffff92, vcc_lo
	v_lshl_add_u32 v106, 0x200000, v105, -1
	v_lshrrev_b32_e32 v107, v105, v95
	v_lshlrev_b32_e64 v109, v105, 0x100000
	v_add_nc_u32_e32 v105, v105, v10
	v_and_b32_e32 v95, v106, v95
	v_bfe_u32 v108, v107, 21, 1
	v_cmp_eq_u32_e64 s17, v95, v109
	v_add_nc_u32_e32 v106, -1, v108
	v_cndmask_b32_e64 v95, 0, v106, s17
	v_lshrrev_b32_e32 v106, 23, v107
	s_mov_b32 s17, exec_lo
	v_add_nc_u32_e32 v95, v95, v107
	v_xor_b32_e32 v106, 1, v106
	v_and_b32_e32 v10, 0x1fffff, v95
	v_add_nc_u32_e32 v95, v10, v107
                                        ; implicit-def: $vgpr10
	v_cmpx_ne_u32_e64 v105, v106
	s_xor_b32 s17, exec_lo, s17
; %bb.4307:                             ;   in Loop: Header=BB2_3840 Depth=3
	v_cmp_lt_u32_e32 vcc_lo, 0xffffff, v95
	v_sub_nc_u32_e32 v10, v105, v106
	v_cndmask_b32_e64 v105, 0, 1, vcc_lo
	v_add_co_ci_u32_e64 v10, null, 0, v10, vcc_lo
	v_lshrrev_b32_e32 v95, v105, v95
; %bb.4308:                             ;   in Loop: Header=BB2_3840 Depth=3
	s_andn2_saveexec_b32 s17, s17
; %bb.4309:                             ;   in Loop: Header=BB2_3840 Depth=3
	v_bfe_u32 v10, v95, 23, 1
; %bb.4310:                             ;   in Loop: Header=BB2_3840 Depth=3
	s_or_b32 exec_lo, exec_lo, s17
	v_lshrrev_b32_e32 v95, 21, v95
	v_min_i32_e32 v105, 31, v10
	v_cmp_gt_i32_e32 vcc_lo, 32, v10
	v_and_b32_sdwa v91, v91, v98 dst_sel:DWORD dst_unused:UNUSED_PAD src0_sel:BYTE_3 src1_sel:DWORD
	v_lshlrev_b32_e32 v105, 2, v105
	v_cndmask_b32_e32 v95, 3, v95, vcc_lo
	v_and_b32_e32 v105, 0xfc, v105
	v_and_b32_e32 v106, 3, v95
	v_or_b32_e32 v10, v10, v95
	v_or3_b32 v91, v91, v105, v106
	v_cmp_ne_u32_e32 vcc_lo, 0, v10
	v_lshlrev_b32_e32 v91, 8, v91
	v_cndmask_b32_e32 v10, 0, v91, vcc_lo
.LBB2_4311:                             ;   in Loop: Header=BB2_3840 Depth=3
	s_or_b32 exec_lo, exec_lo, s22
.LBB2_4312:                             ;   in Loop: Header=BB2_3840 Depth=3
	s_or_b32 exec_lo, exec_lo, s18
	v_or_b32_e32 v88, v88, v76
	s_mov_b32 s17, 0
	v_cmp_gt_i16_sdwa s18, v88, v97 src0_sel:BYTE_0 src1_sel:DWORD
	s_and_saveexec_b32 s22, s18
	s_xor_b32 s18, exec_lo, s22
	s_cbranch_execz .LBB2_4475
; %bb.4313:                             ;   in Loop: Header=BB2_3840 Depth=3
	v_cmp_eq_u16_sdwa s23, v88, v98 src0_sel:BYTE_0 src1_sel:DWORD
	s_mov_b32 s17, -1
	s_and_saveexec_b32 s22, s23
; %bb.4314:                             ;   in Loop: Header=BB2_3840 Depth=3
	s_xor_b32 s17, exec_lo, -1
; %bb.4315:                             ;   in Loop: Header=BB2_3840 Depth=3
	s_or_b32 exec_lo, exec_lo, s22
	s_and_b32 s17, s17, exec_lo
	s_or_saveexec_b32 s18, s18
	v_mov_b32_e32 v76, 0x7f800001
	s_xor_b32 exec_lo, exec_lo, s18
	s_cbranch_execnz .LBB2_4476
.LBB2_4316:                             ;   in Loop: Header=BB2_3840 Depth=3
	s_or_b32 exec_lo, exec_lo, s18
	s_and_saveexec_b32 s18, s17
	s_cbranch_execz .LBB2_4318
.LBB2_4317:                             ;   in Loop: Header=BB2_3840 Depth=3
	v_and_b32_e32 v76, 3, v88
	v_bfe_u32 v105, v88, 2, 5
	v_lshlrev_b32_e32 v106, 24, v88
	v_ffbh_u32_e32 v91, v76
	v_cmp_eq_u32_e32 vcc_lo, 0, v105
	v_min_u32_e32 v91, 32, v91
	v_subrev_nc_u32_e32 v95, 29, v91
	v_sub_nc_u32_e32 v91, 30, v91
	v_lshlrev_b32_e32 v95, v95, v88
	v_cndmask_b32_e32 v91, v105, v91, vcc_lo
	v_and_b32_e32 v95, 3, v95
	v_lshl_add_u32 v91, v91, 23, 0x37800000
	v_cndmask_b32_e32 v76, v76, v95, vcc_lo
	v_and_b32_e32 v95, 0x80000000, v106
	v_lshlrev_b32_e32 v76, 21, v76
	v_or3_b32 v76, v95, v91, v76
.LBB2_4318:                             ;   in Loop: Header=BB2_3840 Depth=3
	s_or_b32 exec_lo, exec_lo, s18
	v_cmp_gt_i16_sdwa s18, v11, v97 src0_sel:BYTE_0 src1_sel:DWORD
	s_mov_b32 s17, 0
	s_and_saveexec_b32 s22, s18
	s_xor_b32 s18, exec_lo, s22
	s_cbranch_execz .LBB2_4477
; %bb.4319:                             ;   in Loop: Header=BB2_3840 Depth=3
	v_cmp_eq_u16_sdwa s23, v11, v98 src0_sel:BYTE_0 src1_sel:DWORD
	s_mov_b32 s17, -1
	s_and_saveexec_b32 s22, s23
; %bb.4320:                             ;   in Loop: Header=BB2_3840 Depth=3
	s_xor_b32 s17, exec_lo, -1
; %bb.4321:                             ;   in Loop: Header=BB2_3840 Depth=3
	s_or_b32 exec_lo, exec_lo, s22
	s_and_b32 s17, s17, exec_lo
	s_or_saveexec_b32 s18, s18
	v_mov_b32_e32 v91, 0x7f800001
	s_xor_b32 exec_lo, exec_lo, s18
	s_cbranch_execnz .LBB2_4478
.LBB2_4322:                             ;   in Loop: Header=BB2_3840 Depth=3
	s_or_b32 exec_lo, exec_lo, s18
	s_and_saveexec_b32 s18, s17
	s_cbranch_execz .LBB2_4324
.LBB2_4323:                             ;   in Loop: Header=BB2_3840 Depth=3
	v_and_b32_e32 v91, 3, v11
	v_bfe_u32 v106, v11, 2, 5
	v_lshlrev_b32_e32 v107, 24, v11
	v_ffbh_u32_e32 v95, v91
	v_cmp_eq_u32_e32 vcc_lo, 0, v106
	v_min_u32_e32 v95, 32, v95
	v_subrev_nc_u32_e32 v105, 29, v95
	v_sub_nc_u32_e32 v95, 30, v95
	v_lshlrev_b32_e32 v105, v105, v11
	v_cndmask_b32_e32 v95, v106, v95, vcc_lo
	v_and_b32_e32 v105, 3, v105
	v_lshl_add_u32 v95, v95, 23, 0x37800000
	v_cndmask_b32_e32 v91, v91, v105, vcc_lo
	v_and_b32_e32 v105, 0x80000000, v107
	v_lshlrev_b32_e32 v91, 21, v91
	v_or3_b32 v91, v105, v95, v91
.LBB2_4324:                             ;   in Loop: Header=BB2_3840 Depth=3
	s_or_b32 exec_lo, exec_lo, s18
	v_add_f32_e32 v91, v76, v91
	v_and_b32_e32 v76, 0x7f800000, v91
	v_cmp_ne_u32_e32 vcc_lo, 0x7f800000, v76
	v_mov_b32_e32 v76, 0x80
	s_and_saveexec_b32 s18, vcc_lo
	s_cbranch_execz .LBB2_4332
; %bb.4325:                             ;   in Loop: Header=BB2_3840 Depth=3
	v_mov_b32_e32 v76, 0
	s_mov_b32 s22, exec_lo
	v_cmpx_ne_u32_e32 0, v91
	s_cbranch_execz .LBB2_4331
; %bb.4326:                             ;   in Loop: Header=BB2_3840 Depth=3
	v_bfe_u32 v76, v91, 23, 8
	v_and_b32_e32 v95, 0x7fffff, v91
	v_sub_nc_u32_e32 v105, 0x70, v76
	v_cmp_gt_u32_e32 vcc_lo, 0x71, v76
	v_or_b32_e32 v106, 0x800000, v95
	v_cndmask_b32_e32 v105, 0, v105, vcc_lo
	v_cmp_eq_u32_e32 vcc_lo, 0, v76
	v_add_nc_u32_e32 v76, 0xffffff91, v76
	v_cndmask_b32_e64 v105, v105, 0x6f, vcc_lo
	v_cndmask_b32_e32 v95, v106, v95, vcc_lo
	v_cndmask_b32_e64 v76, v76, 0xffffff92, vcc_lo
	v_lshl_add_u32 v106, 0x200000, v105, -1
	v_lshrrev_b32_e32 v107, v105, v95
	v_lshlrev_b32_e64 v109, v105, 0x100000
	v_add_nc_u32_e32 v105, v105, v76
	v_and_b32_e32 v95, v106, v95
	v_bfe_u32 v108, v107, 21, 1
	v_cmp_eq_u32_e64 s17, v95, v109
	v_add_nc_u32_e32 v106, -1, v108
	v_cndmask_b32_e64 v95, 0, v106, s17
	v_lshrrev_b32_e32 v106, 23, v107
	s_mov_b32 s17, exec_lo
	v_add_nc_u32_e32 v95, v95, v107
	v_xor_b32_e32 v106, 1, v106
	v_and_b32_e32 v76, 0x1fffff, v95
	v_add_nc_u32_e32 v95, v76, v107
                                        ; implicit-def: $vgpr76
	v_cmpx_ne_u32_e64 v105, v106
	s_xor_b32 s17, exec_lo, s17
; %bb.4327:                             ;   in Loop: Header=BB2_3840 Depth=3
	v_cmp_lt_u32_e32 vcc_lo, 0xffffff, v95
	v_sub_nc_u32_e32 v76, v105, v106
	v_cndmask_b32_e64 v105, 0, 1, vcc_lo
	v_add_co_ci_u32_e64 v76, null, 0, v76, vcc_lo
	v_lshrrev_b32_e32 v95, v105, v95
; %bb.4328:                             ;   in Loop: Header=BB2_3840 Depth=3
	s_andn2_saveexec_b32 s17, s17
; %bb.4329:                             ;   in Loop: Header=BB2_3840 Depth=3
	v_bfe_u32 v76, v95, 23, 1
; %bb.4330:                             ;   in Loop: Header=BB2_3840 Depth=3
	s_or_b32 exec_lo, exec_lo, s17
	v_lshrrev_b32_e32 v95, 21, v95
	v_min_i32_e32 v105, 31, v76
	v_cmp_gt_i32_e32 vcc_lo, 32, v76
	v_and_b32_sdwa v91, v91, v98 dst_sel:DWORD dst_unused:UNUSED_PAD src0_sel:BYTE_3 src1_sel:DWORD
	v_lshlrev_b32_e32 v105, 2, v105
	v_cndmask_b32_e32 v95, 3, v95, vcc_lo
	v_and_b32_e32 v105, 0xfc, v105
	v_and_b32_e32 v106, 3, v95
	v_or_b32_e32 v76, v76, v95
	v_or3_b32 v91, v105, v91, v106
	v_cmp_ne_u32_e32 vcc_lo, 0, v76
	v_cndmask_b32_e32 v76, 0, v91, vcc_lo
.LBB2_4331:                             ;   in Loop: Header=BB2_3840 Depth=3
	s_or_b32 exec_lo, exec_lo, s22
.LBB2_4332:                             ;   in Loop: Header=BB2_3840 Depth=3
	s_or_b32 exec_lo, exec_lo, s18
	v_cmp_gt_i16_sdwa s18, v88, v97 src0_sel:BYTE_1 src1_sel:DWORD
	s_mov_b32 s17, 0
	s_and_saveexec_b32 s22, s18
	s_xor_b32 s18, exec_lo, s22
	s_cbranch_execz .LBB2_4479
; %bb.4333:                             ;   in Loop: Header=BB2_3840 Depth=3
	v_cmp_eq_u16_sdwa s23, v88, v98 src0_sel:BYTE_1 src1_sel:DWORD
	s_mov_b32 s17, -1
	s_and_saveexec_b32 s22, s23
; %bb.4334:                             ;   in Loop: Header=BB2_3840 Depth=3
	s_xor_b32 s17, exec_lo, -1
; %bb.4335:                             ;   in Loop: Header=BB2_3840 Depth=3
	s_or_b32 exec_lo, exec_lo, s22
	s_and_b32 s17, s17, exec_lo
	s_or_saveexec_b32 s18, s18
	v_mov_b32_e32 v91, 0x7f800001
	s_xor_b32 exec_lo, exec_lo, s18
	s_cbranch_execnz .LBB2_4480
.LBB2_4336:                             ;   in Loop: Header=BB2_3840 Depth=3
	s_or_b32 exec_lo, exec_lo, s18
	s_and_saveexec_b32 s18, s17
	s_cbranch_execz .LBB2_4338
.LBB2_4337:                             ;   in Loop: Header=BB2_3840 Depth=3
	v_and_b32_sdwa v91, v99, v88 dst_sel:DWORD dst_unused:UNUSED_PAD src0_sel:DWORD src1_sel:BYTE_1
	v_and_b32_e32 v95, 3, v91
	v_bfe_u32 v107, v91, 2, 5
	v_ffbh_u32_e32 v105, v95
	v_cmp_eq_u32_e32 vcc_lo, 0, v107
	v_min_u32_e32 v105, 32, v105
	v_subrev_nc_u32_e32 v106, 29, v105
	v_sub_nc_u32_e32 v105, 30, v105
	v_lshlrev_b32_e32 v91, v106, v91
	v_lshlrev_b32_sdwa v106, v100, v88 dst_sel:DWORD dst_unused:UNUSED_PAD src0_sel:DWORD src1_sel:BYTE_1
	v_cndmask_b32_e32 v105, v107, v105, vcc_lo
	v_and_b32_e32 v91, 3, v91
	v_lshl_add_u32 v105, v105, 23, 0x37800000
	v_cndmask_b32_e32 v91, v95, v91, vcc_lo
	v_and_b32_e32 v95, 0x80000000, v106
	v_lshlrev_b32_e32 v91, 21, v91
	v_or3_b32 v91, v95, v105, v91
.LBB2_4338:                             ;   in Loop: Header=BB2_3840 Depth=3
	s_or_b32 exec_lo, exec_lo, s18
	v_cmp_gt_i16_sdwa s18, v11, v97 src0_sel:BYTE_1 src1_sel:DWORD
	s_mov_b32 s17, 0
	s_and_saveexec_b32 s22, s18
	s_xor_b32 s18, exec_lo, s22
	s_cbranch_execz .LBB2_4481
; %bb.4339:                             ;   in Loop: Header=BB2_3840 Depth=3
	v_cmp_eq_u16_sdwa s23, v11, v98 src0_sel:BYTE_1 src1_sel:DWORD
	s_mov_b32 s17, -1
	s_and_saveexec_b32 s22, s23
; %bb.4340:                             ;   in Loop: Header=BB2_3840 Depth=3
	s_xor_b32 s17, exec_lo, -1
; %bb.4341:                             ;   in Loop: Header=BB2_3840 Depth=3
	s_or_b32 exec_lo, exec_lo, s22
	s_and_b32 s17, s17, exec_lo
	s_or_saveexec_b32 s18, s18
	v_mov_b32_e32 v95, 0x7f800001
	s_xor_b32 exec_lo, exec_lo, s18
	s_cbranch_execnz .LBB2_4482
.LBB2_4342:                             ;   in Loop: Header=BB2_3840 Depth=3
	s_or_b32 exec_lo, exec_lo, s18
	s_and_saveexec_b32 s18, s17
	s_cbranch_execz .LBB2_4344
.LBB2_4343:                             ;   in Loop: Header=BB2_3840 Depth=3
	v_and_b32_sdwa v95, v99, v11 dst_sel:DWORD dst_unused:UNUSED_PAD src0_sel:DWORD src1_sel:BYTE_1
	v_and_b32_e32 v105, 3, v95
	v_bfe_u32 v108, v95, 2, 5
	v_ffbh_u32_e32 v106, v105
	v_cmp_eq_u32_e32 vcc_lo, 0, v108
	v_min_u32_e32 v106, 32, v106
	v_subrev_nc_u32_e32 v107, 29, v106
	v_sub_nc_u32_e32 v106, 30, v106
	v_lshlrev_b32_e32 v95, v107, v95
	v_lshlrev_b32_sdwa v107, v100, v11 dst_sel:DWORD dst_unused:UNUSED_PAD src0_sel:DWORD src1_sel:BYTE_1
	v_cndmask_b32_e32 v106, v108, v106, vcc_lo
	v_and_b32_e32 v95, 3, v95
	v_lshl_add_u32 v106, v106, 23, 0x37800000
	v_cndmask_b32_e32 v95, v105, v95, vcc_lo
	v_and_b32_e32 v105, 0x80000000, v107
	v_lshlrev_b32_e32 v95, 21, v95
	v_or3_b32 v95, v105, v106, v95
.LBB2_4344:                             ;   in Loop: Header=BB2_3840 Depth=3
	s_or_b32 exec_lo, exec_lo, s18
	v_add_f32_e32 v95, v91, v95
	v_and_b32_e32 v91, 0x7f800000, v95
	v_cmp_ne_u32_e32 vcc_lo, 0x7f800000, v91
	v_mov_b32_e32 v91, 0x8000
	s_and_saveexec_b32 s18, vcc_lo
	s_cbranch_execz .LBB2_4352
; %bb.4345:                             ;   in Loop: Header=BB2_3840 Depth=3
	v_mov_b32_e32 v91, 0
	s_mov_b32 s22, exec_lo
	v_cmpx_ne_u32_e32 0, v95
	s_cbranch_execz .LBB2_4351
; %bb.4346:                             ;   in Loop: Header=BB2_3840 Depth=3
	v_bfe_u32 v91, v95, 23, 8
	v_and_b32_e32 v105, 0x7fffff, v95
	v_sub_nc_u32_e32 v106, 0x70, v91
	v_cmp_gt_u32_e32 vcc_lo, 0x71, v91
	v_or_b32_e32 v107, 0x800000, v105
	v_cndmask_b32_e32 v106, 0, v106, vcc_lo
	v_cmp_eq_u32_e32 vcc_lo, 0, v91
	v_add_nc_u32_e32 v91, 0xffffff91, v91
	v_cndmask_b32_e64 v106, v106, 0x6f, vcc_lo
	v_cndmask_b32_e32 v105, v107, v105, vcc_lo
	v_cndmask_b32_e64 v91, v91, 0xffffff92, vcc_lo
	v_lshl_add_u32 v107, 0x200000, v106, -1
	v_lshrrev_b32_e32 v108, v106, v105
	v_lshlrev_b32_e64 v110, v106, 0x100000
	v_add_nc_u32_e32 v106, v106, v91
	v_and_b32_e32 v105, v107, v105
	v_bfe_u32 v109, v108, 21, 1
	v_cmp_eq_u32_e64 s17, v105, v110
	v_add_nc_u32_e32 v107, -1, v109
	v_cndmask_b32_e64 v105, 0, v107, s17
	v_lshrrev_b32_e32 v107, 23, v108
	s_mov_b32 s17, exec_lo
	v_add_nc_u32_e32 v105, v105, v108
	v_xor_b32_e32 v107, 1, v107
	v_and_b32_e32 v91, 0x1fffff, v105
	v_add_nc_u32_e32 v105, v91, v108
                                        ; implicit-def: $vgpr91
	v_cmpx_ne_u32_e64 v106, v107
	s_xor_b32 s17, exec_lo, s17
; %bb.4347:                             ;   in Loop: Header=BB2_3840 Depth=3
	v_cmp_lt_u32_e32 vcc_lo, 0xffffff, v105
	v_sub_nc_u32_e32 v91, v106, v107
	v_cndmask_b32_e64 v106, 0, 1, vcc_lo
	v_add_co_ci_u32_e64 v91, null, 0, v91, vcc_lo
	v_lshrrev_b32_e32 v105, v106, v105
; %bb.4348:                             ;   in Loop: Header=BB2_3840 Depth=3
	s_andn2_saveexec_b32 s17, s17
; %bb.4349:                             ;   in Loop: Header=BB2_3840 Depth=3
	v_bfe_u32 v91, v105, 23, 1
; %bb.4350:                             ;   in Loop: Header=BB2_3840 Depth=3
	s_or_b32 exec_lo, exec_lo, s17
	v_lshrrev_b32_e32 v105, 21, v105
	v_min_i32_e32 v106, 31, v91
	v_cmp_gt_i32_e32 vcc_lo, 32, v91
	v_and_b32_sdwa v95, v95, v98 dst_sel:DWORD dst_unused:UNUSED_PAD src0_sel:BYTE_3 src1_sel:DWORD
	v_lshlrev_b32_e32 v106, 2, v106
	v_cndmask_b32_e32 v105, 3, v105, vcc_lo
	v_and_b32_e32 v106, 0xfc, v106
	v_and_b32_e32 v107, 3, v105
	v_or_b32_e32 v91, v91, v105
	v_or3_b32 v95, v95, v106, v107
	v_cmp_ne_u32_e32 vcc_lo, 0, v91
	v_lshlrev_b32_e32 v95, 8, v95
	v_cndmask_b32_e32 v91, 0, v95, vcc_lo
.LBB2_4351:                             ;   in Loop: Header=BB2_3840 Depth=3
	s_or_b32 exec_lo, exec_lo, s22
.LBB2_4352:                             ;   in Loop: Header=BB2_3840 Depth=3
	s_or_b32 exec_lo, exec_lo, s18
	v_or_b32_e32 v78, v78, v75
	s_mov_b32 s17, 0
	v_cmp_gt_i16_sdwa s18, v78, v97 src0_sel:BYTE_0 src1_sel:DWORD
	s_and_saveexec_b32 s22, s18
	s_xor_b32 s18, exec_lo, s22
	s_cbranch_execz .LBB2_4483
; %bb.4353:                             ;   in Loop: Header=BB2_3840 Depth=3
	v_cmp_eq_u16_sdwa s23, v78, v98 src0_sel:BYTE_0 src1_sel:DWORD
	s_mov_b32 s17, -1
	s_and_saveexec_b32 s22, s23
; %bb.4354:                             ;   in Loop: Header=BB2_3840 Depth=3
	s_xor_b32 s17, exec_lo, -1
; %bb.4355:                             ;   in Loop: Header=BB2_3840 Depth=3
	s_or_b32 exec_lo, exec_lo, s22
	s_and_b32 s17, s17, exec_lo
	s_or_saveexec_b32 s18, s18
	v_mov_b32_e32 v75, 0x7f800001
	s_xor_b32 exec_lo, exec_lo, s18
	s_cbranch_execnz .LBB2_4484
.LBB2_4356:                             ;   in Loop: Header=BB2_3840 Depth=3
	s_or_b32 exec_lo, exec_lo, s18
	v_lshl_or_b32 v78, v78, 16, v88
	s_and_saveexec_b32 s18, s17
	s_cbranch_execz .LBB2_4358
.LBB2_4357:                             ;   in Loop: Header=BB2_3840 Depth=3
	v_bfe_u32 v75, v78, 16, 2
	v_bfe_u32 v105, v78, 18, 5
	v_lshlrev_b32_e32 v106, 8, v78
	v_ffbh_u32_e32 v88, v75
	v_cmp_eq_u32_e32 vcc_lo, 0, v105
	v_min_u32_e32 v88, 32, v88
	v_subrev_nc_u32_e32 v95, 29, v88
	v_sub_nc_u32_e32 v88, 30, v88
	v_lshlrev_b32_sdwa v95, v95, v78 dst_sel:DWORD dst_unused:UNUSED_PAD src0_sel:DWORD src1_sel:WORD_1
	v_cndmask_b32_e32 v88, v105, v88, vcc_lo
	v_and_b32_e32 v95, 3, v95
	v_lshl_add_u32 v88, v88, 23, 0x37800000
	v_cndmask_b32_e32 v75, v75, v95, vcc_lo
	v_and_b32_e32 v95, 0x80000000, v106
	v_lshlrev_b32_e32 v75, 21, v75
	v_or3_b32 v75, v95, v88, v75
.LBB2_4358:                             ;   in Loop: Header=BB2_3840 Depth=3
	s_or_b32 exec_lo, exec_lo, s18
	v_and_b32_sdwa v95, v11, v101 dst_sel:DWORD dst_unused:UNUSED_PAD src0_sel:WORD_1 src1_sel:DWORD
	s_mov_b32 s17, 0
	s_mov_b32 s18, exec_lo
	v_cmpx_lt_i16_e32 0x7f, v95
	s_xor_b32 s18, exec_lo, s18
	s_cbranch_execz .LBB2_4485
; %bb.4359:                             ;   in Loop: Header=BB2_3840 Depth=3
	s_mov_b32 s17, -1
	s_mov_b32 s22, exec_lo
	v_cmpx_eq_u16_e32 0x80, v95
; %bb.4360:                             ;   in Loop: Header=BB2_3840 Depth=3
	s_xor_b32 s17, exec_lo, -1
; %bb.4361:                             ;   in Loop: Header=BB2_3840 Depth=3
	s_or_b32 exec_lo, exec_lo, s22
	s_and_b32 s17, s17, exec_lo
                                        ; implicit-def: $vgpr95
	s_or_saveexec_b32 s18, s18
	v_mov_b32_e32 v88, 0x7f800001
	s_xor_b32 exec_lo, exec_lo, s18
	s_cbranch_execnz .LBB2_4486
.LBB2_4362:                             ;   in Loop: Header=BB2_3840 Depth=3
	s_or_b32 exec_lo, exec_lo, s18
	s_and_saveexec_b32 s18, s17
	s_cbranch_execz .LBB2_4364
.LBB2_4363:                             ;   in Loop: Header=BB2_3840 Depth=3
	v_and_b32_sdwa v88, v11, v103 dst_sel:DWORD dst_unused:UNUSED_PAD src0_sel:WORD_1 src1_sel:DWORD
	v_bfe_u32 v106, v11, 18, 5
	v_lshlrev_b32_sdwa v107, v100, v11 dst_sel:DWORD dst_unused:UNUSED_PAD src0_sel:DWORD src1_sel:WORD_1
	v_ffbh_u32_e32 v95, v88
	v_cmp_eq_u32_e32 vcc_lo, 0, v106
	v_min_u32_e32 v95, 32, v95
	v_subrev_nc_u32_e32 v105, 29, v95
	v_sub_nc_u32_e32 v95, 30, v95
	v_lshlrev_b32_sdwa v105, v105, v11 dst_sel:DWORD dst_unused:UNUSED_PAD src0_sel:DWORD src1_sel:WORD_1
	v_cndmask_b32_e32 v95, v106, v95, vcc_lo
	v_and_b32_e32 v105, 3, v105
	v_lshl_add_u32 v95, v95, 23, 0x37800000
	v_cndmask_b32_e32 v88, v88, v105, vcc_lo
	v_and_b32_e32 v105, 0x80000000, v107
	v_lshlrev_b32_e32 v88, 21, v88
	v_or3_b32 v88, v105, v95, v88
.LBB2_4364:                             ;   in Loop: Header=BB2_3840 Depth=3
	s_or_b32 exec_lo, exec_lo, s18
	v_add_f32_e32 v88, v75, v88
	v_and_b32_e32 v75, 0x7f800000, v88
	v_cmp_ne_u32_e32 vcc_lo, 0x7f800000, v75
	v_mov_b32_e32 v75, 0x80
	s_and_saveexec_b32 s18, vcc_lo
	s_cbranch_execz .LBB2_4372
; %bb.4365:                             ;   in Loop: Header=BB2_3840 Depth=3
	v_mov_b32_e32 v75, 0
	s_mov_b32 s22, exec_lo
	v_cmpx_ne_u32_e32 0, v88
	s_cbranch_execz .LBB2_4371
; %bb.4366:                             ;   in Loop: Header=BB2_3840 Depth=3
	v_bfe_u32 v75, v88, 23, 8
	v_and_b32_e32 v95, 0x7fffff, v88
	v_sub_nc_u32_e32 v105, 0x70, v75
	v_cmp_gt_u32_e32 vcc_lo, 0x71, v75
	v_or_b32_e32 v106, 0x800000, v95
	v_cndmask_b32_e32 v105, 0, v105, vcc_lo
	v_cmp_eq_u32_e32 vcc_lo, 0, v75
	v_add_nc_u32_e32 v75, 0xffffff91, v75
	v_cndmask_b32_e64 v105, v105, 0x6f, vcc_lo
	v_cndmask_b32_e32 v95, v106, v95, vcc_lo
	v_cndmask_b32_e64 v75, v75, 0xffffff92, vcc_lo
	v_lshl_add_u32 v106, 0x200000, v105, -1
	v_lshrrev_b32_e32 v107, v105, v95
	v_lshlrev_b32_e64 v109, v105, 0x100000
	v_add_nc_u32_e32 v105, v105, v75
	v_and_b32_e32 v95, v106, v95
	v_bfe_u32 v108, v107, 21, 1
	v_cmp_eq_u32_e64 s17, v95, v109
	v_add_nc_u32_e32 v106, -1, v108
	v_cndmask_b32_e64 v95, 0, v106, s17
	v_lshrrev_b32_e32 v106, 23, v107
	s_mov_b32 s17, exec_lo
	v_add_nc_u32_e32 v95, v95, v107
	v_xor_b32_e32 v106, 1, v106
	v_and_b32_e32 v75, 0x1fffff, v95
	v_add_nc_u32_e32 v95, v75, v107
                                        ; implicit-def: $vgpr75
	v_cmpx_ne_u32_e64 v105, v106
	s_xor_b32 s17, exec_lo, s17
; %bb.4367:                             ;   in Loop: Header=BB2_3840 Depth=3
	v_cmp_lt_u32_e32 vcc_lo, 0xffffff, v95
	v_sub_nc_u32_e32 v75, v105, v106
	v_cndmask_b32_e64 v105, 0, 1, vcc_lo
	v_add_co_ci_u32_e64 v75, null, 0, v75, vcc_lo
	v_lshrrev_b32_e32 v95, v105, v95
; %bb.4368:                             ;   in Loop: Header=BB2_3840 Depth=3
	s_andn2_saveexec_b32 s17, s17
; %bb.4369:                             ;   in Loop: Header=BB2_3840 Depth=3
	v_bfe_u32 v75, v95, 23, 1
; %bb.4370:                             ;   in Loop: Header=BB2_3840 Depth=3
	s_or_b32 exec_lo, exec_lo, s17
	v_lshrrev_b32_e32 v95, 21, v95
	v_min_i32_e32 v105, 31, v75
	v_cmp_gt_i32_e32 vcc_lo, 32, v75
	v_and_b32_sdwa v88, v88, v98 dst_sel:DWORD dst_unused:UNUSED_PAD src0_sel:BYTE_3 src1_sel:DWORD
	v_lshlrev_b32_e32 v105, 2, v105
	v_cndmask_b32_e32 v95, 3, v95, vcc_lo
	v_and_b32_e32 v105, 0xfc, v105
	v_and_b32_e32 v106, 3, v95
	v_or_b32_e32 v75, v75, v95
	v_or3_b32 v88, v105, v88, v106
	v_cmp_ne_u32_e32 vcc_lo, 0, v75
	v_cndmask_b32_e32 v75, 0, v88, vcc_lo
.LBB2_4371:                             ;   in Loop: Header=BB2_3840 Depth=3
	s_or_b32 exec_lo, exec_lo, s22
.LBB2_4372:                             ;   in Loop: Header=BB2_3840 Depth=3
	s_or_b32 exec_lo, exec_lo, s18
	v_cmp_gt_i16_sdwa s18, v78, v97 src0_sel:BYTE_3 src1_sel:DWORD
	s_mov_b32 s17, 0
	s_and_saveexec_b32 s22, s18
	s_xor_b32 s18, exec_lo, s22
	s_cbranch_execz .LBB2_4487
; %bb.4373:                             ;   in Loop: Header=BB2_3840 Depth=3
	v_cmp_eq_u16_sdwa s23, v78, v98 src0_sel:BYTE_3 src1_sel:DWORD
	s_mov_b32 s17, -1
	s_and_saveexec_b32 s22, s23
; %bb.4374:                             ;   in Loop: Header=BB2_3840 Depth=3
	s_xor_b32 s17, exec_lo, -1
; %bb.4375:                             ;   in Loop: Header=BB2_3840 Depth=3
	s_or_b32 exec_lo, exec_lo, s22
	s_and_b32 s17, s17, exec_lo
	s_or_saveexec_b32 s18, s18
	v_mov_b32_e32 v88, 0x7f800001
	s_xor_b32 exec_lo, exec_lo, s18
	s_cbranch_execnz .LBB2_4488
.LBB2_4376:                             ;   in Loop: Header=BB2_3840 Depth=3
	s_or_b32 exec_lo, exec_lo, s18
	s_and_saveexec_b32 s18, s17
	s_cbranch_execz .LBB2_4378
.LBB2_4377:                             ;   in Loop: Header=BB2_3840 Depth=3
	v_bfe_u32 v88, v78, 24, 2
	v_bfe_u32 v106, v78, 26, 5
	v_ffbh_u32_e32 v95, v88
	v_cmp_eq_u32_e32 vcc_lo, 0, v106
	v_min_u32_e32 v95, 32, v95
	v_subrev_nc_u32_e32 v105, 29, v95
	v_sub_nc_u32_e32 v95, 30, v95
	v_lshlrev_b32_sdwa v105, v105, v78 dst_sel:DWORD dst_unused:UNUSED_PAD src0_sel:DWORD src1_sel:BYTE_3
	v_cndmask_b32_e32 v95, v106, v95, vcc_lo
	v_and_b32_e32 v78, 0x80000000, v78
	v_and_b32_e32 v105, 3, v105
	v_lshl_add_u32 v95, v95, 23, 0x37800000
	v_cndmask_b32_e32 v88, v88, v105, vcc_lo
	v_lshlrev_b32_e32 v88, 21, v88
	v_or3_b32 v88, v78, v95, v88
.LBB2_4378:                             ;   in Loop: Header=BB2_3840 Depth=3
	s_or_b32 exec_lo, exec_lo, s18
	v_cmp_gt_i16_sdwa s18, v11, v97 src0_sel:BYTE_3 src1_sel:DWORD
	s_mov_b32 s17, 0
	s_and_saveexec_b32 s22, s18
	s_xor_b32 s18, exec_lo, s22
	s_cbranch_execz .LBB2_4489
; %bb.4379:                             ;   in Loop: Header=BB2_3840 Depth=3
	v_cmp_eq_u16_sdwa s23, v11, v98 src0_sel:BYTE_3 src1_sel:DWORD
	s_mov_b32 s17, -1
	s_and_saveexec_b32 s22, s23
; %bb.4380:                             ;   in Loop: Header=BB2_3840 Depth=3
	s_xor_b32 s17, exec_lo, -1
; %bb.4381:                             ;   in Loop: Header=BB2_3840 Depth=3
	s_or_b32 exec_lo, exec_lo, s22
	s_and_b32 s17, s17, exec_lo
	s_or_saveexec_b32 s18, s18
	v_mov_b32_e32 v78, 0x7f800001
	s_xor_b32 exec_lo, exec_lo, s18
	s_cbranch_execnz .LBB2_4490
.LBB2_4382:                             ;   in Loop: Header=BB2_3840 Depth=3
	s_or_b32 exec_lo, exec_lo, s18
	s_and_saveexec_b32 s18, s17
	s_cbranch_execz .LBB2_4384
.LBB2_4383:                             ;   in Loop: Header=BB2_3840 Depth=3
	v_and_b32_sdwa v78, v11, v103 dst_sel:DWORD dst_unused:UNUSED_PAD src0_sel:BYTE_3 src1_sel:DWORD
	v_bfe_u32 v106, v11, 26, 5
	v_ffbh_u32_e32 v95, v78
	v_cmp_eq_u32_e32 vcc_lo, 0, v106
	v_min_u32_e32 v95, 32, v95
	v_subrev_nc_u32_e32 v105, 29, v95
	v_sub_nc_u32_e32 v95, 30, v95
	v_lshlrev_b32_sdwa v105, v105, v11 dst_sel:DWORD dst_unused:UNUSED_PAD src0_sel:DWORD src1_sel:BYTE_3
	v_cndmask_b32_e32 v95, v106, v95, vcc_lo
	v_and_b32_e32 v11, 0x80000000, v11
	v_and_b32_e32 v105, 3, v105
	v_lshl_add_u32 v95, v95, 23, 0x37800000
	v_cndmask_b32_e32 v78, v78, v105, vcc_lo
	v_lshlrev_b32_e32 v78, 21, v78
	v_or3_b32 v78, v11, v95, v78
.LBB2_4384:                             ;   in Loop: Header=BB2_3840 Depth=3
	s_or_b32 exec_lo, exec_lo, s18
	v_add_f32_e32 v11, v88, v78
	v_and_b32_e32 v78, 0x7f800000, v11
	v_cmp_ne_u32_e32 vcc_lo, 0x7f800000, v78
	v_mov_b32_e32 v78, 0x8000
	s_and_saveexec_b32 s18, vcc_lo
	s_cbranch_execz .LBB2_4392
; %bb.4385:                             ;   in Loop: Header=BB2_3840 Depth=3
	v_mov_b32_e32 v78, 0
	s_mov_b32 s22, exec_lo
	v_cmpx_ne_u32_e32 0, v11
	s_cbranch_execz .LBB2_4391
; %bb.4386:                             ;   in Loop: Header=BB2_3840 Depth=3
	v_bfe_u32 v78, v11, 23, 8
	v_and_b32_e32 v88, 0x7fffff, v11
	v_sub_nc_u32_e32 v95, 0x70, v78
	v_cmp_gt_u32_e32 vcc_lo, 0x71, v78
	v_or_b32_e32 v105, 0x800000, v88
	v_cndmask_b32_e32 v95, 0, v95, vcc_lo
	v_cmp_eq_u32_e32 vcc_lo, 0, v78
	v_add_nc_u32_e32 v78, 0xffffff91, v78
	v_cndmask_b32_e64 v95, v95, 0x6f, vcc_lo
	v_cndmask_b32_e32 v88, v105, v88, vcc_lo
	v_cndmask_b32_e64 v78, v78, 0xffffff92, vcc_lo
	v_lshl_add_u32 v105, 0x200000, v95, -1
	v_lshrrev_b32_e32 v106, v95, v88
	v_lshlrev_b32_e64 v108, v95, 0x100000
	v_add_nc_u32_e32 v95, v95, v78
	v_and_b32_e32 v88, v105, v88
	v_bfe_u32 v107, v106, 21, 1
	v_cmp_eq_u32_e64 s17, v88, v108
	v_add_nc_u32_e32 v105, -1, v107
	v_cndmask_b32_e64 v88, 0, v105, s17
	v_lshrrev_b32_e32 v105, 23, v106
	s_mov_b32 s17, exec_lo
	v_add_nc_u32_e32 v88, v88, v106
	v_xor_b32_e32 v105, 1, v105
	v_and_b32_e32 v78, 0x1fffff, v88
	v_add_nc_u32_e32 v88, v78, v106
                                        ; implicit-def: $vgpr78
	v_cmpx_ne_u32_e64 v95, v105
	s_xor_b32 s17, exec_lo, s17
; %bb.4387:                             ;   in Loop: Header=BB2_3840 Depth=3
	v_cmp_lt_u32_e32 vcc_lo, 0xffffff, v88
	v_sub_nc_u32_e32 v78, v95, v105
	v_cndmask_b32_e64 v95, 0, 1, vcc_lo
	v_add_co_ci_u32_e64 v78, null, 0, v78, vcc_lo
	v_lshrrev_b32_e32 v88, v95, v88
; %bb.4388:                             ;   in Loop: Header=BB2_3840 Depth=3
	s_andn2_saveexec_b32 s17, s17
; %bb.4389:                             ;   in Loop: Header=BB2_3840 Depth=3
	v_bfe_u32 v78, v88, 23, 1
; %bb.4390:                             ;   in Loop: Header=BB2_3840 Depth=3
	s_or_b32 exec_lo, exec_lo, s17
	v_lshrrev_b32_e32 v88, 21, v88
	v_min_i32_e32 v95, 31, v78
	v_cmp_gt_i32_e32 vcc_lo, 32, v78
	v_and_b32_sdwa v11, v11, v98 dst_sel:DWORD dst_unused:UNUSED_PAD src0_sel:BYTE_3 src1_sel:DWORD
	v_lshlrev_b32_e32 v95, 2, v95
	v_cndmask_b32_e32 v88, 3, v88, vcc_lo
	v_and_b32_e32 v95, 0xfc, v95
	v_and_b32_e32 v105, 3, v88
	v_or_b32_e32 v78, v78, v88
	v_or3_b32 v11, v11, v95, v105
	v_cmp_ne_u32_e32 vcc_lo, 0, v78
	v_lshlrev_b32_e32 v11, 8, v11
	v_cndmask_b32_e32 v78, 0, v11, vcc_lo
.LBB2_4391:                             ;   in Loop: Header=BB2_3840 Depth=3
	s_or_b32 exec_lo, exec_lo, s22
.LBB2_4392:                             ;   in Loop: Header=BB2_3840 Depth=3
	s_or_b32 exec_lo, exec_lo, s18
	v_or_b32_sdwa v9, v9, v92 dst_sel:WORD_1 dst_unused:UNUSED_PAD src0_sel:DWORD src1_sel:DWORD
	v_or_b32_sdwa v8, v8, v90 dst_sel:WORD_1 dst_unused:UNUSED_PAD src0_sel:DWORD src1_sel:DWORD
	;; [unrolled: 1-line block ×4, first 2 shown]
	s_mov_b64 s[22:23], 0
	v_or3_b32 v9, v104, v94, v9
	v_or3_b32 v8, v77, v74, v8
	;; [unrolled: 1-line block ×4, first 2 shown]
	s_mov_b32 s76, -1
	.p2align	6
.LBB2_4393:                             ;   Parent Loop BB2_47 Depth=1
                                        ;     Parent Loop BB2_3107 Depth=2
                                        ;       Parent Loop BB2_3840 Depth=3
                                        ; =>      This Inner Loop Header: Depth=4
	s_cmp_eq_u32 s22, 1
	s_cselect_b32 vcc_lo, -1, 0
	s_cmp_eq_u32 s22, 0
	v_cndmask_b32_e32 v74, v62, v72, vcc_lo
	v_cndmask_b32_e32 v75, v63, v73, vcc_lo
	s_mov_b64 s[22:23], 1
	v_add_co_u32 v76, s17, 0x200, v74
	v_add_co_ci_u32_e64 v77, null, 0, v75, s17
	s_cselect_b32 s17, -1, 0
	v_cndmask_b32_e32 v72, v72, v76, vcc_lo
	v_cndmask_b32_e64 v62, v62, v76, s17
	v_cndmask_b32_e32 v73, v73, v77, vcc_lo
	v_cndmask_b32_e64 v63, v63, v77, s17
	s_and_b32 s18, exec_lo, s76
	s_mov_b32 s76, 0
	s_mov_b32 vcc_lo, s18
	global_store_dwordx4 v[74:75], v[8:11], off glc slc
	s_cbranch_vccnz .LBB2_4393
; %bb.4394:                             ;   in Loop: Header=BB2_3840 Depth=3
	v_add_co_u32 v66, vcc_lo, v66, v42
	v_sub_nc_u32_e32 v61, v61, v114
	v_add_co_ci_u32_e64 v67, null, v67, v43, vcc_lo
	v_add_co_u32 v68, vcc_lo, v68, v42
	v_add_co_ci_u32_e64 v69, null, v69, v43, vcc_lo
	v_add_co_u32 v62, vcc_lo, v62, v117
	v_add_co_ci_u32_e64 v63, null, v63, v119, vcc_lo
	v_cmp_gt_i32_e32 vcc_lo, 16, v61
	v_add_co_u32 v72, s17, v72, v117
	v_add_co_ci_u32_e64 v73, null, v73, v119, s17
	v_sub_nc_u32_e32 v60, v60, v83
	s_or_b32 s73, vcc_lo, s73
	s_andn2_b32 exec_lo, exec_lo, s73
	s_cbranch_execnz .LBB2_3840
	s_branch .LBB2_4491
.LBB2_4395:                             ;   in Loop: Header=BB2_3840 Depth=3
	s_or_saveexec_b32 s22, s22
	v_mov_b32_e32 v74, 0x7f800001
	s_xor_b32 exec_lo, exec_lo, s22
	s_cbranch_execz .LBB2_3852
.LBB2_4396:                             ;   in Loop: Header=BB2_3840 Depth=3
	v_cmp_ne_u16_sdwa s23, v8, v2 src0_sel:BYTE_0 src1_sel:DWORD
	v_mov_b32_e32 v74, 0
	s_andn2_b32 s17, s17, exec_lo
	s_and_b32 s23, s23, exec_lo
	s_or_b32 s17, s17, s23
	s_or_b32 exec_lo, exec_lo, s22
	s_and_saveexec_b32 s22, s17
	s_cbranch_execnz .LBB2_3853
	s_branch .LBB2_3854
.LBB2_4397:                             ;   in Loop: Header=BB2_3840 Depth=3
	s_or_saveexec_b32 s22, s22
	v_mov_b32_e32 v75, 0x7f800001
	s_xor_b32 exec_lo, exec_lo, s22
	s_cbranch_execz .LBB2_3866
.LBB2_4398:                             ;   in Loop: Header=BB2_3840 Depth=3
	v_cmp_ne_u16_sdwa s23, v8, v2 src0_sel:BYTE_1 src1_sel:DWORD
	v_mov_b32_e32 v75, 0
	s_andn2_b32 s17, s17, exec_lo
	s_and_b32 s23, s23, exec_lo
	s_or_b32 s17, s17, s23
	s_or_b32 exec_lo, exec_lo, s22
	s_and_saveexec_b32 s22, s17
	s_cbranch_execnz .LBB2_3867
	s_branch .LBB2_3868
.LBB2_4399:                             ;   in Loop: Header=BB2_3840 Depth=3
	s_or_saveexec_b32 s22, s22
	v_mov_b32_e32 v75, 0x7f800001
	s_xor_b32 exec_lo, exec_lo, s22
	s_cbranch_execz .LBB2_3880
.LBB2_4400:                             ;   in Loop: Header=BB2_3840 Depth=3
	v_cmp_ne_u16_e32 vcc_lo, 0, v76
	v_mov_b32_e32 v75, 0
	s_andn2_b32 s17, s17, exec_lo
	s_and_b32 s23, vcc_lo, exec_lo
	s_or_b32 s17, s17, s23
	s_or_b32 exec_lo, exec_lo, s22
	s_and_saveexec_b32 s22, s17
	s_cbranch_execnz .LBB2_3881
	s_branch .LBB2_3882
.LBB2_4401:                             ;   in Loop: Header=BB2_3840 Depth=3
	s_or_saveexec_b32 s22, s22
	v_mov_b32_e32 v75, 0x7f800001
	s_xor_b32 exec_lo, exec_lo, s22
	s_cbranch_execz .LBB2_3894
.LBB2_4402:                             ;   in Loop: Header=BB2_3840 Depth=3
	v_cmp_ne_u16_sdwa s23, v8, v2 src0_sel:BYTE_3 src1_sel:DWORD
	v_mov_b32_e32 v75, 0
	s_andn2_b32 s17, s17, exec_lo
	s_and_b32 s23, s23, exec_lo
	s_or_b32 s17, s17, s23
	s_or_b32 exec_lo, exec_lo, s22
	s_and_saveexec_b32 s22, s17
	s_cbranch_execnz .LBB2_3895
	s_branch .LBB2_3896
.LBB2_4403:                             ;   in Loop: Header=BB2_3840 Depth=3
	s_or_saveexec_b32 s22, s22
	v_mov_b32_e32 v8, 0x7f800001
	s_xor_b32 exec_lo, exec_lo, s22
	s_cbranch_execz .LBB2_3908
.LBB2_4404:                             ;   in Loop: Header=BB2_3840 Depth=3
	v_cmp_ne_u16_sdwa s23, v9, v2 src0_sel:BYTE_0 src1_sel:DWORD
	v_mov_b32_e32 v8, 0
	s_andn2_b32 s17, s17, exec_lo
	s_and_b32 s23, s23, exec_lo
	s_or_b32 s17, s17, s23
	s_or_b32 exec_lo, exec_lo, s22
	s_and_saveexec_b32 s22, s17
	s_cbranch_execnz .LBB2_3909
	s_branch .LBB2_3910
.LBB2_4405:                             ;   in Loop: Header=BB2_3840 Depth=3
	s_or_saveexec_b32 s22, s22
	v_mov_b32_e32 v8, 0x7f800001
	s_xor_b32 exec_lo, exec_lo, s22
	s_cbranch_execz .LBB2_3922
.LBB2_4406:                             ;   in Loop: Header=BB2_3840 Depth=3
	v_cmp_ne_u16_sdwa s23, v9, v2 src0_sel:BYTE_1 src1_sel:DWORD
	v_mov_b32_e32 v8, 0
	s_andn2_b32 s17, s17, exec_lo
	s_and_b32 s23, s23, exec_lo
	s_or_b32 s17, s17, s23
	s_or_b32 exec_lo, exec_lo, s22
	s_and_saveexec_b32 s22, s17
	s_cbranch_execnz .LBB2_3923
	s_branch .LBB2_3924
.LBB2_4407:                             ;   in Loop: Header=BB2_3840 Depth=3
	s_or_saveexec_b32 s22, s22
	v_mov_b32_e32 v8, 0x7f800001
	s_xor_b32 exec_lo, exec_lo, s22
	s_cbranch_execz .LBB2_3936
.LBB2_4408:                             ;   in Loop: Header=BB2_3840 Depth=3
	v_cmp_ne_u16_e32 vcc_lo, 0, v75
	v_mov_b32_e32 v8, 0
	s_andn2_b32 s17, s17, exec_lo
	s_and_b32 s23, vcc_lo, exec_lo
	s_or_b32 s17, s17, s23
	s_or_b32 exec_lo, exec_lo, s22
	s_and_saveexec_b32 s22, s17
	s_cbranch_execnz .LBB2_3937
	s_branch .LBB2_3938
.LBB2_4409:                             ;   in Loop: Header=BB2_3840 Depth=3
	s_or_saveexec_b32 s22, s22
	v_mov_b32_e32 v8, 0x7f800001
	s_xor_b32 exec_lo, exec_lo, s22
	s_cbranch_execz .LBB2_3950
.LBB2_4410:                             ;   in Loop: Header=BB2_3840 Depth=3
	v_cmp_ne_u16_sdwa s23, v9, v2 src0_sel:BYTE_3 src1_sel:DWORD
	v_mov_b32_e32 v8, 0
	s_andn2_b32 s17, s17, exec_lo
	s_and_b32 s23, s23, exec_lo
	s_or_b32 s17, s17, s23
	s_or_b32 exec_lo, exec_lo, s22
	s_and_saveexec_b32 s22, s17
	s_cbranch_execnz .LBB2_3951
	s_branch .LBB2_3952
.LBB2_4411:                             ;   in Loop: Header=BB2_3840 Depth=3
	s_or_saveexec_b32 s22, s22
	v_mov_b32_e32 v8, 0x7f800001
	s_xor_b32 exec_lo, exec_lo, s22
	s_cbranch_execz .LBB2_3964
.LBB2_4412:                             ;   in Loop: Header=BB2_3840 Depth=3
	v_cmp_ne_u16_sdwa s23, v10, v2 src0_sel:BYTE_0 src1_sel:DWORD
	v_mov_b32_e32 v8, 0
	s_andn2_b32 s17, s17, exec_lo
	s_and_b32 s23, s23, exec_lo
	s_or_b32 s17, s17, s23
	s_or_b32 exec_lo, exec_lo, s22
	s_and_saveexec_b32 s22, s17
	s_cbranch_execnz .LBB2_3965
	s_branch .LBB2_3966
.LBB2_4413:                             ;   in Loop: Header=BB2_3840 Depth=3
	s_or_saveexec_b32 s22, s22
	v_mov_b32_e32 v8, 0x7f800001
	s_xor_b32 exec_lo, exec_lo, s22
	s_cbranch_execz .LBB2_3978
.LBB2_4414:                             ;   in Loop: Header=BB2_3840 Depth=3
	v_cmp_ne_u16_sdwa s23, v10, v2 src0_sel:BYTE_1 src1_sel:DWORD
	v_mov_b32_e32 v8, 0
	s_andn2_b32 s17, s17, exec_lo
	s_and_b32 s23, s23, exec_lo
	s_or_b32 s17, s17, s23
	s_or_b32 exec_lo, exec_lo, s22
	s_and_saveexec_b32 s22, s17
	s_cbranch_execnz .LBB2_3979
	s_branch .LBB2_3980
.LBB2_4415:                             ;   in Loop: Header=BB2_3840 Depth=3
	s_or_saveexec_b32 s22, s22
	v_mov_b32_e32 v8, 0x7f800001
	s_xor_b32 exec_lo, exec_lo, s22
	s_cbranch_execz .LBB2_3992
.LBB2_4416:                             ;   in Loop: Header=BB2_3840 Depth=3
	v_cmp_ne_u16_e32 vcc_lo, 0, v9
	v_mov_b32_e32 v8, 0
	s_andn2_b32 s17, s17, exec_lo
	s_and_b32 s23, vcc_lo, exec_lo
	s_or_b32 s17, s17, s23
	s_or_b32 exec_lo, exec_lo, s22
	s_and_saveexec_b32 s22, s17
	s_cbranch_execnz .LBB2_3993
	s_branch .LBB2_3994
.LBB2_4417:                             ;   in Loop: Header=BB2_3840 Depth=3
	s_or_saveexec_b32 s22, s22
	v_mov_b32_e32 v8, 0x7f800001
	s_xor_b32 exec_lo, exec_lo, s22
	s_cbranch_execz .LBB2_4006
.LBB2_4418:                             ;   in Loop: Header=BB2_3840 Depth=3
	v_cmp_ne_u16_sdwa s23, v10, v2 src0_sel:BYTE_3 src1_sel:DWORD
	v_mov_b32_e32 v8, 0
	s_andn2_b32 s17, s17, exec_lo
	s_and_b32 s23, s23, exec_lo
	s_or_b32 s17, s17, s23
	s_or_b32 exec_lo, exec_lo, s22
	s_and_saveexec_b32 s22, s17
	s_cbranch_execnz .LBB2_4007
	s_branch .LBB2_4008
.LBB2_4419:                             ;   in Loop: Header=BB2_3840 Depth=3
	s_or_saveexec_b32 s22, s22
	v_mov_b32_e32 v8, 0x7f800001
	s_xor_b32 exec_lo, exec_lo, s22
	s_cbranch_execz .LBB2_4020
.LBB2_4420:                             ;   in Loop: Header=BB2_3840 Depth=3
	v_cmp_ne_u16_sdwa s23, v11, v2 src0_sel:BYTE_0 src1_sel:DWORD
	v_mov_b32_e32 v8, 0
	s_andn2_b32 s17, s17, exec_lo
	s_and_b32 s23, s23, exec_lo
	s_or_b32 s17, s17, s23
	s_or_b32 exec_lo, exec_lo, s22
	s_and_saveexec_b32 s22, s17
	s_cbranch_execnz .LBB2_4021
	s_branch .LBB2_4022
.LBB2_4421:                             ;   in Loop: Header=BB2_3840 Depth=3
	s_or_saveexec_b32 s22, s22
	v_mov_b32_e32 v8, 0x7f800001
	s_xor_b32 exec_lo, exec_lo, s22
	s_cbranch_execz .LBB2_4034
.LBB2_4422:                             ;   in Loop: Header=BB2_3840 Depth=3
	v_cmp_ne_u16_sdwa s23, v11, v2 src0_sel:BYTE_1 src1_sel:DWORD
	v_mov_b32_e32 v8, 0
	s_andn2_b32 s17, s17, exec_lo
	s_and_b32 s23, s23, exec_lo
	s_or_b32 s17, s17, s23
	s_or_b32 exec_lo, exec_lo, s22
	s_and_saveexec_b32 s22, s17
	s_cbranch_execnz .LBB2_4035
	s_branch .LBB2_4036
.LBB2_4423:                             ;   in Loop: Header=BB2_3840 Depth=3
	s_or_saveexec_b32 s22, s22
	v_mov_b32_e32 v8, 0x7f800001
	s_xor_b32 exec_lo, exec_lo, s22
	s_cbranch_execz .LBB2_4048
.LBB2_4424:                             ;   in Loop: Header=BB2_3840 Depth=3
	v_cmp_ne_u16_e32 vcc_lo, 0, v9
	v_mov_b32_e32 v8, 0
	s_andn2_b32 s17, s17, exec_lo
	s_and_b32 s23, vcc_lo, exec_lo
	s_or_b32 s17, s17, s23
	s_or_b32 exec_lo, exec_lo, s22
	s_and_saveexec_b32 s22, s17
	s_cbranch_execnz .LBB2_4049
	s_branch .LBB2_4050
.LBB2_4425:                             ;   in Loop: Header=BB2_3840 Depth=3
	s_or_saveexec_b32 s22, s22
	v_mov_b32_e32 v8, 0x7f800001
	s_xor_b32 exec_lo, exec_lo, s22
	s_cbranch_execz .LBB2_4062
.LBB2_4426:                             ;   in Loop: Header=BB2_3840 Depth=3
	v_cmp_ne_u16_sdwa s23, v11, v2 src0_sel:BYTE_3 src1_sel:DWORD
	v_mov_b32_e32 v8, 0
	s_andn2_b32 s17, s17, exec_lo
	s_and_b32 s23, s23, exec_lo
	s_or_b32 s17, s17, s23
	s_or_b32 exec_lo, exec_lo, s22
	s_and_saveexec_b32 s22, s17
	s_cbranch_execnz .LBB2_4063
	s_branch .LBB2_4064
.LBB2_4427:                             ;   in Loop: Header=BB2_3840 Depth=3
	s_or_saveexec_b32 s18, s18
	v_mov_b32_e32 v74, 0x7f800001
	s_xor_b32 exec_lo, exec_lo, s18
	s_cbranch_execz .LBB2_4076
.LBB2_4428:                             ;   in Loop: Header=BB2_3840 Depth=3
	v_cmp_ne_u16_sdwa s22, v106, v2 src0_sel:BYTE_0 src1_sel:DWORD
	v_mov_b32_e32 v74, 0
	s_andn2_b32 s17, s17, exec_lo
	s_and_b32 s22, s22, exec_lo
	s_or_b32 s17, s17, s22
	s_or_b32 exec_lo, exec_lo, s18
	s_and_saveexec_b32 s18, s17
	s_cbranch_execnz .LBB2_4077
	s_branch .LBB2_4078
.LBB2_4429:                             ;   in Loop: Header=BB2_3840 Depth=3
	s_or_saveexec_b32 s18, s18
	v_mov_b32_e32 v77, 0x7f800001
	s_xor_b32 exec_lo, exec_lo, s18
	s_cbranch_execz .LBB2_4082
.LBB2_4430:                             ;   in Loop: Header=BB2_3840 Depth=3
	v_cmp_ne_u16_sdwa s22, v8, v2 src0_sel:BYTE_0 src1_sel:DWORD
	v_mov_b32_e32 v77, 0
	s_andn2_b32 s17, s17, exec_lo
	s_and_b32 s22, s22, exec_lo
	s_or_b32 s17, s17, s22
	s_or_b32 exec_lo, exec_lo, s18
	s_and_saveexec_b32 s18, s17
	s_cbranch_execnz .LBB2_4083
	s_branch .LBB2_4084
.LBB2_4431:                             ;   in Loop: Header=BB2_3840 Depth=3
	s_or_saveexec_b32 s18, s18
	v_mov_b32_e32 v77, 0x7f800001
	s_xor_b32 exec_lo, exec_lo, s18
	s_cbranch_execz .LBB2_4096
.LBB2_4432:                             ;   in Loop: Header=BB2_3840 Depth=3
	v_cmp_ne_u16_sdwa s22, v106, v2 src0_sel:BYTE_1 src1_sel:DWORD
	v_mov_b32_e32 v77, 0
	s_andn2_b32 s17, s17, exec_lo
	s_and_b32 s22, s22, exec_lo
	s_or_b32 s17, s17, s22
	s_or_b32 exec_lo, exec_lo, s18
	s_and_saveexec_b32 s18, s17
	s_cbranch_execnz .LBB2_4097
	s_branch .LBB2_4098
.LBB2_4433:                             ;   in Loop: Header=BB2_3840 Depth=3
	s_or_saveexec_b32 s18, s18
	v_mov_b32_e32 v107, 0x7f800001
	s_xor_b32 exec_lo, exec_lo, s18
	s_cbranch_execz .LBB2_4102
.LBB2_4434:                             ;   in Loop: Header=BB2_3840 Depth=3
	v_cmp_ne_u16_sdwa s22, v8, v2 src0_sel:BYTE_1 src1_sel:DWORD
	v_mov_b32_e32 v107, 0
	s_andn2_b32 s17, s17, exec_lo
	s_and_b32 s22, s22, exec_lo
	s_or_b32 s17, s17, s22
	s_or_b32 exec_lo, exec_lo, s18
	s_and_saveexec_b32 s18, s17
	s_cbranch_execnz .LBB2_4103
	s_branch .LBB2_4104
.LBB2_4435:                             ;   in Loop: Header=BB2_3840 Depth=3
	s_or_saveexec_b32 s18, s18
	v_mov_b32_e32 v90, 0x7f800001
	s_xor_b32 exec_lo, exec_lo, s18
	s_cbranch_execz .LBB2_4116
.LBB2_4436:                             ;   in Loop: Header=BB2_3840 Depth=3
	v_cmp_ne_u16_sdwa s22, v105, v2 src0_sel:BYTE_0 src1_sel:DWORD
	v_mov_b32_e32 v90, 0
	s_andn2_b32 s17, s17, exec_lo
	s_and_b32 s22, s22, exec_lo
	s_or_b32 s17, s17, s22
	s_or_b32 exec_lo, exec_lo, s18
	v_lshl_or_b32 v105, v105, 16, v106
	s_and_saveexec_b32 s18, s17
	s_cbranch_execnz .LBB2_4117
	s_branch .LBB2_4118
.LBB2_4437:                             ;   in Loop: Header=BB2_3840 Depth=3
	s_or_saveexec_b32 s18, s18
	v_mov_b32_e32 v106, 0x7f800001
	s_xor_b32 exec_lo, exec_lo, s18
	s_cbranch_execz .LBB2_4122
.LBB2_4438:                             ;   in Loop: Header=BB2_3840 Depth=3
	v_cmp_ne_u16_e32 vcc_lo, 0, v107
	v_mov_b32_e32 v106, 0
	s_andn2_b32 s17, s17, exec_lo
	s_and_b32 s22, vcc_lo, exec_lo
	s_or_b32 s17, s17, s22
	s_or_b32 exec_lo, exec_lo, s18
	s_and_saveexec_b32 s18, s17
	s_cbranch_execnz .LBB2_4123
	s_branch .LBB2_4124
.LBB2_4439:                             ;   in Loop: Header=BB2_3840 Depth=3
	s_or_saveexec_b32 s18, s18
	v_mov_b32_e32 v106, 0x7f800001
	s_xor_b32 exec_lo, exec_lo, s18
	s_cbranch_execz .LBB2_4136
.LBB2_4440:                             ;   in Loop: Header=BB2_3840 Depth=3
	v_cmp_ne_u16_sdwa s22, v105, v2 src0_sel:BYTE_3 src1_sel:DWORD
	v_mov_b32_e32 v106, 0
	s_andn2_b32 s17, s17, exec_lo
	s_and_b32 s22, s22, exec_lo
	s_or_b32 s17, s17, s22
	s_or_b32 exec_lo, exec_lo, s18
	s_and_saveexec_b32 s18, s17
	s_cbranch_execnz .LBB2_4137
	s_branch .LBB2_4138
.LBB2_4441:                             ;   in Loop: Header=BB2_3840 Depth=3
	s_or_saveexec_b32 s18, s18
	v_mov_b32_e32 v105, 0x7f800001
	s_xor_b32 exec_lo, exec_lo, s18
	s_cbranch_execz .LBB2_4142
.LBB2_4442:                             ;   in Loop: Header=BB2_3840 Depth=3
	v_cmp_ne_u16_sdwa s22, v8, v2 src0_sel:BYTE_3 src1_sel:DWORD
	v_mov_b32_e32 v105, 0
	s_andn2_b32 s17, s17, exec_lo
	s_and_b32 s22, s22, exec_lo
	s_or_b32 s17, s17, s22
	s_or_b32 exec_lo, exec_lo, s18
	s_and_saveexec_b32 s18, s17
	s_cbranch_execnz .LBB2_4143
	s_branch .LBB2_4144
.LBB2_4443:                             ;   in Loop: Header=BB2_3840 Depth=3
	s_or_saveexec_b32 s18, s18
	v_mov_b32_e32 v94, 0x7f800001
	s_xor_b32 exec_lo, exec_lo, s18
	s_cbranch_execz .LBB2_4156
.LBB2_4444:                             ;   in Loop: Header=BB2_3840 Depth=3
	v_cmp_ne_u16_sdwa s22, v105, v2 src0_sel:BYTE_0 src1_sel:DWORD
	v_mov_b32_e32 v94, 0
	s_andn2_b32 s17, s17, exec_lo
	s_and_b32 s22, s22, exec_lo
	s_or_b32 s17, s17, s22
	s_or_b32 exec_lo, exec_lo, s18
	s_and_saveexec_b32 s18, s17
	s_cbranch_execnz .LBB2_4157
	s_branch .LBB2_4158
.LBB2_4445:                             ;   in Loop: Header=BB2_3840 Depth=3
	s_or_saveexec_b32 s18, s18
	v_mov_b32_e32 v104, 0x7f800001
	s_xor_b32 exec_lo, exec_lo, s18
	s_cbranch_execz .LBB2_4162
.LBB2_4446:                             ;   in Loop: Header=BB2_3840 Depth=3
	v_cmp_ne_u16_sdwa s22, v9, v2 src0_sel:BYTE_0 src1_sel:DWORD
	v_mov_b32_e32 v104, 0
	s_andn2_b32 s17, s17, exec_lo
	s_and_b32 s22, s22, exec_lo
	s_or_b32 s17, s17, s22
	s_or_b32 exec_lo, exec_lo, s18
	s_and_saveexec_b32 s18, s17
	s_cbranch_execnz .LBB2_4163
	s_branch .LBB2_4164
.LBB2_4447:                             ;   in Loop: Header=BB2_3840 Depth=3
	s_or_saveexec_b32 s18, s18
	v_mov_b32_e32 v104, 0x7f800001
	s_xor_b32 exec_lo, exec_lo, s18
	s_cbranch_execz .LBB2_4176
.LBB2_4448:                             ;   in Loop: Header=BB2_3840 Depth=3
	v_cmp_ne_u16_sdwa s22, v105, v2 src0_sel:BYTE_1 src1_sel:DWORD
	v_mov_b32_e32 v104, 0
	s_andn2_b32 s17, s17, exec_lo
	s_and_b32 s22, s22, exec_lo
	s_or_b32 s17, s17, s22
	s_or_b32 exec_lo, exec_lo, s18
	s_and_saveexec_b32 s18, s17
	s_cbranch_execnz .LBB2_4177
	s_branch .LBB2_4178
.LBB2_4449:                             ;   in Loop: Header=BB2_3840 Depth=3
	s_or_saveexec_b32 s18, s18
	v_mov_b32_e32 v106, 0x7f800001
	s_xor_b32 exec_lo, exec_lo, s18
	s_cbranch_execz .LBB2_4182
.LBB2_4450:                             ;   in Loop: Header=BB2_3840 Depth=3
	v_cmp_ne_u16_sdwa s22, v9, v2 src0_sel:BYTE_1 src1_sel:DWORD
	v_mov_b32_e32 v106, 0
	s_andn2_b32 s17, s17, exec_lo
	s_and_b32 s22, s22, exec_lo
	s_or_b32 s17, s17, s22
	s_or_b32 exec_lo, exec_lo, s18
	s_and_saveexec_b32 s18, s17
	s_cbranch_execnz .LBB2_4183
	s_branch .LBB2_4184
.LBB2_4451:                             ;   in Loop: Header=BB2_3840 Depth=3
	s_or_saveexec_b32 s18, s18
	v_mov_b32_e32 v92, 0x7f800001
	s_xor_b32 exec_lo, exec_lo, s18
	s_cbranch_execz .LBB2_4196
.LBB2_4452:                             ;   in Loop: Header=BB2_3840 Depth=3
	v_cmp_ne_u16_sdwa s22, v95, v2 src0_sel:BYTE_0 src1_sel:DWORD
	v_mov_b32_e32 v92, 0
	s_andn2_b32 s17, s17, exec_lo
	s_and_b32 s22, s22, exec_lo
	s_or_b32 s17, s17, s22
	s_or_b32 exec_lo, exec_lo, s18
	v_lshl_or_b32 v95, v95, 16, v105
	s_and_saveexec_b32 s18, s17
	s_cbranch_execnz .LBB2_4197
	s_branch .LBB2_4198
.LBB2_4453:                             ;   in Loop: Header=BB2_3840 Depth=3
	s_or_saveexec_b32 s18, s18
	v_mov_b32_e32 v105, 0x7f800001
	s_xor_b32 exec_lo, exec_lo, s18
	s_cbranch_execz .LBB2_4202
.LBB2_4454:                             ;   in Loop: Header=BB2_3840 Depth=3
	v_cmp_ne_u16_e32 vcc_lo, 0, v106
	v_mov_b32_e32 v105, 0
	s_andn2_b32 s17, s17, exec_lo
	s_and_b32 s22, vcc_lo, exec_lo
	s_or_b32 s17, s17, s22
	s_or_b32 exec_lo, exec_lo, s18
	s_and_saveexec_b32 s18, s17
	s_cbranch_execnz .LBB2_4203
	s_branch .LBB2_4204
.LBB2_4455:                             ;   in Loop: Header=BB2_3840 Depth=3
	s_or_saveexec_b32 s18, s18
	v_mov_b32_e32 v105, 0x7f800001
	s_xor_b32 exec_lo, exec_lo, s18
	s_cbranch_execz .LBB2_4216
.LBB2_4456:                             ;   in Loop: Header=BB2_3840 Depth=3
	v_cmp_ne_u16_sdwa s22, v95, v2 src0_sel:BYTE_3 src1_sel:DWORD
	v_mov_b32_e32 v105, 0
	s_andn2_b32 s17, s17, exec_lo
	s_and_b32 s22, s22, exec_lo
	s_or_b32 s17, s17, s22
	s_or_b32 exec_lo, exec_lo, s18
	s_and_saveexec_b32 s18, s17
	s_cbranch_execnz .LBB2_4217
	s_branch .LBB2_4218
.LBB2_4457:                             ;   in Loop: Header=BB2_3840 Depth=3
	s_or_saveexec_b32 s18, s18
	v_mov_b32_e32 v95, 0x7f800001
	s_xor_b32 exec_lo, exec_lo, s18
	s_cbranch_execz .LBB2_4222
.LBB2_4458:                             ;   in Loop: Header=BB2_3840 Depth=3
	v_cmp_ne_u16_sdwa s22, v9, v2 src0_sel:BYTE_3 src1_sel:DWORD
	v_mov_b32_e32 v95, 0
	s_andn2_b32 s17, s17, exec_lo
	s_and_b32 s22, s22, exec_lo
	s_or_b32 s17, s17, s22
	s_or_b32 exec_lo, exec_lo, s18
	s_and_saveexec_b32 s18, s17
	s_cbranch_execnz .LBB2_4223
	s_branch .LBB2_4224
.LBB2_4459:                             ;   in Loop: Header=BB2_3840 Depth=3
	s_or_saveexec_b32 s18, s18
	v_mov_b32_e32 v89, 0x7f800001
	s_xor_b32 exec_lo, exec_lo, s18
	s_cbranch_execz .LBB2_4236
.LBB2_4460:                             ;   in Loop: Header=BB2_3840 Depth=3
	v_cmp_ne_u16_sdwa s22, v95, v2 src0_sel:BYTE_0 src1_sel:DWORD
	v_mov_b32_e32 v89, 0
	s_andn2_b32 s17, s17, exec_lo
	s_and_b32 s22, s22, exec_lo
	s_or_b32 s17, s17, s22
	s_or_b32 exec_lo, exec_lo, s18
	s_and_saveexec_b32 s18, s17
	s_cbranch_execnz .LBB2_4237
	s_branch .LBB2_4238
.LBB2_4461:                             ;   in Loop: Header=BB2_3840 Depth=3
	s_or_saveexec_b32 s18, s18
	v_mov_b32_e32 v93, 0x7f800001
	s_xor_b32 exec_lo, exec_lo, s18
	s_cbranch_execz .LBB2_4242
.LBB2_4462:                             ;   in Loop: Header=BB2_3840 Depth=3
	v_cmp_ne_u16_sdwa s22, v10, v2 src0_sel:BYTE_0 src1_sel:DWORD
	v_mov_b32_e32 v93, 0
	s_andn2_b32 s17, s17, exec_lo
	s_and_b32 s22, s22, exec_lo
	s_or_b32 s17, s17, s22
	s_or_b32 exec_lo, exec_lo, s18
	s_and_saveexec_b32 s18, s17
	s_cbranch_execnz .LBB2_4243
	s_branch .LBB2_4244
.LBB2_4463:                             ;   in Loop: Header=BB2_3840 Depth=3
	s_or_saveexec_b32 s18, s18
	v_mov_b32_e32 v93, 0x7f800001
	s_xor_b32 exec_lo, exec_lo, s18
	s_cbranch_execz .LBB2_4256
.LBB2_4464:                             ;   in Loop: Header=BB2_3840 Depth=3
	v_cmp_ne_u16_sdwa s22, v95, v2 src0_sel:BYTE_1 src1_sel:DWORD
	v_mov_b32_e32 v93, 0
	s_andn2_b32 s17, s17, exec_lo
	s_and_b32 s22, s22, exec_lo
	s_or_b32 s17, s17, s22
	s_or_b32 exec_lo, exec_lo, s18
	s_and_saveexec_b32 s18, s17
	s_cbranch_execnz .LBB2_4257
	s_branch .LBB2_4258
.LBB2_4465:                             ;   in Loop: Header=BB2_3840 Depth=3
	s_or_saveexec_b32 s18, s18
	v_mov_b32_e32 v105, 0x7f800001
	s_xor_b32 exec_lo, exec_lo, s18
	s_cbranch_execz .LBB2_4262
.LBB2_4466:                             ;   in Loop: Header=BB2_3840 Depth=3
	v_cmp_ne_u16_sdwa s22, v10, v2 src0_sel:BYTE_1 src1_sel:DWORD
	v_mov_b32_e32 v105, 0
	s_andn2_b32 s17, s17, exec_lo
	s_and_b32 s22, s22, exec_lo
	s_or_b32 s17, s17, s22
	s_or_b32 exec_lo, exec_lo, s18
	s_and_saveexec_b32 s18, s17
	s_cbranch_execnz .LBB2_4263
	s_branch .LBB2_4264
.LBB2_4467:                             ;   in Loop: Header=BB2_3840 Depth=3
	s_or_saveexec_b32 s18, s18
	v_mov_b32_e32 v79, 0x7f800001
	s_xor_b32 exec_lo, exec_lo, s18
	s_cbranch_execz .LBB2_4276
.LBB2_4468:                             ;   in Loop: Header=BB2_3840 Depth=3
	v_cmp_ne_u16_sdwa s22, v91, v2 src0_sel:BYTE_0 src1_sel:DWORD
	v_mov_b32_e32 v79, 0
	s_andn2_b32 s17, s17, exec_lo
	s_and_b32 s22, s22, exec_lo
	s_or_b32 s17, s17, s22
	s_or_b32 exec_lo, exec_lo, s18
	v_lshl_or_b32 v91, v91, 16, v95
	s_and_saveexec_b32 s18, s17
	s_cbranch_execnz .LBB2_4277
	s_branch .LBB2_4278
.LBB2_4469:                             ;   in Loop: Header=BB2_3840 Depth=3
	s_or_saveexec_b32 s18, s18
	v_mov_b32_e32 v95, 0x7f800001
	s_xor_b32 exec_lo, exec_lo, s18
	s_cbranch_execz .LBB2_4282
.LBB2_4470:                             ;   in Loop: Header=BB2_3840 Depth=3
	v_cmp_ne_u16_e32 vcc_lo, 0, v105
	v_mov_b32_e32 v95, 0
	s_andn2_b32 s17, s17, exec_lo
	s_and_b32 s22, vcc_lo, exec_lo
	s_or_b32 s17, s17, s22
	s_or_b32 exec_lo, exec_lo, s18
	s_and_saveexec_b32 s18, s17
	s_cbranch_execnz .LBB2_4283
	s_branch .LBB2_4284
.LBB2_4471:                             ;   in Loop: Header=BB2_3840 Depth=3
	s_or_saveexec_b32 s18, s18
	v_mov_b32_e32 v95, 0x7f800001
	s_xor_b32 exec_lo, exec_lo, s18
	s_cbranch_execz .LBB2_4296
.LBB2_4472:                             ;   in Loop: Header=BB2_3840 Depth=3
	v_cmp_ne_u16_sdwa s22, v91, v2 src0_sel:BYTE_3 src1_sel:DWORD
	v_mov_b32_e32 v95, 0
	s_andn2_b32 s17, s17, exec_lo
	s_and_b32 s22, s22, exec_lo
	s_or_b32 s17, s17, s22
	s_or_b32 exec_lo, exec_lo, s18
	s_and_saveexec_b32 s18, s17
	s_cbranch_execnz .LBB2_4297
	s_branch .LBB2_4298
.LBB2_4473:                             ;   in Loop: Header=BB2_3840 Depth=3
	s_or_saveexec_b32 s18, s18
	v_mov_b32_e32 v91, 0x7f800001
	s_xor_b32 exec_lo, exec_lo, s18
	s_cbranch_execz .LBB2_4302
.LBB2_4474:                             ;   in Loop: Header=BB2_3840 Depth=3
	v_cmp_ne_u16_sdwa s22, v10, v2 src0_sel:BYTE_3 src1_sel:DWORD
	v_mov_b32_e32 v91, 0
	s_andn2_b32 s17, s17, exec_lo
	s_and_b32 s22, s22, exec_lo
	s_or_b32 s17, s17, s22
	s_or_b32 exec_lo, exec_lo, s18
	s_and_saveexec_b32 s18, s17
	s_cbranch_execnz .LBB2_4303
	s_branch .LBB2_4304
.LBB2_4475:                             ;   in Loop: Header=BB2_3840 Depth=3
	s_or_saveexec_b32 s18, s18
	v_mov_b32_e32 v76, 0x7f800001
	s_xor_b32 exec_lo, exec_lo, s18
	s_cbranch_execz .LBB2_4316
.LBB2_4476:                             ;   in Loop: Header=BB2_3840 Depth=3
	v_cmp_ne_u16_sdwa s22, v88, v2 src0_sel:BYTE_0 src1_sel:DWORD
	v_mov_b32_e32 v76, 0
	s_andn2_b32 s17, s17, exec_lo
	s_and_b32 s22, s22, exec_lo
	s_or_b32 s17, s17, s22
	s_or_b32 exec_lo, exec_lo, s18
	s_and_saveexec_b32 s18, s17
	s_cbranch_execnz .LBB2_4317
	s_branch .LBB2_4318
.LBB2_4477:                             ;   in Loop: Header=BB2_3840 Depth=3
	s_or_saveexec_b32 s18, s18
	v_mov_b32_e32 v91, 0x7f800001
	s_xor_b32 exec_lo, exec_lo, s18
	s_cbranch_execz .LBB2_4322
.LBB2_4478:                             ;   in Loop: Header=BB2_3840 Depth=3
	v_cmp_ne_u16_sdwa s22, v11, v2 src0_sel:BYTE_0 src1_sel:DWORD
	v_mov_b32_e32 v91, 0
	s_andn2_b32 s17, s17, exec_lo
	s_and_b32 s22, s22, exec_lo
	s_or_b32 s17, s17, s22
	s_or_b32 exec_lo, exec_lo, s18
	s_and_saveexec_b32 s18, s17
	s_cbranch_execnz .LBB2_4323
	s_branch .LBB2_4324
.LBB2_4479:                             ;   in Loop: Header=BB2_3840 Depth=3
	s_or_saveexec_b32 s18, s18
	v_mov_b32_e32 v91, 0x7f800001
	s_xor_b32 exec_lo, exec_lo, s18
	s_cbranch_execz .LBB2_4336
.LBB2_4480:                             ;   in Loop: Header=BB2_3840 Depth=3
	v_cmp_ne_u16_sdwa s22, v88, v2 src0_sel:BYTE_1 src1_sel:DWORD
	v_mov_b32_e32 v91, 0
	s_andn2_b32 s17, s17, exec_lo
	s_and_b32 s22, s22, exec_lo
	s_or_b32 s17, s17, s22
	s_or_b32 exec_lo, exec_lo, s18
	s_and_saveexec_b32 s18, s17
	s_cbranch_execnz .LBB2_4337
	s_branch .LBB2_4338
.LBB2_4481:                             ;   in Loop: Header=BB2_3840 Depth=3
	s_or_saveexec_b32 s18, s18
	v_mov_b32_e32 v95, 0x7f800001
	s_xor_b32 exec_lo, exec_lo, s18
	s_cbranch_execz .LBB2_4342
.LBB2_4482:                             ;   in Loop: Header=BB2_3840 Depth=3
	v_cmp_ne_u16_sdwa s22, v11, v2 src0_sel:BYTE_1 src1_sel:DWORD
	v_mov_b32_e32 v95, 0
	s_andn2_b32 s17, s17, exec_lo
	s_and_b32 s22, s22, exec_lo
	s_or_b32 s17, s17, s22
	s_or_b32 exec_lo, exec_lo, s18
	s_and_saveexec_b32 s18, s17
	s_cbranch_execnz .LBB2_4343
	s_branch .LBB2_4344
.LBB2_4483:                             ;   in Loop: Header=BB2_3840 Depth=3
	s_or_saveexec_b32 s18, s18
	v_mov_b32_e32 v75, 0x7f800001
	s_xor_b32 exec_lo, exec_lo, s18
	s_cbranch_execz .LBB2_4356
.LBB2_4484:                             ;   in Loop: Header=BB2_3840 Depth=3
	v_cmp_ne_u16_sdwa s22, v78, v2 src0_sel:BYTE_0 src1_sel:DWORD
	v_mov_b32_e32 v75, 0
	s_andn2_b32 s17, s17, exec_lo
	s_and_b32 s22, s22, exec_lo
	s_or_b32 s17, s17, s22
	s_or_b32 exec_lo, exec_lo, s18
	v_lshl_or_b32 v78, v78, 16, v88
	s_and_saveexec_b32 s18, s17
	s_cbranch_execnz .LBB2_4357
	s_branch .LBB2_4358
.LBB2_4485:                             ;   in Loop: Header=BB2_3840 Depth=3
	s_or_saveexec_b32 s18, s18
	v_mov_b32_e32 v88, 0x7f800001
	s_xor_b32 exec_lo, exec_lo, s18
	s_cbranch_execz .LBB2_4362
.LBB2_4486:                             ;   in Loop: Header=BB2_3840 Depth=3
	v_cmp_ne_u16_e32 vcc_lo, 0, v95
	v_mov_b32_e32 v88, 0
	s_andn2_b32 s17, s17, exec_lo
	s_and_b32 s22, vcc_lo, exec_lo
	s_or_b32 s17, s17, s22
	s_or_b32 exec_lo, exec_lo, s18
	s_and_saveexec_b32 s18, s17
	s_cbranch_execnz .LBB2_4363
	s_branch .LBB2_4364
.LBB2_4487:                             ;   in Loop: Header=BB2_3840 Depth=3
	s_or_saveexec_b32 s18, s18
	v_mov_b32_e32 v88, 0x7f800001
	s_xor_b32 exec_lo, exec_lo, s18
	s_cbranch_execz .LBB2_4376
.LBB2_4488:                             ;   in Loop: Header=BB2_3840 Depth=3
	v_cmp_ne_u16_sdwa s22, v78, v2 src0_sel:BYTE_3 src1_sel:DWORD
	v_mov_b32_e32 v88, 0
	s_andn2_b32 s17, s17, exec_lo
	s_and_b32 s22, s22, exec_lo
	s_or_b32 s17, s17, s22
	s_or_b32 exec_lo, exec_lo, s18
	s_and_saveexec_b32 s18, s17
	s_cbranch_execnz .LBB2_4377
	s_branch .LBB2_4378
.LBB2_4489:                             ;   in Loop: Header=BB2_3840 Depth=3
	s_or_saveexec_b32 s18, s18
	v_mov_b32_e32 v78, 0x7f800001
	s_xor_b32 exec_lo, exec_lo, s18
	s_cbranch_execz .LBB2_4382
.LBB2_4490:                             ;   in Loop: Header=BB2_3840 Depth=3
	v_cmp_ne_u16_sdwa s22, v11, v2 src0_sel:BYTE_3 src1_sel:DWORD
	v_mov_b32_e32 v78, 0
	s_andn2_b32 s17, s17, exec_lo
	s_and_b32 s22, s22, exec_lo
	s_or_b32 s17, s17, s22
	s_or_b32 exec_lo, exec_lo, s18
	s_and_saveexec_b32 s18, s17
	s_cbranch_execnz .LBB2_4383
	s_branch .LBB2_4384
.LBB2_4491:                             ;   in Loop: Header=BB2_3107 Depth=2
	s_or_b32 exec_lo, exec_lo, s73
.LBB2_4492:                             ;   in Loop: Header=BB2_3107 Depth=2
	s_or_b32 exec_lo, exec_lo, s72
	v_and_b32_e32 v8, 15, v56
	v_cmp_lt_i32_e32 vcc_lo, 0, v60
	v_sub_nc_u32_e32 v9, v57, v8
	v_cndmask_b32_e32 v10, 0, v83, vcc_lo
	v_cndmask_b32_e64 v61, v57, v8, s16
	v_cndmask_b32_e64 v8, 0, v9, s16
	v_sub_nc_u32_e32 v9, v10, v60
	v_cmp_ne_u32_e32 vcc_lo, 0, v61
	v_add3_u32 v59, v59, v47, v8
	v_lshl_add_u32 v60, v9, 5, v58
	s_and_b32 s17, vcc_lo, exec_lo
.LBB2_4493:                             ;   in Loop: Header=BB2_3107 Depth=2
	s_or_b32 exec_lo, exec_lo, s19
	s_and_saveexec_b32 s22, s17
	s_cbranch_execz .LBB2_4880
.LBB2_4494:                             ;   in Loop: Header=BB2_3107 Depth=2
	v_ashrrev_i32_e32 v8, 31, v60
	v_ashrrev_i32_e32 v9, 31, v61
	s_mov_b32 s17, exec_lo
	v_lshrrev_b32_e32 v8, 27, v8
	v_add_nc_u32_sdwa v9, v61, v9 dst_sel:DWORD dst_unused:UNUSED_PAD src0_sel:DWORD src1_sel:BYTE_3
	v_add_nc_u32_e32 v8, v60, v8
	v_ashrrev_i32_e32 v57, 8, v9
	v_ashrrev_i32_e32 v47, 5, v8
	v_sub_nc_u32_e32 v56, v57, v47
	v_cmpx_lt_i32_e32 0, v56
	s_cbranch_execz .LBB2_4826
; %bb.4495:                             ;   in Loop: Header=BB2_3107 Depth=2
	v_and_b32_e32 v8, 0xffffffe0, v8
	s_trap 2
	ds_read_b64 v[66:67], v0
	v_lshlrev_b32_e32 v9, 8, v47
	s_mov_b32 s18, 0
	v_sub_nc_u32_e32 v8, v60, v8
	v_add3_u32 v68, v59, v8, v9
	v_ashrrev_i32_e32 v69, 31, v68
	v_add_co_u32 v8, vcc_lo, v68, v53
	v_add_co_ci_u32_e64 v9, null, v69, v54, vcc_lo
	v_add_co_u32 v10, vcc_lo, v68, v64
	v_add_co_ci_u32_e64 v11, null, v69, v65, vcc_lo
	;; [unrolled: 2-line block ×3, first 2 shown]
	s_waitcnt lgkmcnt(0)
	v_add_co_u32 v66, vcc_lo, v66, v68
	v_add_co_ci_u32_e64 v67, null, v67, v69, vcc_lo
	s_branch .LBB2_4499
.LBB2_4496:                             ;   in Loop: Header=BB2_4499 Depth=3
	s_or_b32 exec_lo, exec_lo, s16
	v_lshrrev_b32_e32 v72, 21, v72
	v_cmp_gt_i32_e32 vcc_lo, 32, v69
	v_min_i32_e32 v77, 31, v69
	v_and_b32_sdwa v68, v68, v98 dst_sel:DWORD dst_unused:UNUSED_PAD src0_sel:BYTE_3 src1_sel:DWORD
	v_cndmask_b32_e32 v72, 3, v72, vcc_lo
	v_lshlrev_b32_e32 v77, 2, v77
	v_and_b32_e32 v78, 3, v72
	v_or_b32_e32 v69, v69, v72
	v_or3_b32 v68, v77, v68, v78
	v_cmp_ne_u32_e32 vcc_lo, 0, v69
	v_cndmask_b32_e32 v69, 0, v68, vcc_lo
.LBB2_4497:                             ;   in Loop: Header=BB2_4499 Depth=3
	s_or_b32 exec_lo, exec_lo, s23
.LBB2_4498:                             ;   in Loop: Header=BB2_4499 Depth=3
	s_or_b32 exec_lo, exec_lo, s19
	v_add_co_u32 v64, vcc_lo, v64, v115
	v_sub_nc_u32_e32 v56, v56, v83
	v_add_co_ci_u32_e64 v65, null, 0, v65, vcc_lo
	v_add_co_u32 v66, vcc_lo, v66, v115
	flat_store_byte v[8:9], v58 glc slc
	flat_store_byte v[8:9], v75 offset:32 glc slc
	flat_store_byte v[8:9], v76 offset:64 glc slc
	;; [unrolled: 1-line block ×7, first 2 shown]
	flat_store_byte v[10:11], v58 glc slc
	flat_store_byte v[10:11], v75 offset:32 glc slc
	flat_store_byte v[10:11], v76 offset:64 glc slc
	;; [unrolled: 1-line block ×7, first 2 shown]
	v_add_co_ci_u32_e64 v67, null, 0, v67, vcc_lo
	v_add_co_u32 v8, vcc_lo, v8, v115
	v_add_co_ci_u32_e64 v9, null, 0, v9, vcc_lo
	v_cmp_gt_i32_e32 vcc_lo, 1, v56
	v_add_co_u32 v10, s16, v10, v115
	v_add_co_ci_u32_e64 v11, null, 0, v11, s16
	s_or_b32 s18, vcc_lo, s18
	s_andn2_b32 exec_lo, exec_lo, s18
	s_cbranch_execz .LBB2_4825
.LBB2_4499:                             ;   Parent Loop BB2_47 Depth=1
                                        ;     Parent Loop BB2_3107 Depth=2
                                        ; =>    This Inner Loop Header: Depth=3
	s_trap 2
	ds_read_b64 v[68:69], v0
	s_waitcnt lgkmcnt(0)
	v_readfirstlane_b32 s16, v68
	s_and_b32 s19, s16, 0xff
	s_cmpk_lt_i32 s19, 0x80
	s_cbranch_scc1 .LBB2_4503
; %bb.4500:                             ;   in Loop: Header=BB2_4499 Depth=3
	s_and_b32 s23, 0xffff, s19
	s_cmpk_eq_i32 s23, 0x80
	s_mov_b32 s23, -1
	s_cbranch_scc0 .LBB2_4502
; %bb.4501:                             ;   in Loop: Header=BB2_4499 Depth=3
	s_mov_b32 s23, 0
.LBB2_4502:                             ;   in Loop: Header=BB2_4499 Depth=3
	s_mov_b32 s72, 0x7f800001
	s_branch .LBB2_4505
.LBB2_4503:                             ;   in Loop: Header=BB2_4499 Depth=3
	s_mov_b32 s23, 0
	s_mov_b32 s72, 0x7f800001
	s_cbranch_execz .LBB2_4505
; %bb.4504:                             ;   in Loop: Header=BB2_4499 Depth=3
	s_and_b32 s19, 0xffff, s19
	s_mov_b32 s72, 0
	s_cmp_lg_u32 s19, 0
	s_cselect_b32 s23, -1, 0
.LBB2_4505:                             ;   in Loop: Header=BB2_4499 Depth=3
	v_mov_b32_e32 v69, s72
	s_andn2_b32 vcc_lo, exec_lo, s23
	s_cbranch_vccnz .LBB2_4507
; %bb.4506:                             ;   in Loop: Header=BB2_4499 Depth=3
	s_and_b32 s19, s16, 3
	s_bfe_u32 s72, s16, 0x50002
	s_flbit_i32_b32 s23, s19
	v_lshlrev_b32_e32 v68, 24, v68
	s_min_u32 s23, s23, 32
	s_sub_i32 s73, s23, 29
	s_sub_i32 s23, 30, s23
	s_lshl_b32 s16, s16, s73
	v_and_b32_e32 v68, 0x80000000, v68
	s_and_b32 s16, s16, 3
	s_cmp_eq_u32 s72, 0
	s_cselect_b32 s23, s23, s72
	s_cselect_b32 s16, s16, s19
	s_lshl_b32 s19, s23, 23
	s_lshl_b32 s16, s16, 21
	s_add_i32 s19, s19, 0x37800000
	v_or_b32_e32 v68, s19, v68
	v_or_b32_e32 v69, s16, v68
.LBB2_4507:                             ;   in Loop: Header=BB2_4499 Depth=3
	flat_load_ubyte v68, v[64:65] slc
	s_mov_b32 s16, 0
	s_mov_b32 s19, exec_lo
	s_waitcnt vmcnt(0) lgkmcnt(0)
	v_cmpx_lt_i16_e32 0x7f, v68
	s_xor_b32 s19, exec_lo, s19
	s_cbranch_execz .LBB2_4777
; %bb.4508:                             ;   in Loop: Header=BB2_4499 Depth=3
	s_mov_b32 s16, -1
	s_mov_b32 s23, exec_lo
	v_cmpx_eq_u16_e32 0x80, v68
; %bb.4509:                             ;   in Loop: Header=BB2_4499 Depth=3
	s_xor_b32 s16, exec_lo, -1
; %bb.4510:                             ;   in Loop: Header=BB2_4499 Depth=3
	s_or_b32 exec_lo, exec_lo, s23
	s_and_b32 s16, s16, exec_lo
	s_or_saveexec_b32 s19, s19
	v_mov_b32_e32 v58, 0x7f800001
	s_xor_b32 exec_lo, exec_lo, s19
	s_cbranch_execnz .LBB2_4778
.LBB2_4511:                             ;   in Loop: Header=BB2_4499 Depth=3
	s_or_b32 exec_lo, exec_lo, s19
	s_and_saveexec_b32 s19, s16
	s_cbranch_execz .LBB2_4513
.LBB2_4512:                             ;   in Loop: Header=BB2_4499 Depth=3
	v_and_b32_e32 v58, 0xffff, v68
	v_lshlrev_b32_e32 v68, 24, v68
	v_and_b32_e32 v62, 3, v58
	v_bfe_u32 v73, v58, 2, 5
	v_and_b32_e32 v68, 0x80000000, v68
	v_ffbh_u32_e32 v63, v62
	v_cmp_eq_u32_e32 vcc_lo, 0, v73
	v_min_u32_e32 v63, 32, v63
	v_subrev_nc_u32_e32 v72, 29, v63
	v_sub_nc_u32_e32 v63, 30, v63
	v_lshlrev_b32_e32 v58, v72, v58
	v_cndmask_b32_e32 v63, v73, v63, vcc_lo
	v_and_b32_e32 v58, 3, v58
	v_cndmask_b32_e32 v58, v62, v58, vcc_lo
	v_lshl_add_u32 v62, v63, 23, 0x37800000
	v_lshlrev_b32_e32 v58, 21, v58
	v_or3_b32 v58, v68, v62, v58
.LBB2_4513:                             ;   in Loop: Header=BB2_4499 Depth=3
	s_or_b32 exec_lo, exec_lo, s19
	v_mul_f32_e32 v68, v69, v58
	v_and_b32_e32 v58, 0x7f800000, v68
	v_cmp_ne_u32_e32 vcc_lo, 0x7f800000, v58
	v_mov_b32_e32 v58, 0x80
	s_and_saveexec_b32 s19, vcc_lo
	s_cbranch_execz .LBB2_4521
; %bb.4514:                             ;   in Loop: Header=BB2_4499 Depth=3
	v_mov_b32_e32 v58, 0
	s_mov_b32 s23, exec_lo
	v_cmpx_ne_u32_e32 0, v68
	s_cbranch_execz .LBB2_4520
; %bb.4515:                             ;   in Loop: Header=BB2_4499 Depth=3
	v_bfe_u32 v58, v68, 23, 8
	v_and_b32_e32 v62, 0x7fffff, v68
	v_sub_nc_u32_e32 v63, 0x70, v58
	v_cmp_gt_u32_e32 vcc_lo, 0x71, v58
	v_or_b32_e32 v72, 0x800000, v62
	v_cndmask_b32_e32 v63, 0, v63, vcc_lo
	v_cmp_eq_u32_e32 vcc_lo, 0, v58
	v_add_nc_u32_e32 v58, 0xffffff91, v58
	v_cndmask_b32_e64 v63, v63, 0x6f, vcc_lo
	v_cndmask_b32_e32 v62, v72, v62, vcc_lo
	v_cndmask_b32_e64 v58, v58, 0xffffff92, vcc_lo
	v_lshl_add_u32 v72, 0x200000, v63, -1
	v_lshrrev_b32_e32 v73, v63, v62
	v_lshlrev_b32_e64 v75, v63, 0x100000
	v_add_nc_u32_e32 v63, v63, v58
	v_and_b32_e32 v62, v72, v62
	v_bfe_u32 v74, v73, 21, 1
	v_cmp_eq_u32_e64 s16, v62, v75
	v_add_nc_u32_e32 v72, -1, v74
	v_cndmask_b32_e64 v62, 0, v72, s16
	v_lshrrev_b32_e32 v72, 23, v73
	s_mov_b32 s16, exec_lo
	v_add_nc_u32_e32 v62, v62, v73
	v_xor_b32_e32 v72, 1, v72
	v_and_b32_e32 v58, 0x1fffff, v62
	v_add_nc_u32_e32 v62, v58, v73
                                        ; implicit-def: $vgpr58
	v_cmpx_ne_u32_e64 v63, v72
	s_xor_b32 s16, exec_lo, s16
; %bb.4516:                             ;   in Loop: Header=BB2_4499 Depth=3
	v_cmp_lt_u32_e32 vcc_lo, 0xffffff, v62
	v_sub_nc_u32_e32 v58, v63, v72
	v_cndmask_b32_e64 v63, 0, 1, vcc_lo
	v_add_co_ci_u32_e64 v58, null, 0, v58, vcc_lo
	v_lshrrev_b32_e32 v62, v63, v62
; %bb.4517:                             ;   in Loop: Header=BB2_4499 Depth=3
	s_andn2_saveexec_b32 s16, s16
; %bb.4518:                             ;   in Loop: Header=BB2_4499 Depth=3
	v_bfe_u32 v58, v62, 23, 1
; %bb.4519:                             ;   in Loop: Header=BB2_4499 Depth=3
	s_or_b32 exec_lo, exec_lo, s16
	v_lshrrev_b32_e32 v62, 21, v62
	v_cmp_gt_i32_e32 vcc_lo, 32, v58
	v_min_i32_e32 v63, 31, v58
	v_and_b32_sdwa v68, v68, v98 dst_sel:DWORD dst_unused:UNUSED_PAD src0_sel:BYTE_3 src1_sel:DWORD
	v_cndmask_b32_e32 v62, 3, v62, vcc_lo
	v_lshlrev_b32_e32 v63, 2, v63
	v_and_b32_e32 v72, 3, v62
	v_or_b32_e32 v58, v58, v62
	v_or3_b32 v68, v63, v68, v72
	v_cmp_ne_u32_e32 vcc_lo, 0, v58
	v_cndmask_b32_e32 v58, 0, v68, vcc_lo
.LBB2_4520:                             ;   in Loop: Header=BB2_4499 Depth=3
	s_or_b32 exec_lo, exec_lo, s23
.LBB2_4521:                             ;   in Loop: Header=BB2_4499 Depth=3
	s_or_b32 exec_lo, exec_lo, s19
	flat_load_ubyte v68, v[64:65] offset:32 slc
	s_mov_b32 s16, 0
	s_mov_b32 s19, exec_lo
	s_waitcnt vmcnt(0) lgkmcnt(0)
	v_cmpx_lt_i16_e32 0x7f, v68
	s_xor_b32 s19, exec_lo, s19
	s_cbranch_execz .LBB2_4779
; %bb.4522:                             ;   in Loop: Header=BB2_4499 Depth=3
	s_mov_b32 s16, -1
	s_mov_b32 s23, exec_lo
	v_cmpx_eq_u16_e32 0x80, v68
; %bb.4523:                             ;   in Loop: Header=BB2_4499 Depth=3
	s_xor_b32 s16, exec_lo, -1
; %bb.4524:                             ;   in Loop: Header=BB2_4499 Depth=3
	s_or_b32 exec_lo, exec_lo, s23
	s_and_b32 s16, s16, exec_lo
	s_or_saveexec_b32 s19, s19
	v_mov_b32_e32 v62, 0x7f800001
	s_xor_b32 exec_lo, exec_lo, s19
	s_cbranch_execnz .LBB2_4780
.LBB2_4525:                             ;   in Loop: Header=BB2_4499 Depth=3
	s_or_b32 exec_lo, exec_lo, s19
	s_and_saveexec_b32 s19, s16
	s_cbranch_execz .LBB2_4527
.LBB2_4526:                             ;   in Loop: Header=BB2_4499 Depth=3
	v_and_b32_e32 v62, 0xffff, v68
	v_lshlrev_b32_e32 v68, 24, v68
	v_and_b32_e32 v63, 3, v62
	v_bfe_u32 v74, v62, 2, 5
	v_and_b32_e32 v68, 0x80000000, v68
	v_ffbh_u32_e32 v72, v63
	v_cmp_eq_u32_e32 vcc_lo, 0, v74
	v_min_u32_e32 v72, 32, v72
	v_subrev_nc_u32_e32 v73, 29, v72
	v_sub_nc_u32_e32 v72, 30, v72
	v_lshlrev_b32_e32 v62, v73, v62
	v_cndmask_b32_e32 v72, v74, v72, vcc_lo
	v_and_b32_e32 v62, 3, v62
	v_cndmask_b32_e32 v62, v63, v62, vcc_lo
	v_lshl_add_u32 v63, v72, 23, 0x37800000
	v_lshlrev_b32_e32 v62, 21, v62
	v_or3_b32 v62, v68, v63, v62
.LBB2_4527:                             ;   in Loop: Header=BB2_4499 Depth=3
	s_or_b32 exec_lo, exec_lo, s19
	v_mul_f32_e32 v68, v69, v62
	v_mov_b32_e32 v75, 0x80
	s_mov_b32 s19, exec_lo
	v_and_b32_e32 v62, 0x7f800000, v68
	v_cmpx_ne_u32_e32 0x7f800000, v62
	s_cbranch_execz .LBB2_4535
; %bb.4528:                             ;   in Loop: Header=BB2_4499 Depth=3
	v_mov_b32_e32 v75, 0
	s_mov_b32 s23, exec_lo
	v_cmpx_ne_u32_e32 0, v68
	s_cbranch_execz .LBB2_4534
; %bb.4529:                             ;   in Loop: Header=BB2_4499 Depth=3
	v_bfe_u32 v62, v68, 23, 8
	v_and_b32_e32 v63, 0x7fffff, v68
	v_sub_nc_u32_e32 v72, 0x70, v62
	v_cmp_gt_u32_e32 vcc_lo, 0x71, v62
	v_or_b32_e32 v73, 0x800000, v63
	v_cndmask_b32_e32 v72, 0, v72, vcc_lo
	v_cmp_eq_u32_e32 vcc_lo, 0, v62
	v_add_nc_u32_e32 v62, 0xffffff91, v62
	v_cndmask_b32_e64 v72, v72, 0x6f, vcc_lo
	v_cndmask_b32_e32 v63, v73, v63, vcc_lo
	v_cndmask_b32_e64 v62, v62, 0xffffff92, vcc_lo
	v_lshl_add_u32 v73, 0x200000, v72, -1
	v_lshrrev_b32_e32 v74, v72, v63
	v_lshlrev_b32_e64 v76, v72, 0x100000
	v_add_nc_u32_e32 v72, v72, v62
	v_and_b32_e32 v63, v73, v63
	v_bfe_u32 v75, v74, 21, 1
	v_cmp_eq_u32_e64 s16, v63, v76
	v_add_nc_u32_e32 v73, -1, v75
	v_cndmask_b32_e64 v63, 0, v73, s16
	v_lshrrev_b32_e32 v73, 23, v74
	s_mov_b32 s16, exec_lo
	v_add_nc_u32_e32 v63, v63, v74
	v_xor_b32_e32 v73, 1, v73
	v_and_b32_e32 v62, 0x1fffff, v63
	v_add_nc_u32_e32 v63, v62, v74
                                        ; implicit-def: $vgpr62
	v_cmpx_ne_u32_e64 v72, v73
	s_xor_b32 s16, exec_lo, s16
; %bb.4530:                             ;   in Loop: Header=BB2_4499 Depth=3
	v_cmp_lt_u32_e32 vcc_lo, 0xffffff, v63
	v_sub_nc_u32_e32 v62, v72, v73
	v_cndmask_b32_e64 v72, 0, 1, vcc_lo
	v_add_co_ci_u32_e64 v62, null, 0, v62, vcc_lo
	v_lshrrev_b32_e32 v63, v72, v63
; %bb.4531:                             ;   in Loop: Header=BB2_4499 Depth=3
	s_andn2_saveexec_b32 s16, s16
; %bb.4532:                             ;   in Loop: Header=BB2_4499 Depth=3
	v_bfe_u32 v62, v63, 23, 1
; %bb.4533:                             ;   in Loop: Header=BB2_4499 Depth=3
	s_or_b32 exec_lo, exec_lo, s16
	v_lshrrev_b32_e32 v63, 21, v63
	v_cmp_gt_i32_e32 vcc_lo, 32, v62
	v_min_i32_e32 v72, 31, v62
	v_and_b32_sdwa v68, v68, v98 dst_sel:DWORD dst_unused:UNUSED_PAD src0_sel:BYTE_3 src1_sel:DWORD
	v_cndmask_b32_e32 v63, 3, v63, vcc_lo
	v_lshlrev_b32_e32 v72, 2, v72
	v_and_b32_e32 v73, 3, v63
	v_or_b32_e32 v62, v62, v63
	v_or3_b32 v68, v72, v68, v73
	v_cmp_ne_u32_e32 vcc_lo, 0, v62
	v_cndmask_b32_e32 v75, 0, v68, vcc_lo
.LBB2_4534:                             ;   in Loop: Header=BB2_4499 Depth=3
	s_or_b32 exec_lo, exec_lo, s23
.LBB2_4535:                             ;   in Loop: Header=BB2_4499 Depth=3
	s_or_b32 exec_lo, exec_lo, s19
	flat_load_ubyte v68, v[64:65] offset:64 slc
	s_mov_b32 s16, 0
	s_mov_b32 s19, exec_lo
	s_waitcnt vmcnt(0) lgkmcnt(0)
	v_cmpx_lt_i16_e32 0x7f, v68
	s_xor_b32 s19, exec_lo, s19
	s_cbranch_execz .LBB2_4781
; %bb.4536:                             ;   in Loop: Header=BB2_4499 Depth=3
	s_mov_b32 s16, -1
	s_mov_b32 s23, exec_lo
	v_cmpx_eq_u16_e32 0x80, v68
; %bb.4537:                             ;   in Loop: Header=BB2_4499 Depth=3
	s_xor_b32 s16, exec_lo, -1
; %bb.4538:                             ;   in Loop: Header=BB2_4499 Depth=3
	s_or_b32 exec_lo, exec_lo, s23
	s_and_b32 s16, s16, exec_lo
	s_or_saveexec_b32 s19, s19
	v_mov_b32_e32 v62, 0x7f800001
	s_xor_b32 exec_lo, exec_lo, s19
	s_cbranch_execnz .LBB2_4782
.LBB2_4539:                             ;   in Loop: Header=BB2_4499 Depth=3
	s_or_b32 exec_lo, exec_lo, s19
	s_and_saveexec_b32 s19, s16
	s_cbranch_execz .LBB2_4541
.LBB2_4540:                             ;   in Loop: Header=BB2_4499 Depth=3
	v_and_b32_e32 v62, 0xffff, v68
	v_lshlrev_b32_e32 v68, 24, v68
	v_and_b32_e32 v63, 3, v62
	v_bfe_u32 v74, v62, 2, 5
	v_and_b32_e32 v68, 0x80000000, v68
	v_ffbh_u32_e32 v72, v63
	v_cmp_eq_u32_e32 vcc_lo, 0, v74
	v_min_u32_e32 v72, 32, v72
	v_subrev_nc_u32_e32 v73, 29, v72
	v_sub_nc_u32_e32 v72, 30, v72
	v_lshlrev_b32_e32 v62, v73, v62
	v_cndmask_b32_e32 v72, v74, v72, vcc_lo
	v_and_b32_e32 v62, 3, v62
	v_cndmask_b32_e32 v62, v63, v62, vcc_lo
	v_lshl_add_u32 v63, v72, 23, 0x37800000
	v_lshlrev_b32_e32 v62, 21, v62
	v_or3_b32 v62, v68, v63, v62
.LBB2_4541:                             ;   in Loop: Header=BB2_4499 Depth=3
	s_or_b32 exec_lo, exec_lo, s19
	v_mul_f32_e32 v68, v69, v62
	v_mov_b32_e32 v76, 0x80
	s_mov_b32 s19, exec_lo
	v_and_b32_e32 v62, 0x7f800000, v68
	v_cmpx_ne_u32_e32 0x7f800000, v62
	s_cbranch_execz .LBB2_4549
; %bb.4542:                             ;   in Loop: Header=BB2_4499 Depth=3
	v_mov_b32_e32 v76, 0
	s_mov_b32 s23, exec_lo
	v_cmpx_ne_u32_e32 0, v68
	s_cbranch_execz .LBB2_4548
; %bb.4543:                             ;   in Loop: Header=BB2_4499 Depth=3
	v_bfe_u32 v62, v68, 23, 8
	v_and_b32_e32 v63, 0x7fffff, v68
	v_sub_nc_u32_e32 v72, 0x70, v62
	v_cmp_gt_u32_e32 vcc_lo, 0x71, v62
	v_or_b32_e32 v73, 0x800000, v63
	v_cndmask_b32_e32 v72, 0, v72, vcc_lo
	v_cmp_eq_u32_e32 vcc_lo, 0, v62
	v_add_nc_u32_e32 v62, 0xffffff91, v62
	v_cndmask_b32_e64 v72, v72, 0x6f, vcc_lo
	v_cndmask_b32_e32 v63, v73, v63, vcc_lo
	v_cndmask_b32_e64 v62, v62, 0xffffff92, vcc_lo
	v_lshl_add_u32 v73, 0x200000, v72, -1
	v_lshrrev_b32_e32 v74, v72, v63
	v_lshlrev_b32_e64 v77, v72, 0x100000
	v_add_nc_u32_e32 v72, v72, v62
	v_and_b32_e32 v63, v73, v63
	v_bfe_u32 v76, v74, 21, 1
	v_cmp_eq_u32_e64 s16, v63, v77
	v_add_nc_u32_e32 v73, -1, v76
	v_cndmask_b32_e64 v63, 0, v73, s16
	v_lshrrev_b32_e32 v73, 23, v74
	s_mov_b32 s16, exec_lo
	v_add_nc_u32_e32 v63, v63, v74
	v_xor_b32_e32 v73, 1, v73
	v_and_b32_e32 v62, 0x1fffff, v63
	v_add_nc_u32_e32 v63, v62, v74
                                        ; implicit-def: $vgpr62
	v_cmpx_ne_u32_e64 v72, v73
	s_xor_b32 s16, exec_lo, s16
; %bb.4544:                             ;   in Loop: Header=BB2_4499 Depth=3
	v_cmp_lt_u32_e32 vcc_lo, 0xffffff, v63
	v_sub_nc_u32_e32 v62, v72, v73
	v_cndmask_b32_e64 v72, 0, 1, vcc_lo
	v_add_co_ci_u32_e64 v62, null, 0, v62, vcc_lo
	v_lshrrev_b32_e32 v63, v72, v63
; %bb.4545:                             ;   in Loop: Header=BB2_4499 Depth=3
	s_andn2_saveexec_b32 s16, s16
; %bb.4546:                             ;   in Loop: Header=BB2_4499 Depth=3
	v_bfe_u32 v62, v63, 23, 1
; %bb.4547:                             ;   in Loop: Header=BB2_4499 Depth=3
	s_or_b32 exec_lo, exec_lo, s16
	v_lshrrev_b32_e32 v63, 21, v63
	v_cmp_gt_i32_e32 vcc_lo, 32, v62
	v_min_i32_e32 v72, 31, v62
	v_and_b32_sdwa v68, v68, v98 dst_sel:DWORD dst_unused:UNUSED_PAD src0_sel:BYTE_3 src1_sel:DWORD
	v_cndmask_b32_e32 v63, 3, v63, vcc_lo
	v_lshlrev_b32_e32 v72, 2, v72
	v_and_b32_e32 v73, 3, v63
	v_or_b32_e32 v62, v62, v63
	v_or3_b32 v68, v72, v68, v73
	v_cmp_ne_u32_e32 vcc_lo, 0, v62
	v_cndmask_b32_e32 v76, 0, v68, vcc_lo
.LBB2_4548:                             ;   in Loop: Header=BB2_4499 Depth=3
	s_or_b32 exec_lo, exec_lo, s23
.LBB2_4549:                             ;   in Loop: Header=BB2_4499 Depth=3
	s_or_b32 exec_lo, exec_lo, s19
	flat_load_ubyte v68, v[64:65] offset:96 slc
	s_mov_b32 s16, 0
	s_mov_b32 s19, exec_lo
	s_waitcnt vmcnt(0) lgkmcnt(0)
	v_cmpx_lt_i16_e32 0x7f, v68
	s_xor_b32 s19, exec_lo, s19
	s_cbranch_execz .LBB2_4783
; %bb.4550:                             ;   in Loop: Header=BB2_4499 Depth=3
	s_mov_b32 s16, -1
	s_mov_b32 s23, exec_lo
	v_cmpx_eq_u16_e32 0x80, v68
; %bb.4551:                             ;   in Loop: Header=BB2_4499 Depth=3
	s_xor_b32 s16, exec_lo, -1
; %bb.4552:                             ;   in Loop: Header=BB2_4499 Depth=3
	s_or_b32 exec_lo, exec_lo, s23
	s_and_b32 s16, s16, exec_lo
	s_or_saveexec_b32 s19, s19
	v_mov_b32_e32 v62, 0x7f800001
	s_xor_b32 exec_lo, exec_lo, s19
	s_cbranch_execnz .LBB2_4784
.LBB2_4553:                             ;   in Loop: Header=BB2_4499 Depth=3
	s_or_b32 exec_lo, exec_lo, s19
	s_and_saveexec_b32 s19, s16
	s_cbranch_execz .LBB2_4555
.LBB2_4554:                             ;   in Loop: Header=BB2_4499 Depth=3
	v_and_b32_e32 v62, 0xffff, v68
	v_lshlrev_b32_e32 v68, 24, v68
	v_and_b32_e32 v63, 3, v62
	v_bfe_u32 v74, v62, 2, 5
	v_and_b32_e32 v68, 0x80000000, v68
	v_ffbh_u32_e32 v72, v63
	v_cmp_eq_u32_e32 vcc_lo, 0, v74
	v_min_u32_e32 v72, 32, v72
	v_subrev_nc_u32_e32 v73, 29, v72
	v_sub_nc_u32_e32 v72, 30, v72
	v_lshlrev_b32_e32 v62, v73, v62
	v_cndmask_b32_e32 v72, v74, v72, vcc_lo
	v_and_b32_e32 v62, 3, v62
	v_cndmask_b32_e32 v62, v63, v62, vcc_lo
	v_lshl_add_u32 v63, v72, 23, 0x37800000
	v_lshlrev_b32_e32 v62, 21, v62
	v_or3_b32 v62, v68, v63, v62
.LBB2_4555:                             ;   in Loop: Header=BB2_4499 Depth=3
	s_or_b32 exec_lo, exec_lo, s19
	v_mul_f32_e32 v68, v69, v62
	v_mov_b32_e32 v74, 0x80
	s_mov_b32 s19, exec_lo
	v_and_b32_e32 v62, 0x7f800000, v68
	v_cmpx_ne_u32_e32 0x7f800000, v62
	s_cbranch_execz .LBB2_4563
; %bb.4556:                             ;   in Loop: Header=BB2_4499 Depth=3
	v_mov_b32_e32 v74, 0
	s_mov_b32 s23, exec_lo
	v_cmpx_ne_u32_e32 0, v68
	s_cbranch_execz .LBB2_4562
; %bb.4557:                             ;   in Loop: Header=BB2_4499 Depth=3
	v_bfe_u32 v62, v68, 23, 8
	v_and_b32_e32 v63, 0x7fffff, v68
	v_sub_nc_u32_e32 v72, 0x70, v62
	v_cmp_gt_u32_e32 vcc_lo, 0x71, v62
	v_or_b32_e32 v73, 0x800000, v63
	v_cndmask_b32_e32 v72, 0, v72, vcc_lo
	v_cmp_eq_u32_e32 vcc_lo, 0, v62
	v_add_nc_u32_e32 v62, 0xffffff91, v62
	v_cndmask_b32_e64 v72, v72, 0x6f, vcc_lo
	v_cndmask_b32_e32 v63, v73, v63, vcc_lo
	v_cndmask_b32_e64 v62, v62, 0xffffff92, vcc_lo
	v_lshl_add_u32 v73, 0x200000, v72, -1
	v_lshrrev_b32_e32 v74, v72, v63
	v_lshlrev_b32_e64 v78, v72, 0x100000
	v_add_nc_u32_e32 v72, v72, v62
	v_and_b32_e32 v63, v73, v63
	v_bfe_u32 v77, v74, 21, 1
	v_cmp_eq_u32_e64 s16, v63, v78
	v_add_nc_u32_e32 v73, -1, v77
	v_cndmask_b32_e64 v63, 0, v73, s16
	v_lshrrev_b32_e32 v73, 23, v74
	s_mov_b32 s16, exec_lo
	v_add_nc_u32_e32 v63, v63, v74
	v_xor_b32_e32 v73, 1, v73
	v_and_b32_e32 v62, 0x1fffff, v63
	v_add_nc_u32_e32 v63, v62, v74
                                        ; implicit-def: $vgpr62
	v_cmpx_ne_u32_e64 v72, v73
	s_xor_b32 s16, exec_lo, s16
; %bb.4558:                             ;   in Loop: Header=BB2_4499 Depth=3
	v_cmp_lt_u32_e32 vcc_lo, 0xffffff, v63
	v_sub_nc_u32_e32 v62, v72, v73
	v_cndmask_b32_e64 v72, 0, 1, vcc_lo
	v_add_co_ci_u32_e64 v62, null, 0, v62, vcc_lo
	v_lshrrev_b32_e32 v63, v72, v63
; %bb.4559:                             ;   in Loop: Header=BB2_4499 Depth=3
	s_andn2_saveexec_b32 s16, s16
; %bb.4560:                             ;   in Loop: Header=BB2_4499 Depth=3
	v_bfe_u32 v62, v63, 23, 1
; %bb.4561:                             ;   in Loop: Header=BB2_4499 Depth=3
	s_or_b32 exec_lo, exec_lo, s16
	v_lshrrev_b32_e32 v63, 21, v63
	v_cmp_gt_i32_e32 vcc_lo, 32, v62
	v_min_i32_e32 v72, 31, v62
	v_and_b32_sdwa v68, v68, v98 dst_sel:DWORD dst_unused:UNUSED_PAD src0_sel:BYTE_3 src1_sel:DWORD
	v_cndmask_b32_e32 v63, 3, v63, vcc_lo
	v_lshlrev_b32_e32 v72, 2, v72
	v_and_b32_e32 v73, 3, v63
	v_or_b32_e32 v62, v62, v63
	v_or3_b32 v68, v72, v68, v73
	v_cmp_ne_u32_e32 vcc_lo, 0, v62
	v_cndmask_b32_e32 v74, 0, v68, vcc_lo
.LBB2_4562:                             ;   in Loop: Header=BB2_4499 Depth=3
	s_or_b32 exec_lo, exec_lo, s23
.LBB2_4563:                             ;   in Loop: Header=BB2_4499 Depth=3
	s_or_b32 exec_lo, exec_lo, s19
	flat_load_ubyte v68, v[64:65] offset:128 slc
	s_mov_b32 s16, 0
	s_mov_b32 s19, exec_lo
	s_waitcnt vmcnt(0) lgkmcnt(0)
	v_cmpx_lt_i16_e32 0x7f, v68
	s_xor_b32 s19, exec_lo, s19
	s_cbranch_execz .LBB2_4785
; %bb.4564:                             ;   in Loop: Header=BB2_4499 Depth=3
	s_mov_b32 s16, -1
	s_mov_b32 s23, exec_lo
	v_cmpx_eq_u16_e32 0x80, v68
; %bb.4565:                             ;   in Loop: Header=BB2_4499 Depth=3
	s_xor_b32 s16, exec_lo, -1
; %bb.4566:                             ;   in Loop: Header=BB2_4499 Depth=3
	s_or_b32 exec_lo, exec_lo, s23
	s_and_b32 s16, s16, exec_lo
	s_or_saveexec_b32 s19, s19
	v_mov_b32_e32 v62, 0x7f800001
	s_xor_b32 exec_lo, exec_lo, s19
	s_cbranch_execnz .LBB2_4786
.LBB2_4567:                             ;   in Loop: Header=BB2_4499 Depth=3
	s_or_b32 exec_lo, exec_lo, s19
	s_and_saveexec_b32 s19, s16
	s_cbranch_execz .LBB2_4569
.LBB2_4568:                             ;   in Loop: Header=BB2_4499 Depth=3
	v_and_b32_e32 v62, 0xffff, v68
	v_lshlrev_b32_e32 v68, 24, v68
	v_and_b32_e32 v63, 3, v62
	v_bfe_u32 v77, v62, 2, 5
	v_and_b32_e32 v68, 0x80000000, v68
	v_ffbh_u32_e32 v72, v63
	v_cmp_eq_u32_e32 vcc_lo, 0, v77
	v_min_u32_e32 v72, 32, v72
	v_subrev_nc_u32_e32 v73, 29, v72
	v_sub_nc_u32_e32 v72, 30, v72
	v_lshlrev_b32_e32 v62, v73, v62
	v_cndmask_b32_e32 v72, v77, v72, vcc_lo
	v_and_b32_e32 v62, 3, v62
	v_cndmask_b32_e32 v62, v63, v62, vcc_lo
	v_lshl_add_u32 v63, v72, 23, 0x37800000
	v_lshlrev_b32_e32 v62, 21, v62
	v_or3_b32 v62, v68, v63, v62
.LBB2_4569:                             ;   in Loop: Header=BB2_4499 Depth=3
	s_or_b32 exec_lo, exec_lo, s19
	v_mul_f32_e32 v68, v69, v62
	v_mov_b32_e32 v73, 0x80
	s_mov_b32 s19, exec_lo
	v_and_b32_e32 v62, 0x7f800000, v68
	v_cmpx_ne_u32_e32 0x7f800000, v62
	s_cbranch_execz .LBB2_4577
; %bb.4570:                             ;   in Loop: Header=BB2_4499 Depth=3
	v_mov_b32_e32 v73, 0
	s_mov_b32 s23, exec_lo
	v_cmpx_ne_u32_e32 0, v68
	s_cbranch_execz .LBB2_4576
; %bb.4571:                             ;   in Loop: Header=BB2_4499 Depth=3
	v_bfe_u32 v62, v68, 23, 8
	v_and_b32_e32 v63, 0x7fffff, v68
	v_sub_nc_u32_e32 v72, 0x70, v62
	v_cmp_gt_u32_e32 vcc_lo, 0x71, v62
	v_or_b32_e32 v73, 0x800000, v63
	v_cndmask_b32_e32 v72, 0, v72, vcc_lo
	v_cmp_eq_u32_e32 vcc_lo, 0, v62
	v_add_nc_u32_e32 v62, 0xffffff91, v62
	v_cndmask_b32_e64 v72, v72, 0x6f, vcc_lo
	v_cndmask_b32_e32 v63, v73, v63, vcc_lo
	v_cndmask_b32_e64 v62, v62, 0xffffff92, vcc_lo
	v_lshl_add_u32 v73, 0x200000, v72, -1
	v_lshrrev_b32_e32 v77, v72, v63
	v_lshlrev_b32_e64 v79, v72, 0x100000
	v_add_nc_u32_e32 v72, v72, v62
	v_and_b32_e32 v63, v73, v63
	v_bfe_u32 v78, v77, 21, 1
	v_cmp_eq_u32_e64 s16, v63, v79
	v_add_nc_u32_e32 v73, -1, v78
	v_cndmask_b32_e64 v63, 0, v73, s16
	v_lshrrev_b32_e32 v73, 23, v77
	s_mov_b32 s16, exec_lo
	v_add_nc_u32_e32 v63, v63, v77
	v_xor_b32_e32 v73, 1, v73
	v_and_b32_e32 v62, 0x1fffff, v63
	v_add_nc_u32_e32 v63, v62, v77
                                        ; implicit-def: $vgpr62
	v_cmpx_ne_u32_e64 v72, v73
	s_xor_b32 s16, exec_lo, s16
; %bb.4572:                             ;   in Loop: Header=BB2_4499 Depth=3
	v_cmp_lt_u32_e32 vcc_lo, 0xffffff, v63
	v_sub_nc_u32_e32 v62, v72, v73
	v_cndmask_b32_e64 v72, 0, 1, vcc_lo
	v_add_co_ci_u32_e64 v62, null, 0, v62, vcc_lo
	v_lshrrev_b32_e32 v63, v72, v63
; %bb.4573:                             ;   in Loop: Header=BB2_4499 Depth=3
	s_andn2_saveexec_b32 s16, s16
; %bb.4574:                             ;   in Loop: Header=BB2_4499 Depth=3
	v_bfe_u32 v62, v63, 23, 1
; %bb.4575:                             ;   in Loop: Header=BB2_4499 Depth=3
	s_or_b32 exec_lo, exec_lo, s16
	v_lshrrev_b32_e32 v63, 21, v63
	v_cmp_gt_i32_e32 vcc_lo, 32, v62
	v_min_i32_e32 v72, 31, v62
	v_and_b32_sdwa v68, v68, v98 dst_sel:DWORD dst_unused:UNUSED_PAD src0_sel:BYTE_3 src1_sel:DWORD
	v_cndmask_b32_e32 v63, 3, v63, vcc_lo
	v_lshlrev_b32_e32 v72, 2, v72
	v_and_b32_e32 v73, 3, v63
	v_or_b32_e32 v62, v62, v63
	v_or3_b32 v68, v72, v68, v73
	v_cmp_ne_u32_e32 vcc_lo, 0, v62
	v_cndmask_b32_e32 v73, 0, v68, vcc_lo
.LBB2_4576:                             ;   in Loop: Header=BB2_4499 Depth=3
	s_or_b32 exec_lo, exec_lo, s23
.LBB2_4577:                             ;   in Loop: Header=BB2_4499 Depth=3
	s_or_b32 exec_lo, exec_lo, s19
	flat_load_ubyte v68, v[64:65] offset:160 slc
	s_mov_b32 s16, 0
	s_mov_b32 s19, exec_lo
	s_waitcnt vmcnt(0) lgkmcnt(0)
	v_cmpx_lt_i16_e32 0x7f, v68
	s_xor_b32 s19, exec_lo, s19
	s_cbranch_execz .LBB2_4787
; %bb.4578:                             ;   in Loop: Header=BB2_4499 Depth=3
	s_mov_b32 s16, -1
	s_mov_b32 s23, exec_lo
	v_cmpx_eq_u16_e32 0x80, v68
; %bb.4579:                             ;   in Loop: Header=BB2_4499 Depth=3
	s_xor_b32 s16, exec_lo, -1
; %bb.4580:                             ;   in Loop: Header=BB2_4499 Depth=3
	s_or_b32 exec_lo, exec_lo, s23
	s_and_b32 s16, s16, exec_lo
	s_or_saveexec_b32 s19, s19
	v_mov_b32_e32 v62, 0x7f800001
	s_xor_b32 exec_lo, exec_lo, s19
	s_cbranch_execnz .LBB2_4788
.LBB2_4581:                             ;   in Loop: Header=BB2_4499 Depth=3
	s_or_b32 exec_lo, exec_lo, s19
	s_and_saveexec_b32 s19, s16
	s_cbranch_execz .LBB2_4583
.LBB2_4582:                             ;   in Loop: Header=BB2_4499 Depth=3
	v_and_b32_e32 v62, 0xffff, v68
	v_lshlrev_b32_e32 v68, 24, v68
	v_and_b32_e32 v63, 3, v62
	v_bfe_u32 v78, v62, 2, 5
	v_and_b32_e32 v68, 0x80000000, v68
	v_ffbh_u32_e32 v72, v63
	v_cmp_eq_u32_e32 vcc_lo, 0, v78
	v_min_u32_e32 v72, 32, v72
	v_subrev_nc_u32_e32 v77, 29, v72
	v_sub_nc_u32_e32 v72, 30, v72
	v_lshlrev_b32_e32 v62, v77, v62
	v_cndmask_b32_e32 v72, v78, v72, vcc_lo
	v_and_b32_e32 v62, 3, v62
	v_cndmask_b32_e32 v62, v63, v62, vcc_lo
	v_lshl_add_u32 v63, v72, 23, 0x37800000
	v_lshlrev_b32_e32 v62, 21, v62
	v_or3_b32 v62, v68, v63, v62
.LBB2_4583:                             ;   in Loop: Header=BB2_4499 Depth=3
	s_or_b32 exec_lo, exec_lo, s19
	v_mul_f32_e32 v68, v69, v62
	v_mov_b32_e32 v63, 0x80
	s_mov_b32 s19, exec_lo
	v_and_b32_e32 v62, 0x7f800000, v68
	v_cmpx_ne_u32_e32 0x7f800000, v62
	s_cbranch_execz .LBB2_4591
; %bb.4584:                             ;   in Loop: Header=BB2_4499 Depth=3
	v_mov_b32_e32 v63, 0
	s_mov_b32 s23, exec_lo
	v_cmpx_ne_u32_e32 0, v68
	s_cbranch_execz .LBB2_4590
; %bb.4585:                             ;   in Loop: Header=BB2_4499 Depth=3
	v_bfe_u32 v62, v68, 23, 8
	v_and_b32_e32 v63, 0x7fffff, v68
	v_sub_nc_u32_e32 v72, 0x70, v62
	v_cmp_gt_u32_e32 vcc_lo, 0x71, v62
	v_or_b32_e32 v77, 0x800000, v63
	v_cndmask_b32_e32 v72, 0, v72, vcc_lo
	v_cmp_eq_u32_e32 vcc_lo, 0, v62
	v_add_nc_u32_e32 v62, 0xffffff91, v62
	v_cndmask_b32_e64 v72, v72, 0x6f, vcc_lo
	v_cndmask_b32_e32 v63, v77, v63, vcc_lo
	v_cndmask_b32_e64 v62, v62, 0xffffff92, vcc_lo
	v_lshl_add_u32 v77, 0x200000, v72, -1
	v_lshrrev_b32_e32 v78, v72, v63
	v_lshlrev_b32_e64 v88, v72, 0x100000
	v_add_nc_u32_e32 v72, v72, v62
	v_and_b32_e32 v63, v77, v63
	v_bfe_u32 v79, v78, 21, 1
	v_cmp_eq_u32_e64 s16, v63, v88
	v_add_nc_u32_e32 v77, -1, v79
	v_cndmask_b32_e64 v63, 0, v77, s16
	v_lshrrev_b32_e32 v77, 23, v78
	s_mov_b32 s16, exec_lo
	v_add_nc_u32_e32 v63, v63, v78
	v_xor_b32_e32 v77, 1, v77
	v_and_b32_e32 v62, 0x1fffff, v63
	v_add_nc_u32_e32 v63, v62, v78
                                        ; implicit-def: $vgpr62
	v_cmpx_ne_u32_e64 v72, v77
	s_xor_b32 s16, exec_lo, s16
; %bb.4586:                             ;   in Loop: Header=BB2_4499 Depth=3
	v_cmp_lt_u32_e32 vcc_lo, 0xffffff, v63
	v_sub_nc_u32_e32 v62, v72, v77
	v_cndmask_b32_e64 v72, 0, 1, vcc_lo
	v_add_co_ci_u32_e64 v62, null, 0, v62, vcc_lo
	v_lshrrev_b32_e32 v63, v72, v63
; %bb.4587:                             ;   in Loop: Header=BB2_4499 Depth=3
	s_andn2_saveexec_b32 s16, s16
; %bb.4588:                             ;   in Loop: Header=BB2_4499 Depth=3
	v_bfe_u32 v62, v63, 23, 1
; %bb.4589:                             ;   in Loop: Header=BB2_4499 Depth=3
	s_or_b32 exec_lo, exec_lo, s16
	v_lshrrev_b32_e32 v63, 21, v63
	v_cmp_gt_i32_e32 vcc_lo, 32, v62
	v_min_i32_e32 v72, 31, v62
	v_and_b32_sdwa v68, v68, v98 dst_sel:DWORD dst_unused:UNUSED_PAD src0_sel:BYTE_3 src1_sel:DWORD
	v_cndmask_b32_e32 v63, 3, v63, vcc_lo
	v_lshlrev_b32_e32 v72, 2, v72
	v_and_b32_e32 v77, 3, v63
	v_or_b32_e32 v62, v62, v63
	v_or3_b32 v68, v72, v68, v77
	v_cmp_ne_u32_e32 vcc_lo, 0, v62
	v_cndmask_b32_e32 v63, 0, v68, vcc_lo
.LBB2_4590:                             ;   in Loop: Header=BB2_4499 Depth=3
	s_or_b32 exec_lo, exec_lo, s23
.LBB2_4591:                             ;   in Loop: Header=BB2_4499 Depth=3
	s_or_b32 exec_lo, exec_lo, s19
	flat_load_ubyte v68, v[64:65] offset:192 slc
	s_mov_b32 s16, 0
	s_mov_b32 s19, exec_lo
	s_waitcnt vmcnt(0) lgkmcnt(0)
	v_cmpx_lt_i16_e32 0x7f, v68
	s_xor_b32 s19, exec_lo, s19
	s_cbranch_execz .LBB2_4789
; %bb.4592:                             ;   in Loop: Header=BB2_4499 Depth=3
	s_mov_b32 s16, -1
	s_mov_b32 s23, exec_lo
	v_cmpx_eq_u16_e32 0x80, v68
; %bb.4593:                             ;   in Loop: Header=BB2_4499 Depth=3
	s_xor_b32 s16, exec_lo, -1
; %bb.4594:                             ;   in Loop: Header=BB2_4499 Depth=3
	s_or_b32 exec_lo, exec_lo, s23
	s_and_b32 s16, s16, exec_lo
	s_or_saveexec_b32 s19, s19
	v_mov_b32_e32 v62, 0x7f800001
	s_xor_b32 exec_lo, exec_lo, s19
	s_cbranch_execnz .LBB2_4790
.LBB2_4595:                             ;   in Loop: Header=BB2_4499 Depth=3
	s_or_b32 exec_lo, exec_lo, s19
	s_and_saveexec_b32 s19, s16
	s_cbranch_execz .LBB2_4597
.LBB2_4596:                             ;   in Loop: Header=BB2_4499 Depth=3
	v_and_b32_e32 v62, 0xffff, v68
	v_lshlrev_b32_e32 v68, 24, v68
	v_and_b32_e32 v72, 3, v62
	v_bfe_u32 v79, v62, 2, 5
	v_and_b32_e32 v68, 0x80000000, v68
	v_ffbh_u32_e32 v77, v72
	v_cmp_eq_u32_e32 vcc_lo, 0, v79
	v_min_u32_e32 v77, 32, v77
	v_subrev_nc_u32_e32 v78, 29, v77
	v_sub_nc_u32_e32 v77, 30, v77
	v_lshlrev_b32_e32 v62, v78, v62
	v_cndmask_b32_e32 v77, v79, v77, vcc_lo
	v_and_b32_e32 v62, 3, v62
	v_cndmask_b32_e32 v62, v72, v62, vcc_lo
	v_lshl_add_u32 v72, v77, 23, 0x37800000
	v_lshlrev_b32_e32 v62, 21, v62
	v_or3_b32 v62, v68, v72, v62
.LBB2_4597:                             ;   in Loop: Header=BB2_4499 Depth=3
	s_or_b32 exec_lo, exec_lo, s19
	v_mul_f32_e32 v68, v69, v62
	v_and_b32_e32 v62, 0x7f800000, v68
	v_cmp_ne_u32_e32 vcc_lo, 0x7f800000, v62
	v_mov_b32_e32 v62, 0x80
	s_and_saveexec_b32 s19, vcc_lo
	s_cbranch_execz .LBB2_4605
; %bb.4598:                             ;   in Loop: Header=BB2_4499 Depth=3
	v_mov_b32_e32 v62, 0
	s_mov_b32 s23, exec_lo
	v_cmpx_ne_u32_e32 0, v68
	s_cbranch_execz .LBB2_4604
; %bb.4599:                             ;   in Loop: Header=BB2_4499 Depth=3
	v_bfe_u32 v62, v68, 23, 8
	v_and_b32_e32 v72, 0x7fffff, v68
	v_sub_nc_u32_e32 v77, 0x70, v62
	v_cmp_gt_u32_e32 vcc_lo, 0x71, v62
	v_or_b32_e32 v78, 0x800000, v72
	v_cndmask_b32_e32 v77, 0, v77, vcc_lo
	v_cmp_eq_u32_e32 vcc_lo, 0, v62
	v_add_nc_u32_e32 v62, 0xffffff91, v62
	v_cndmask_b32_e64 v77, v77, 0x6f, vcc_lo
	v_cndmask_b32_e32 v72, v78, v72, vcc_lo
	v_cndmask_b32_e64 v62, v62, 0xffffff92, vcc_lo
	v_lshl_add_u32 v78, 0x200000, v77, -1
	v_lshrrev_b32_e32 v79, v77, v72
	v_lshlrev_b32_e64 v89, v77, 0x100000
	v_add_nc_u32_e32 v77, v77, v62
	v_and_b32_e32 v72, v78, v72
	v_bfe_u32 v88, v79, 21, 1
	v_cmp_eq_u32_e64 s16, v72, v89
	v_add_nc_u32_e32 v78, -1, v88
	v_cndmask_b32_e64 v72, 0, v78, s16
	v_lshrrev_b32_e32 v78, 23, v79
	s_mov_b32 s16, exec_lo
	v_add_nc_u32_e32 v72, v72, v79
	v_xor_b32_e32 v78, 1, v78
	v_and_b32_e32 v62, 0x1fffff, v72
	v_add_nc_u32_e32 v72, v62, v79
                                        ; implicit-def: $vgpr62
	v_cmpx_ne_u32_e64 v77, v78
	s_xor_b32 s16, exec_lo, s16
; %bb.4600:                             ;   in Loop: Header=BB2_4499 Depth=3
	v_cmp_lt_u32_e32 vcc_lo, 0xffffff, v72
	v_sub_nc_u32_e32 v62, v77, v78
	v_cndmask_b32_e64 v77, 0, 1, vcc_lo
	v_add_co_ci_u32_e64 v62, null, 0, v62, vcc_lo
	v_lshrrev_b32_e32 v72, v77, v72
; %bb.4601:                             ;   in Loop: Header=BB2_4499 Depth=3
	s_andn2_saveexec_b32 s16, s16
; %bb.4602:                             ;   in Loop: Header=BB2_4499 Depth=3
	v_bfe_u32 v62, v72, 23, 1
; %bb.4603:                             ;   in Loop: Header=BB2_4499 Depth=3
	s_or_b32 exec_lo, exec_lo, s16
	v_lshrrev_b32_e32 v72, 21, v72
	v_cmp_gt_i32_e32 vcc_lo, 32, v62
	v_min_i32_e32 v77, 31, v62
	v_and_b32_sdwa v68, v68, v98 dst_sel:DWORD dst_unused:UNUSED_PAD src0_sel:BYTE_3 src1_sel:DWORD
	v_cndmask_b32_e32 v72, 3, v72, vcc_lo
	v_lshlrev_b32_e32 v77, 2, v77
	v_and_b32_e32 v78, 3, v72
	v_or_b32_e32 v62, v62, v72
	v_or3_b32 v68, v77, v68, v78
	v_cmp_ne_u32_e32 vcc_lo, 0, v62
	v_cndmask_b32_e32 v62, 0, v68, vcc_lo
.LBB2_4604:                             ;   in Loop: Header=BB2_4499 Depth=3
	s_or_b32 exec_lo, exec_lo, s23
.LBB2_4605:                             ;   in Loop: Header=BB2_4499 Depth=3
	s_or_b32 exec_lo, exec_lo, s19
	flat_load_ubyte v68, v[64:65] offset:224 slc
	s_mov_b32 s16, 0
	s_mov_b32 s19, exec_lo
	s_waitcnt vmcnt(0) lgkmcnt(0)
	v_cmpx_lt_i16_e32 0x7f, v68
	s_xor_b32 s19, exec_lo, s19
	s_cbranch_execz .LBB2_4791
; %bb.4606:                             ;   in Loop: Header=BB2_4499 Depth=3
	s_mov_b32 s16, -1
	s_mov_b32 s23, exec_lo
	v_cmpx_eq_u16_e32 0x80, v68
; %bb.4607:                             ;   in Loop: Header=BB2_4499 Depth=3
	s_xor_b32 s16, exec_lo, -1
; %bb.4608:                             ;   in Loop: Header=BB2_4499 Depth=3
	s_or_b32 exec_lo, exec_lo, s23
	s_and_b32 s16, s16, exec_lo
	s_or_saveexec_b32 s19, s19
	v_mov_b32_e32 v72, 0x7f800001
	s_xor_b32 exec_lo, exec_lo, s19
	s_cbranch_execnz .LBB2_4792
.LBB2_4609:                             ;   in Loop: Header=BB2_4499 Depth=3
	s_or_b32 exec_lo, exec_lo, s19
	s_and_saveexec_b32 s19, s16
	s_cbranch_execz .LBB2_4611
.LBB2_4610:                             ;   in Loop: Header=BB2_4499 Depth=3
	v_and_b32_e32 v72, 0xffff, v68
	v_lshlrev_b32_e32 v68, 24, v68
	v_and_b32_e32 v77, 3, v72
	v_bfe_u32 v88, v72, 2, 5
	v_and_b32_e32 v68, 0x80000000, v68
	v_ffbh_u32_e32 v78, v77
	v_cmp_eq_u32_e32 vcc_lo, 0, v88
	v_min_u32_e32 v78, 32, v78
	v_subrev_nc_u32_e32 v79, 29, v78
	v_sub_nc_u32_e32 v78, 30, v78
	v_lshlrev_b32_e32 v72, v79, v72
	v_cndmask_b32_e32 v78, v88, v78, vcc_lo
	v_and_b32_e32 v72, 3, v72
	v_cndmask_b32_e32 v72, v77, v72, vcc_lo
	v_lshl_add_u32 v77, v78, 23, 0x37800000
	v_lshlrev_b32_e32 v72, 21, v72
	v_or3_b32 v72, v68, v77, v72
.LBB2_4611:                             ;   in Loop: Header=BB2_4499 Depth=3
	s_or_b32 exec_lo, exec_lo, s19
	v_mul_f32_e32 v68, v69, v72
	v_and_b32_e32 v69, 0x7f800000, v68
	v_cmp_ne_u32_e32 vcc_lo, 0x7f800000, v69
	v_mov_b32_e32 v69, 0x80
	s_and_saveexec_b32 s19, vcc_lo
	s_cbranch_execz .LBB2_4619
; %bb.4612:                             ;   in Loop: Header=BB2_4499 Depth=3
	v_mov_b32_e32 v69, 0
	s_mov_b32 s23, exec_lo
	v_cmpx_ne_u32_e32 0, v68
	s_cbranch_execz .LBB2_4618
; %bb.4613:                             ;   in Loop: Header=BB2_4499 Depth=3
	v_bfe_u32 v69, v68, 23, 8
	v_and_b32_e32 v72, 0x7fffff, v68
	v_sub_nc_u32_e32 v77, 0x70, v69
	v_cmp_gt_u32_e32 vcc_lo, 0x71, v69
	v_or_b32_e32 v78, 0x800000, v72
	v_cndmask_b32_e32 v77, 0, v77, vcc_lo
	v_cmp_eq_u32_e32 vcc_lo, 0, v69
	v_add_nc_u32_e32 v69, 0xffffff91, v69
	v_cndmask_b32_e64 v77, v77, 0x6f, vcc_lo
	v_cndmask_b32_e32 v72, v78, v72, vcc_lo
	v_cndmask_b32_e64 v69, v69, 0xffffff92, vcc_lo
	v_lshl_add_u32 v78, 0x200000, v77, -1
	v_lshrrev_b32_e32 v79, v77, v72
	v_lshlrev_b32_e64 v89, v77, 0x100000
	v_add_nc_u32_e32 v77, v77, v69
	v_and_b32_e32 v72, v78, v72
	v_bfe_u32 v88, v79, 21, 1
	v_cmp_eq_u32_e64 s16, v72, v89
	v_add_nc_u32_e32 v78, -1, v88
	v_cndmask_b32_e64 v72, 0, v78, s16
	v_lshrrev_b32_e32 v78, 23, v79
	s_mov_b32 s16, exec_lo
	v_add_nc_u32_e32 v72, v72, v79
	v_xor_b32_e32 v78, 1, v78
	v_and_b32_e32 v69, 0x1fffff, v72
	v_add_nc_u32_e32 v72, v69, v79
                                        ; implicit-def: $vgpr69
	v_cmpx_ne_u32_e64 v77, v78
	s_xor_b32 s16, exec_lo, s16
; %bb.4614:                             ;   in Loop: Header=BB2_4499 Depth=3
	v_cmp_lt_u32_e32 vcc_lo, 0xffffff, v72
	v_sub_nc_u32_e32 v69, v77, v78
	v_cndmask_b32_e64 v77, 0, 1, vcc_lo
	v_add_co_ci_u32_e64 v69, null, 0, v69, vcc_lo
	v_lshrrev_b32_e32 v72, v77, v72
; %bb.4615:                             ;   in Loop: Header=BB2_4499 Depth=3
	s_andn2_saveexec_b32 s16, s16
; %bb.4616:                             ;   in Loop: Header=BB2_4499 Depth=3
	v_bfe_u32 v69, v72, 23, 1
; %bb.4617:                             ;   in Loop: Header=BB2_4499 Depth=3
	s_or_b32 exec_lo, exec_lo, s16
	v_lshrrev_b32_e32 v72, 21, v72
	v_cmp_gt_i32_e32 vcc_lo, 32, v69
	v_min_i32_e32 v77, 31, v69
	v_and_b32_sdwa v68, v68, v98 dst_sel:DWORD dst_unused:UNUSED_PAD src0_sel:BYTE_3 src1_sel:DWORD
	v_cndmask_b32_e32 v72, 3, v72, vcc_lo
	v_lshlrev_b32_e32 v77, 2, v77
	v_and_b32_e32 v78, 3, v72
	v_or_b32_e32 v69, v69, v72
	v_or3_b32 v68, v77, v68, v78
	v_cmp_ne_u32_e32 vcc_lo, 0, v69
	v_cndmask_b32_e32 v69, 0, v68, vcc_lo
.LBB2_4618:                             ;   in Loop: Header=BB2_4499 Depth=3
	s_or_b32 exec_lo, exec_lo, s23
.LBB2_4619:                             ;   in Loop: Header=BB2_4499 Depth=3
	s_or_b32 exec_lo, exec_lo, s19
	s_clause 0x7
	flat_load_ubyte v90, v[66:67] slc
	flat_load_ubyte v89, v[66:67] offset:32 slc
	flat_load_ubyte v88, v[66:67] offset:64 slc
	;; [unrolled: 1-line block ×7, first 2 shown]
	v_cmp_gt_i16_sdwa s19, v58, v97 src0_sel:BYTE_0 src1_sel:DWORD
	s_mov_b32 s16, 0
	s_and_saveexec_b32 s23, s19
	s_xor_b32 s19, exec_lo, s23
	s_cbranch_execz .LBB2_4793
; %bb.4620:                             ;   in Loop: Header=BB2_4499 Depth=3
	v_cmp_eq_u16_sdwa s72, v58, v98 src0_sel:BYTE_0 src1_sel:DWORD
	s_mov_b32 s16, -1
	s_and_saveexec_b32 s23, s72
; %bb.4621:                             ;   in Loop: Header=BB2_4499 Depth=3
	s_xor_b32 s16, exec_lo, -1
; %bb.4622:                             ;   in Loop: Header=BB2_4499 Depth=3
	s_or_b32 exec_lo, exec_lo, s23
	s_and_b32 s16, s16, exec_lo
	s_or_saveexec_b32 s19, s19
	v_mov_b32_e32 v91, 0x7f800001
	s_xor_b32 exec_lo, exec_lo, s19
	s_cbranch_execnz .LBB2_4794
.LBB2_4623:                             ;   in Loop: Header=BB2_4499 Depth=3
	s_or_b32 exec_lo, exec_lo, s19
	s_and_saveexec_b32 s19, s16
	s_cbranch_execz .LBB2_4625
.LBB2_4624:                             ;   in Loop: Header=BB2_4499 Depth=3
	v_and_b32_e32 v91, 3, v58
	v_lshrrev_b16 v93, 2, v58
	v_ffbh_u32_e32 v92, v91
	v_and_b32_e32 v93, 31, v93
	v_min_u32_e32 v92, 32, v92
	v_cmp_eq_u32_e32 vcc_lo, 0, v93
	v_subrev_nc_u32_e32 v94, 29, v92
	v_sub_nc_u32_e32 v92, 30, v92
	v_lshlrev_b32_e32 v94, v94, v58
	v_lshlrev_b32_e32 v58, 24, v58
	v_cndmask_b32_e32 v92, v93, v92, vcc_lo
	v_and_b32_e32 v94, 3, v94
	v_and_b32_e32 v58, 0x80000000, v58
	v_lshl_add_u32 v92, v92, 23, 0x37800000
	v_cndmask_b32_e32 v91, v91, v94, vcc_lo
	v_lshlrev_b32_e32 v91, 21, v91
	v_or3_b32 v91, v58, v92, v91
.LBB2_4625:                             ;   in Loop: Header=BB2_4499 Depth=3
	s_or_b32 exec_lo, exec_lo, s19
	s_waitcnt vmcnt(7) lgkmcnt(7)
	v_cmp_gt_i16_sdwa s19, v90, v97 src0_sel:BYTE_0 src1_sel:DWORD
	s_mov_b32 s16, 0
	s_and_saveexec_b32 s23, s19
	s_xor_b32 s19, exec_lo, s23
	s_cbranch_execz .LBB2_4795
; %bb.4626:                             ;   in Loop: Header=BB2_4499 Depth=3
	v_cmp_eq_u16_sdwa s72, v90, v98 src0_sel:BYTE_0 src1_sel:DWORD
	s_mov_b32 s16, -1
	s_and_saveexec_b32 s23, s72
; %bb.4627:                             ;   in Loop: Header=BB2_4499 Depth=3
	s_xor_b32 s16, exec_lo, -1
; %bb.4628:                             ;   in Loop: Header=BB2_4499 Depth=3
	s_or_b32 exec_lo, exec_lo, s23
	s_and_b32 s16, s16, exec_lo
	s_or_saveexec_b32 s19, s19
	v_mov_b32_e32 v58, 0x7f800001
	s_xor_b32 exec_lo, exec_lo, s19
	s_cbranch_execnz .LBB2_4796
.LBB2_4629:                             ;   in Loop: Header=BB2_4499 Depth=3
	s_or_b32 exec_lo, exec_lo, s19
	s_and_saveexec_b32 s19, s16
	s_cbranch_execz .LBB2_4631
.LBB2_4630:                             ;   in Loop: Header=BB2_4499 Depth=3
	v_and_b32_e32 v58, 3, v90
	v_lshrrev_b16 v93, 2, v90
	v_ffbh_u32_e32 v92, v58
	v_and_b32_e32 v93, 31, v93
	v_min_u32_e32 v92, 32, v92
	v_cmp_eq_u32_e32 vcc_lo, 0, v93
	v_subrev_nc_u32_e32 v94, 29, v92
	v_sub_nc_u32_e32 v92, 30, v92
	v_lshlrev_b32_e32 v94, v94, v90
	v_lshlrev_b32_e32 v90, 24, v90
	v_cndmask_b32_e32 v92, v93, v92, vcc_lo
	v_and_b32_e32 v94, 3, v94
	v_and_b32_e32 v90, 0x80000000, v90
	v_lshl_add_u32 v92, v92, 23, 0x37800000
	v_cndmask_b32_e32 v58, v58, v94, vcc_lo
	v_lshlrev_b32_e32 v58, 21, v58
	v_or3_b32 v58, v90, v92, v58
.LBB2_4631:                             ;   in Loop: Header=BB2_4499 Depth=3
	s_or_b32 exec_lo, exec_lo, s19
	v_add_f32_e32 v90, v91, v58
	v_and_b32_e32 v58, 0x7f800000, v90
	v_cmp_ne_u32_e32 vcc_lo, 0x7f800000, v58
	v_mov_b32_e32 v58, 0x80
	s_and_saveexec_b32 s19, vcc_lo
	s_cbranch_execz .LBB2_4639
; %bb.4632:                             ;   in Loop: Header=BB2_4499 Depth=3
	v_mov_b32_e32 v58, 0
	s_mov_b32 s23, exec_lo
	v_cmpx_ne_u32_e32 0, v90
	s_cbranch_execz .LBB2_4638
; %bb.4633:                             ;   in Loop: Header=BB2_4499 Depth=3
	v_bfe_u32 v58, v90, 23, 8
	v_and_b32_e32 v91, 0x7fffff, v90
	v_sub_nc_u32_e32 v92, 0x70, v58
	v_cmp_gt_u32_e32 vcc_lo, 0x71, v58
	v_or_b32_e32 v93, 0x800000, v91
	v_cndmask_b32_e32 v92, 0, v92, vcc_lo
	v_cmp_eq_u32_e32 vcc_lo, 0, v58
	v_add_nc_u32_e32 v58, 0xffffff91, v58
	v_cndmask_b32_e64 v92, v92, 0x6f, vcc_lo
	v_cndmask_b32_e32 v91, v93, v91, vcc_lo
	v_cndmask_b32_e64 v58, v58, 0xffffff92, vcc_lo
	v_lshl_add_u32 v93, 0x200000, v92, -1
	v_lshrrev_b32_e32 v94, v92, v91
	v_lshlrev_b32_e64 v104, v92, 0x100000
	v_add_nc_u32_e32 v92, v92, v58
	v_and_b32_e32 v91, v93, v91
	v_bfe_u32 v95, v94, 21, 1
	v_cmp_eq_u32_e64 s16, v91, v104
	v_add_nc_u32_e32 v93, -1, v95
	v_cndmask_b32_e64 v91, 0, v93, s16
	v_lshrrev_b32_e32 v93, 23, v94
	s_mov_b32 s16, exec_lo
	v_add_nc_u32_e32 v91, v91, v94
	v_xor_b32_e32 v93, 1, v93
	v_and_b32_e32 v58, 0x1fffff, v91
	v_add_nc_u32_e32 v91, v58, v94
                                        ; implicit-def: $vgpr58
	v_cmpx_ne_u32_e64 v92, v93
	s_xor_b32 s16, exec_lo, s16
; %bb.4634:                             ;   in Loop: Header=BB2_4499 Depth=3
	v_cmp_lt_u32_e32 vcc_lo, 0xffffff, v91
	v_sub_nc_u32_e32 v58, v92, v93
	v_cndmask_b32_e64 v92, 0, 1, vcc_lo
	v_add_co_ci_u32_e64 v58, null, 0, v58, vcc_lo
	v_lshrrev_b32_e32 v91, v92, v91
; %bb.4635:                             ;   in Loop: Header=BB2_4499 Depth=3
	s_andn2_saveexec_b32 s16, s16
; %bb.4636:                             ;   in Loop: Header=BB2_4499 Depth=3
	v_bfe_u32 v58, v91, 23, 1
; %bb.4637:                             ;   in Loop: Header=BB2_4499 Depth=3
	s_or_b32 exec_lo, exec_lo, s16
	v_lshrrev_b32_e32 v91, 21, v91
	v_cmp_gt_i32_e32 vcc_lo, 32, v58
	v_min_i32_e32 v92, 31, v58
	v_and_b32_sdwa v90, v90, v98 dst_sel:DWORD dst_unused:UNUSED_PAD src0_sel:BYTE_3 src1_sel:DWORD
	v_cndmask_b32_e32 v91, 3, v91, vcc_lo
	v_lshlrev_b32_e32 v92, 2, v92
	v_and_b32_e32 v93, 3, v91
	v_or_b32_e32 v58, v58, v91
	v_or3_b32 v90, v92, v90, v93
	v_cmp_ne_u32_e32 vcc_lo, 0, v58
	v_cndmask_b32_e32 v58, 0, v90, vcc_lo
.LBB2_4638:                             ;   in Loop: Header=BB2_4499 Depth=3
	s_or_b32 exec_lo, exec_lo, s23
.LBB2_4639:                             ;   in Loop: Header=BB2_4499 Depth=3
	s_or_b32 exec_lo, exec_lo, s19
	v_cmp_gt_i16_sdwa s19, v75, v97 src0_sel:BYTE_0 src1_sel:DWORD
	s_mov_b32 s16, 0
	s_and_saveexec_b32 s23, s19
	s_xor_b32 s19, exec_lo, s23
	s_cbranch_execz .LBB2_4797
; %bb.4640:                             ;   in Loop: Header=BB2_4499 Depth=3
	v_cmp_eq_u16_sdwa s72, v75, v98 src0_sel:BYTE_0 src1_sel:DWORD
	s_mov_b32 s16, -1
	s_and_saveexec_b32 s23, s72
; %bb.4641:                             ;   in Loop: Header=BB2_4499 Depth=3
	s_xor_b32 s16, exec_lo, -1
; %bb.4642:                             ;   in Loop: Header=BB2_4499 Depth=3
	s_or_b32 exec_lo, exec_lo, s23
	s_and_b32 s16, s16, exec_lo
	s_or_saveexec_b32 s19, s19
	v_mov_b32_e32 v90, 0x7f800001
	s_xor_b32 exec_lo, exec_lo, s19
	s_cbranch_execnz .LBB2_4798
.LBB2_4643:                             ;   in Loop: Header=BB2_4499 Depth=3
	s_or_b32 exec_lo, exec_lo, s19
	s_and_saveexec_b32 s19, s16
	s_cbranch_execz .LBB2_4645
.LBB2_4644:                             ;   in Loop: Header=BB2_4499 Depth=3
	v_and_b32_e32 v90, 3, v75
	v_lshrrev_b16 v92, 2, v75
	v_ffbh_u32_e32 v91, v90
	v_and_b32_e32 v92, 31, v92
	v_min_u32_e32 v91, 32, v91
	v_cmp_eq_u32_e32 vcc_lo, 0, v92
	v_subrev_nc_u32_e32 v93, 29, v91
	v_sub_nc_u32_e32 v91, 30, v91
	v_lshlrev_b32_e32 v93, v93, v75
	v_lshlrev_b32_e32 v75, 24, v75
	v_cndmask_b32_e32 v91, v92, v91, vcc_lo
	v_and_b32_e32 v93, 3, v93
	v_and_b32_e32 v75, 0x80000000, v75
	v_lshl_add_u32 v91, v91, 23, 0x37800000
	v_cndmask_b32_e32 v90, v90, v93, vcc_lo
	v_lshlrev_b32_e32 v90, 21, v90
	v_or3_b32 v90, v75, v91, v90
.LBB2_4645:                             ;   in Loop: Header=BB2_4499 Depth=3
	s_or_b32 exec_lo, exec_lo, s19
	s_waitcnt vmcnt(6) lgkmcnt(6)
	v_cmp_gt_i16_sdwa s19, v89, v97 src0_sel:BYTE_0 src1_sel:DWORD
	s_mov_b32 s16, 0
	s_and_saveexec_b32 s23, s19
	s_xor_b32 s19, exec_lo, s23
	s_cbranch_execz .LBB2_4799
; %bb.4646:                             ;   in Loop: Header=BB2_4499 Depth=3
	v_cmp_eq_u16_sdwa s72, v89, v98 src0_sel:BYTE_0 src1_sel:DWORD
	s_mov_b32 s16, -1
	s_and_saveexec_b32 s23, s72
; %bb.4647:                             ;   in Loop: Header=BB2_4499 Depth=3
	s_xor_b32 s16, exec_lo, -1
; %bb.4648:                             ;   in Loop: Header=BB2_4499 Depth=3
	s_or_b32 exec_lo, exec_lo, s23
	s_and_b32 s16, s16, exec_lo
	s_or_saveexec_b32 s19, s19
	v_mov_b32_e32 v75, 0x7f800001
	s_xor_b32 exec_lo, exec_lo, s19
	s_cbranch_execnz .LBB2_4800
.LBB2_4649:                             ;   in Loop: Header=BB2_4499 Depth=3
	s_or_b32 exec_lo, exec_lo, s19
	s_and_saveexec_b32 s19, s16
	s_cbranch_execz .LBB2_4651
.LBB2_4650:                             ;   in Loop: Header=BB2_4499 Depth=3
	v_and_b32_e32 v75, 3, v89
	v_lshrrev_b16 v92, 2, v89
	v_ffbh_u32_e32 v91, v75
	v_and_b32_e32 v92, 31, v92
	v_min_u32_e32 v91, 32, v91
	v_cmp_eq_u32_e32 vcc_lo, 0, v92
	v_subrev_nc_u32_e32 v93, 29, v91
	v_sub_nc_u32_e32 v91, 30, v91
	v_lshlrev_b32_e32 v93, v93, v89
	v_lshlrev_b32_e32 v89, 24, v89
	v_cndmask_b32_e32 v91, v92, v91, vcc_lo
	v_and_b32_e32 v93, 3, v93
	v_and_b32_e32 v89, 0x80000000, v89
	v_lshl_add_u32 v91, v91, 23, 0x37800000
	v_cndmask_b32_e32 v75, v75, v93, vcc_lo
	v_lshlrev_b32_e32 v75, 21, v75
	v_or3_b32 v75, v89, v91, v75
.LBB2_4651:                             ;   in Loop: Header=BB2_4499 Depth=3
	s_or_b32 exec_lo, exec_lo, s19
	v_add_f32_e32 v89, v90, v75
	v_and_b32_e32 v75, 0x7f800000, v89
	v_cmp_ne_u32_e32 vcc_lo, 0x7f800000, v75
	v_mov_b32_e32 v75, 0x80
	s_and_saveexec_b32 s19, vcc_lo
	s_cbranch_execz .LBB2_4659
; %bb.4652:                             ;   in Loop: Header=BB2_4499 Depth=3
	v_mov_b32_e32 v75, 0
	s_mov_b32 s23, exec_lo
	v_cmpx_ne_u32_e32 0, v89
	s_cbranch_execz .LBB2_4658
; %bb.4653:                             ;   in Loop: Header=BB2_4499 Depth=3
	v_bfe_u32 v75, v89, 23, 8
	v_and_b32_e32 v90, 0x7fffff, v89
	v_sub_nc_u32_e32 v91, 0x70, v75
	v_cmp_gt_u32_e32 vcc_lo, 0x71, v75
	v_or_b32_e32 v92, 0x800000, v90
	v_cndmask_b32_e32 v91, 0, v91, vcc_lo
	v_cmp_eq_u32_e32 vcc_lo, 0, v75
	v_add_nc_u32_e32 v75, 0xffffff91, v75
	v_cndmask_b32_e64 v91, v91, 0x6f, vcc_lo
	v_cndmask_b32_e32 v90, v92, v90, vcc_lo
	v_cndmask_b32_e64 v75, v75, 0xffffff92, vcc_lo
	v_lshl_add_u32 v92, 0x200000, v91, -1
	v_lshrrev_b32_e32 v93, v91, v90
	v_lshlrev_b32_e64 v95, v91, 0x100000
	v_add_nc_u32_e32 v91, v91, v75
	v_and_b32_e32 v90, v92, v90
	v_bfe_u32 v94, v93, 21, 1
	v_cmp_eq_u32_e64 s16, v90, v95
	v_add_nc_u32_e32 v92, -1, v94
	v_cndmask_b32_e64 v90, 0, v92, s16
	v_lshrrev_b32_e32 v92, 23, v93
	s_mov_b32 s16, exec_lo
	v_add_nc_u32_e32 v90, v90, v93
	v_xor_b32_e32 v92, 1, v92
	v_and_b32_e32 v75, 0x1fffff, v90
	v_add_nc_u32_e32 v90, v75, v93
                                        ; implicit-def: $vgpr75
	v_cmpx_ne_u32_e64 v91, v92
	s_xor_b32 s16, exec_lo, s16
; %bb.4654:                             ;   in Loop: Header=BB2_4499 Depth=3
	v_cmp_lt_u32_e32 vcc_lo, 0xffffff, v90
	v_sub_nc_u32_e32 v75, v91, v92
	v_cndmask_b32_e64 v91, 0, 1, vcc_lo
	v_add_co_ci_u32_e64 v75, null, 0, v75, vcc_lo
	v_lshrrev_b32_e32 v90, v91, v90
; %bb.4655:                             ;   in Loop: Header=BB2_4499 Depth=3
	s_andn2_saveexec_b32 s16, s16
; %bb.4656:                             ;   in Loop: Header=BB2_4499 Depth=3
	v_bfe_u32 v75, v90, 23, 1
; %bb.4657:                             ;   in Loop: Header=BB2_4499 Depth=3
	s_or_b32 exec_lo, exec_lo, s16
	v_lshrrev_b32_e32 v90, 21, v90
	v_cmp_gt_i32_e32 vcc_lo, 32, v75
	v_min_i32_e32 v91, 31, v75
	v_and_b32_sdwa v89, v89, v98 dst_sel:DWORD dst_unused:UNUSED_PAD src0_sel:BYTE_3 src1_sel:DWORD
	v_cndmask_b32_e32 v90, 3, v90, vcc_lo
	v_lshlrev_b32_e32 v91, 2, v91
	v_and_b32_e32 v92, 3, v90
	v_or_b32_e32 v75, v75, v90
	v_or3_b32 v89, v91, v89, v92
	v_cmp_ne_u32_e32 vcc_lo, 0, v75
	v_cndmask_b32_e32 v75, 0, v89, vcc_lo
.LBB2_4658:                             ;   in Loop: Header=BB2_4499 Depth=3
	s_or_b32 exec_lo, exec_lo, s23
.LBB2_4659:                             ;   in Loop: Header=BB2_4499 Depth=3
	s_or_b32 exec_lo, exec_lo, s19
	v_cmp_gt_i16_sdwa s19, v76, v97 src0_sel:BYTE_0 src1_sel:DWORD
	s_mov_b32 s16, 0
	s_and_saveexec_b32 s23, s19
	s_xor_b32 s19, exec_lo, s23
	s_cbranch_execz .LBB2_4801
; %bb.4660:                             ;   in Loop: Header=BB2_4499 Depth=3
	v_cmp_eq_u16_sdwa s72, v76, v98 src0_sel:BYTE_0 src1_sel:DWORD
	s_mov_b32 s16, -1
	s_and_saveexec_b32 s23, s72
; %bb.4661:                             ;   in Loop: Header=BB2_4499 Depth=3
	s_xor_b32 s16, exec_lo, -1
; %bb.4662:                             ;   in Loop: Header=BB2_4499 Depth=3
	s_or_b32 exec_lo, exec_lo, s23
	s_and_b32 s16, s16, exec_lo
	s_or_saveexec_b32 s19, s19
	v_mov_b32_e32 v89, 0x7f800001
	s_xor_b32 exec_lo, exec_lo, s19
	s_cbranch_execnz .LBB2_4802
.LBB2_4663:                             ;   in Loop: Header=BB2_4499 Depth=3
	s_or_b32 exec_lo, exec_lo, s19
	s_and_saveexec_b32 s19, s16
	s_cbranch_execz .LBB2_4665
.LBB2_4664:                             ;   in Loop: Header=BB2_4499 Depth=3
	v_and_b32_e32 v89, 3, v76
	v_lshrrev_b16 v91, 2, v76
	v_ffbh_u32_e32 v90, v89
	v_and_b32_e32 v91, 31, v91
	v_min_u32_e32 v90, 32, v90
	v_cmp_eq_u32_e32 vcc_lo, 0, v91
	v_subrev_nc_u32_e32 v92, 29, v90
	v_sub_nc_u32_e32 v90, 30, v90
	v_lshlrev_b32_e32 v92, v92, v76
	v_lshlrev_b32_e32 v76, 24, v76
	v_cndmask_b32_e32 v90, v91, v90, vcc_lo
	v_and_b32_e32 v92, 3, v92
	v_and_b32_e32 v76, 0x80000000, v76
	v_lshl_add_u32 v90, v90, 23, 0x37800000
	v_cndmask_b32_e32 v89, v89, v92, vcc_lo
	v_lshlrev_b32_e32 v89, 21, v89
	v_or3_b32 v89, v76, v90, v89
.LBB2_4665:                             ;   in Loop: Header=BB2_4499 Depth=3
	s_or_b32 exec_lo, exec_lo, s19
	s_waitcnt vmcnt(5) lgkmcnt(5)
	v_cmp_gt_i16_sdwa s19, v88, v97 src0_sel:BYTE_0 src1_sel:DWORD
	s_mov_b32 s16, 0
	s_and_saveexec_b32 s23, s19
	s_xor_b32 s19, exec_lo, s23
	s_cbranch_execz .LBB2_4803
; %bb.4666:                             ;   in Loop: Header=BB2_4499 Depth=3
	v_cmp_eq_u16_sdwa s72, v88, v98 src0_sel:BYTE_0 src1_sel:DWORD
	s_mov_b32 s16, -1
	s_and_saveexec_b32 s23, s72
; %bb.4667:                             ;   in Loop: Header=BB2_4499 Depth=3
	s_xor_b32 s16, exec_lo, -1
; %bb.4668:                             ;   in Loop: Header=BB2_4499 Depth=3
	s_or_b32 exec_lo, exec_lo, s23
	s_and_b32 s16, s16, exec_lo
	s_or_saveexec_b32 s19, s19
	v_mov_b32_e32 v76, 0x7f800001
	s_xor_b32 exec_lo, exec_lo, s19
	s_cbranch_execnz .LBB2_4804
.LBB2_4669:                             ;   in Loop: Header=BB2_4499 Depth=3
	s_or_b32 exec_lo, exec_lo, s19
	s_and_saveexec_b32 s19, s16
	s_cbranch_execz .LBB2_4671
.LBB2_4670:                             ;   in Loop: Header=BB2_4499 Depth=3
	v_and_b32_e32 v76, 3, v88
	v_lshrrev_b16 v91, 2, v88
	v_ffbh_u32_e32 v90, v76
	v_and_b32_e32 v91, 31, v91
	v_min_u32_e32 v90, 32, v90
	v_cmp_eq_u32_e32 vcc_lo, 0, v91
	v_subrev_nc_u32_e32 v92, 29, v90
	v_sub_nc_u32_e32 v90, 30, v90
	v_lshlrev_b32_e32 v92, v92, v88
	v_lshlrev_b32_e32 v88, 24, v88
	v_cndmask_b32_e32 v90, v91, v90, vcc_lo
	v_and_b32_e32 v92, 3, v92
	v_and_b32_e32 v88, 0x80000000, v88
	v_lshl_add_u32 v90, v90, 23, 0x37800000
	v_cndmask_b32_e32 v76, v76, v92, vcc_lo
	v_lshlrev_b32_e32 v76, 21, v76
	v_or3_b32 v76, v88, v90, v76
.LBB2_4671:                             ;   in Loop: Header=BB2_4499 Depth=3
	s_or_b32 exec_lo, exec_lo, s19
	v_add_f32_e32 v88, v89, v76
	v_and_b32_e32 v76, 0x7f800000, v88
	v_cmp_ne_u32_e32 vcc_lo, 0x7f800000, v76
	v_mov_b32_e32 v76, 0x80
	s_and_saveexec_b32 s19, vcc_lo
	s_cbranch_execz .LBB2_4679
; %bb.4672:                             ;   in Loop: Header=BB2_4499 Depth=3
	v_mov_b32_e32 v76, 0
	s_mov_b32 s23, exec_lo
	v_cmpx_ne_u32_e32 0, v88
	s_cbranch_execz .LBB2_4678
; %bb.4673:                             ;   in Loop: Header=BB2_4499 Depth=3
	v_bfe_u32 v76, v88, 23, 8
	v_and_b32_e32 v89, 0x7fffff, v88
	v_sub_nc_u32_e32 v90, 0x70, v76
	v_cmp_gt_u32_e32 vcc_lo, 0x71, v76
	v_or_b32_e32 v91, 0x800000, v89
	v_cndmask_b32_e32 v90, 0, v90, vcc_lo
	v_cmp_eq_u32_e32 vcc_lo, 0, v76
	v_add_nc_u32_e32 v76, 0xffffff91, v76
	v_cndmask_b32_e64 v90, v90, 0x6f, vcc_lo
	v_cndmask_b32_e32 v89, v91, v89, vcc_lo
	v_cndmask_b32_e64 v76, v76, 0xffffff92, vcc_lo
	v_lshl_add_u32 v91, 0x200000, v90, -1
	v_lshrrev_b32_e32 v92, v90, v89
	v_lshlrev_b32_e64 v94, v90, 0x100000
	v_add_nc_u32_e32 v90, v90, v76
	v_and_b32_e32 v89, v91, v89
	v_bfe_u32 v93, v92, 21, 1
	v_cmp_eq_u32_e64 s16, v89, v94
	v_add_nc_u32_e32 v91, -1, v93
	v_cndmask_b32_e64 v89, 0, v91, s16
	v_lshrrev_b32_e32 v91, 23, v92
	s_mov_b32 s16, exec_lo
	v_add_nc_u32_e32 v89, v89, v92
	v_xor_b32_e32 v91, 1, v91
	v_and_b32_e32 v76, 0x1fffff, v89
	v_add_nc_u32_e32 v89, v76, v92
                                        ; implicit-def: $vgpr76
	v_cmpx_ne_u32_e64 v90, v91
	s_xor_b32 s16, exec_lo, s16
; %bb.4674:                             ;   in Loop: Header=BB2_4499 Depth=3
	v_cmp_lt_u32_e32 vcc_lo, 0xffffff, v89
	v_sub_nc_u32_e32 v76, v90, v91
	v_cndmask_b32_e64 v90, 0, 1, vcc_lo
	v_add_co_ci_u32_e64 v76, null, 0, v76, vcc_lo
	v_lshrrev_b32_e32 v89, v90, v89
; %bb.4675:                             ;   in Loop: Header=BB2_4499 Depth=3
	s_andn2_saveexec_b32 s16, s16
; %bb.4676:                             ;   in Loop: Header=BB2_4499 Depth=3
	v_bfe_u32 v76, v89, 23, 1
; %bb.4677:                             ;   in Loop: Header=BB2_4499 Depth=3
	s_or_b32 exec_lo, exec_lo, s16
	v_lshrrev_b32_e32 v89, 21, v89
	v_cmp_gt_i32_e32 vcc_lo, 32, v76
	v_min_i32_e32 v90, 31, v76
	v_and_b32_sdwa v88, v88, v98 dst_sel:DWORD dst_unused:UNUSED_PAD src0_sel:BYTE_3 src1_sel:DWORD
	v_cndmask_b32_e32 v89, 3, v89, vcc_lo
	v_lshlrev_b32_e32 v90, 2, v90
	v_and_b32_e32 v91, 3, v89
	v_or_b32_e32 v76, v76, v89
	v_or3_b32 v88, v90, v88, v91
	v_cmp_ne_u32_e32 vcc_lo, 0, v76
	v_cndmask_b32_e32 v76, 0, v88, vcc_lo
.LBB2_4678:                             ;   in Loop: Header=BB2_4499 Depth=3
	s_or_b32 exec_lo, exec_lo, s23
.LBB2_4679:                             ;   in Loop: Header=BB2_4499 Depth=3
	s_or_b32 exec_lo, exec_lo, s19
	v_cmp_gt_i16_sdwa s19, v74, v97 src0_sel:BYTE_0 src1_sel:DWORD
	s_mov_b32 s16, 0
	s_and_saveexec_b32 s23, s19
	s_xor_b32 s19, exec_lo, s23
	s_cbranch_execz .LBB2_4805
; %bb.4680:                             ;   in Loop: Header=BB2_4499 Depth=3
	v_cmp_eq_u16_sdwa s72, v74, v98 src0_sel:BYTE_0 src1_sel:DWORD
	s_mov_b32 s16, -1
	s_and_saveexec_b32 s23, s72
; %bb.4681:                             ;   in Loop: Header=BB2_4499 Depth=3
	s_xor_b32 s16, exec_lo, -1
; %bb.4682:                             ;   in Loop: Header=BB2_4499 Depth=3
	s_or_b32 exec_lo, exec_lo, s23
	s_and_b32 s16, s16, exec_lo
	s_or_saveexec_b32 s19, s19
	v_mov_b32_e32 v88, 0x7f800001
	s_xor_b32 exec_lo, exec_lo, s19
	s_cbranch_execnz .LBB2_4806
.LBB2_4683:                             ;   in Loop: Header=BB2_4499 Depth=3
	s_or_b32 exec_lo, exec_lo, s19
	s_and_saveexec_b32 s19, s16
	s_cbranch_execz .LBB2_4685
.LBB2_4684:                             ;   in Loop: Header=BB2_4499 Depth=3
	v_and_b32_e32 v88, 3, v74
	v_lshrrev_b16 v90, 2, v74
	v_ffbh_u32_e32 v89, v88
	v_and_b32_e32 v90, 31, v90
	v_min_u32_e32 v89, 32, v89
	v_cmp_eq_u32_e32 vcc_lo, 0, v90
	v_subrev_nc_u32_e32 v91, 29, v89
	v_sub_nc_u32_e32 v89, 30, v89
	v_lshlrev_b32_e32 v91, v91, v74
	v_lshlrev_b32_e32 v74, 24, v74
	v_cndmask_b32_e32 v89, v90, v89, vcc_lo
	v_and_b32_e32 v91, 3, v91
	v_and_b32_e32 v74, 0x80000000, v74
	v_lshl_add_u32 v89, v89, 23, 0x37800000
	v_cndmask_b32_e32 v88, v88, v91, vcc_lo
	v_lshlrev_b32_e32 v88, 21, v88
	v_or3_b32 v88, v74, v89, v88
.LBB2_4685:                             ;   in Loop: Header=BB2_4499 Depth=3
	s_or_b32 exec_lo, exec_lo, s19
	s_waitcnt vmcnt(4) lgkmcnt(4)
	v_cmp_gt_i16_sdwa s19, v79, v97 src0_sel:BYTE_0 src1_sel:DWORD
	s_mov_b32 s16, 0
	s_and_saveexec_b32 s23, s19
	s_xor_b32 s19, exec_lo, s23
	s_cbranch_execz .LBB2_4807
; %bb.4686:                             ;   in Loop: Header=BB2_4499 Depth=3
	v_cmp_eq_u16_sdwa s72, v79, v98 src0_sel:BYTE_0 src1_sel:DWORD
	s_mov_b32 s16, -1
	s_and_saveexec_b32 s23, s72
; %bb.4687:                             ;   in Loop: Header=BB2_4499 Depth=3
	s_xor_b32 s16, exec_lo, -1
; %bb.4688:                             ;   in Loop: Header=BB2_4499 Depth=3
	s_or_b32 exec_lo, exec_lo, s23
	s_and_b32 s16, s16, exec_lo
	s_or_saveexec_b32 s19, s19
	v_mov_b32_e32 v74, 0x7f800001
	s_xor_b32 exec_lo, exec_lo, s19
	s_cbranch_execnz .LBB2_4808
.LBB2_4689:                             ;   in Loop: Header=BB2_4499 Depth=3
	s_or_b32 exec_lo, exec_lo, s19
	s_and_saveexec_b32 s19, s16
	s_cbranch_execz .LBB2_4691
.LBB2_4690:                             ;   in Loop: Header=BB2_4499 Depth=3
	v_and_b32_e32 v74, 3, v79
	v_lshrrev_b16 v90, 2, v79
	v_ffbh_u32_e32 v89, v74
	v_and_b32_e32 v90, 31, v90
	v_min_u32_e32 v89, 32, v89
	v_cmp_eq_u32_e32 vcc_lo, 0, v90
	v_subrev_nc_u32_e32 v91, 29, v89
	v_sub_nc_u32_e32 v89, 30, v89
	v_lshlrev_b32_e32 v91, v91, v79
	v_lshlrev_b32_e32 v79, 24, v79
	v_cndmask_b32_e32 v89, v90, v89, vcc_lo
	v_and_b32_e32 v91, 3, v91
	v_and_b32_e32 v79, 0x80000000, v79
	v_lshl_add_u32 v89, v89, 23, 0x37800000
	v_cndmask_b32_e32 v74, v74, v91, vcc_lo
	v_lshlrev_b32_e32 v74, 21, v74
	v_or3_b32 v74, v79, v89, v74
.LBB2_4691:                             ;   in Loop: Header=BB2_4499 Depth=3
	s_or_b32 exec_lo, exec_lo, s19
	v_add_f32_e32 v79, v88, v74
	v_and_b32_e32 v74, 0x7f800000, v79
	v_cmp_ne_u32_e32 vcc_lo, 0x7f800000, v74
	v_mov_b32_e32 v74, 0x80
	s_and_saveexec_b32 s19, vcc_lo
	s_cbranch_execz .LBB2_4699
; %bb.4692:                             ;   in Loop: Header=BB2_4499 Depth=3
	v_mov_b32_e32 v74, 0
	s_mov_b32 s23, exec_lo
	v_cmpx_ne_u32_e32 0, v79
	s_cbranch_execz .LBB2_4698
; %bb.4693:                             ;   in Loop: Header=BB2_4499 Depth=3
	v_bfe_u32 v74, v79, 23, 8
	v_and_b32_e32 v88, 0x7fffff, v79
	v_sub_nc_u32_e32 v89, 0x70, v74
	v_cmp_gt_u32_e32 vcc_lo, 0x71, v74
	v_or_b32_e32 v90, 0x800000, v88
	v_cndmask_b32_e32 v89, 0, v89, vcc_lo
	v_cmp_eq_u32_e32 vcc_lo, 0, v74
	v_add_nc_u32_e32 v74, 0xffffff91, v74
	v_cndmask_b32_e64 v89, v89, 0x6f, vcc_lo
	v_cndmask_b32_e32 v88, v90, v88, vcc_lo
	v_cndmask_b32_e64 v74, v74, 0xffffff92, vcc_lo
	v_lshl_add_u32 v90, 0x200000, v89, -1
	v_lshrrev_b32_e32 v91, v89, v88
	v_lshlrev_b32_e64 v93, v89, 0x100000
	v_add_nc_u32_e32 v89, v89, v74
	v_and_b32_e32 v88, v90, v88
	v_bfe_u32 v92, v91, 21, 1
	v_cmp_eq_u32_e64 s16, v88, v93
	v_add_nc_u32_e32 v90, -1, v92
	v_cndmask_b32_e64 v88, 0, v90, s16
	v_lshrrev_b32_e32 v90, 23, v91
	s_mov_b32 s16, exec_lo
	v_add_nc_u32_e32 v88, v88, v91
	v_xor_b32_e32 v90, 1, v90
	v_and_b32_e32 v74, 0x1fffff, v88
	v_add_nc_u32_e32 v88, v74, v91
                                        ; implicit-def: $vgpr74
	v_cmpx_ne_u32_e64 v89, v90
	s_xor_b32 s16, exec_lo, s16
; %bb.4694:                             ;   in Loop: Header=BB2_4499 Depth=3
	v_cmp_lt_u32_e32 vcc_lo, 0xffffff, v88
	v_sub_nc_u32_e32 v74, v89, v90
	v_cndmask_b32_e64 v89, 0, 1, vcc_lo
	v_add_co_ci_u32_e64 v74, null, 0, v74, vcc_lo
	v_lshrrev_b32_e32 v88, v89, v88
; %bb.4695:                             ;   in Loop: Header=BB2_4499 Depth=3
	s_andn2_saveexec_b32 s16, s16
; %bb.4696:                             ;   in Loop: Header=BB2_4499 Depth=3
	v_bfe_u32 v74, v88, 23, 1
; %bb.4697:                             ;   in Loop: Header=BB2_4499 Depth=3
	s_or_b32 exec_lo, exec_lo, s16
	v_lshrrev_b32_e32 v88, 21, v88
	v_cmp_gt_i32_e32 vcc_lo, 32, v74
	v_min_i32_e32 v89, 31, v74
	v_and_b32_sdwa v79, v79, v98 dst_sel:DWORD dst_unused:UNUSED_PAD src0_sel:BYTE_3 src1_sel:DWORD
	v_cndmask_b32_e32 v88, 3, v88, vcc_lo
	v_lshlrev_b32_e32 v89, 2, v89
	v_and_b32_e32 v90, 3, v88
	v_or_b32_e32 v74, v74, v88
	v_or3_b32 v79, v89, v79, v90
	v_cmp_ne_u32_e32 vcc_lo, 0, v74
	v_cndmask_b32_e32 v74, 0, v79, vcc_lo
.LBB2_4698:                             ;   in Loop: Header=BB2_4499 Depth=3
	s_or_b32 exec_lo, exec_lo, s23
.LBB2_4699:                             ;   in Loop: Header=BB2_4499 Depth=3
	s_or_b32 exec_lo, exec_lo, s19
	v_cmp_gt_i16_sdwa s19, v73, v97 src0_sel:BYTE_0 src1_sel:DWORD
	s_mov_b32 s16, 0
	s_and_saveexec_b32 s23, s19
	s_xor_b32 s19, exec_lo, s23
	s_cbranch_execz .LBB2_4809
; %bb.4700:                             ;   in Loop: Header=BB2_4499 Depth=3
	v_cmp_eq_u16_sdwa s72, v73, v98 src0_sel:BYTE_0 src1_sel:DWORD
	s_mov_b32 s16, -1
	s_and_saveexec_b32 s23, s72
; %bb.4701:                             ;   in Loop: Header=BB2_4499 Depth=3
	s_xor_b32 s16, exec_lo, -1
; %bb.4702:                             ;   in Loop: Header=BB2_4499 Depth=3
	s_or_b32 exec_lo, exec_lo, s23
	s_and_b32 s16, s16, exec_lo
	s_or_saveexec_b32 s19, s19
	v_mov_b32_e32 v79, 0x7f800001
	s_xor_b32 exec_lo, exec_lo, s19
	s_cbranch_execnz .LBB2_4810
.LBB2_4703:                             ;   in Loop: Header=BB2_4499 Depth=3
	s_or_b32 exec_lo, exec_lo, s19
	s_and_saveexec_b32 s19, s16
	s_cbranch_execz .LBB2_4705
.LBB2_4704:                             ;   in Loop: Header=BB2_4499 Depth=3
	v_and_b32_e32 v79, 3, v73
	v_lshrrev_b16 v89, 2, v73
	v_ffbh_u32_e32 v88, v79
	v_and_b32_e32 v89, 31, v89
	v_min_u32_e32 v88, 32, v88
	v_cmp_eq_u32_e32 vcc_lo, 0, v89
	v_subrev_nc_u32_e32 v90, 29, v88
	v_sub_nc_u32_e32 v88, 30, v88
	v_lshlrev_b32_e32 v90, v90, v73
	v_lshlrev_b32_e32 v73, 24, v73
	v_cndmask_b32_e32 v88, v89, v88, vcc_lo
	v_and_b32_e32 v90, 3, v90
	v_and_b32_e32 v73, 0x80000000, v73
	v_lshl_add_u32 v88, v88, 23, 0x37800000
	v_cndmask_b32_e32 v79, v79, v90, vcc_lo
	v_lshlrev_b32_e32 v79, 21, v79
	v_or3_b32 v79, v73, v88, v79
.LBB2_4705:                             ;   in Loop: Header=BB2_4499 Depth=3
	s_or_b32 exec_lo, exec_lo, s19
	s_waitcnt vmcnt(3) lgkmcnt(3)
	v_cmp_gt_i16_sdwa s19, v78, v97 src0_sel:BYTE_0 src1_sel:DWORD
	s_mov_b32 s16, 0
	s_and_saveexec_b32 s23, s19
	s_xor_b32 s19, exec_lo, s23
	s_cbranch_execz .LBB2_4811
; %bb.4706:                             ;   in Loop: Header=BB2_4499 Depth=3
	v_cmp_eq_u16_sdwa s72, v78, v98 src0_sel:BYTE_0 src1_sel:DWORD
	s_mov_b32 s16, -1
	s_and_saveexec_b32 s23, s72
; %bb.4707:                             ;   in Loop: Header=BB2_4499 Depth=3
	s_xor_b32 s16, exec_lo, -1
; %bb.4708:                             ;   in Loop: Header=BB2_4499 Depth=3
	s_or_b32 exec_lo, exec_lo, s23
	s_and_b32 s16, s16, exec_lo
	s_or_saveexec_b32 s19, s19
	v_mov_b32_e32 v73, 0x7f800001
	s_xor_b32 exec_lo, exec_lo, s19
	s_cbranch_execnz .LBB2_4812
.LBB2_4709:                             ;   in Loop: Header=BB2_4499 Depth=3
	s_or_b32 exec_lo, exec_lo, s19
	s_and_saveexec_b32 s19, s16
	s_cbranch_execz .LBB2_4711
.LBB2_4710:                             ;   in Loop: Header=BB2_4499 Depth=3
	v_and_b32_e32 v73, 3, v78
	v_lshrrev_b16 v89, 2, v78
	v_ffbh_u32_e32 v88, v73
	v_and_b32_e32 v89, 31, v89
	v_min_u32_e32 v88, 32, v88
	v_cmp_eq_u32_e32 vcc_lo, 0, v89
	v_subrev_nc_u32_e32 v90, 29, v88
	v_sub_nc_u32_e32 v88, 30, v88
	v_lshlrev_b32_e32 v90, v90, v78
	v_lshlrev_b32_e32 v78, 24, v78
	v_cndmask_b32_e32 v88, v89, v88, vcc_lo
	v_and_b32_e32 v90, 3, v90
	v_and_b32_e32 v78, 0x80000000, v78
	v_lshl_add_u32 v88, v88, 23, 0x37800000
	v_cndmask_b32_e32 v73, v73, v90, vcc_lo
	v_lshlrev_b32_e32 v73, 21, v73
	v_or3_b32 v73, v78, v88, v73
.LBB2_4711:                             ;   in Loop: Header=BB2_4499 Depth=3
	s_or_b32 exec_lo, exec_lo, s19
	v_add_f32_e32 v78, v79, v73
	v_and_b32_e32 v73, 0x7f800000, v78
	v_cmp_ne_u32_e32 vcc_lo, 0x7f800000, v73
	v_mov_b32_e32 v73, 0x80
	s_and_saveexec_b32 s19, vcc_lo
	s_cbranch_execz .LBB2_4719
; %bb.4712:                             ;   in Loop: Header=BB2_4499 Depth=3
	v_mov_b32_e32 v73, 0
	s_mov_b32 s23, exec_lo
	v_cmpx_ne_u32_e32 0, v78
	s_cbranch_execz .LBB2_4718
; %bb.4713:                             ;   in Loop: Header=BB2_4499 Depth=3
	v_bfe_u32 v73, v78, 23, 8
	v_and_b32_e32 v79, 0x7fffff, v78
	v_sub_nc_u32_e32 v88, 0x70, v73
	v_cmp_gt_u32_e32 vcc_lo, 0x71, v73
	v_or_b32_e32 v89, 0x800000, v79
	v_cndmask_b32_e32 v88, 0, v88, vcc_lo
	v_cmp_eq_u32_e32 vcc_lo, 0, v73
	v_add_nc_u32_e32 v73, 0xffffff91, v73
	v_cndmask_b32_e64 v88, v88, 0x6f, vcc_lo
	v_cndmask_b32_e32 v79, v89, v79, vcc_lo
	v_cndmask_b32_e64 v73, v73, 0xffffff92, vcc_lo
	v_lshl_add_u32 v89, 0x200000, v88, -1
	v_lshrrev_b32_e32 v90, v88, v79
	v_lshlrev_b32_e64 v92, v88, 0x100000
	v_add_nc_u32_e32 v88, v88, v73
	v_and_b32_e32 v79, v89, v79
	v_bfe_u32 v91, v90, 21, 1
	v_cmp_eq_u32_e64 s16, v79, v92
	v_add_nc_u32_e32 v89, -1, v91
	v_cndmask_b32_e64 v79, 0, v89, s16
	v_lshrrev_b32_e32 v89, 23, v90
	s_mov_b32 s16, exec_lo
	v_add_nc_u32_e32 v79, v79, v90
	v_xor_b32_e32 v89, 1, v89
	v_and_b32_e32 v73, 0x1fffff, v79
	v_add_nc_u32_e32 v79, v73, v90
                                        ; implicit-def: $vgpr73
	v_cmpx_ne_u32_e64 v88, v89
	s_xor_b32 s16, exec_lo, s16
; %bb.4714:                             ;   in Loop: Header=BB2_4499 Depth=3
	v_cmp_lt_u32_e32 vcc_lo, 0xffffff, v79
	v_sub_nc_u32_e32 v73, v88, v89
	v_cndmask_b32_e64 v88, 0, 1, vcc_lo
	v_add_co_ci_u32_e64 v73, null, 0, v73, vcc_lo
	v_lshrrev_b32_e32 v79, v88, v79
; %bb.4715:                             ;   in Loop: Header=BB2_4499 Depth=3
	s_andn2_saveexec_b32 s16, s16
; %bb.4716:                             ;   in Loop: Header=BB2_4499 Depth=3
	v_bfe_u32 v73, v79, 23, 1
; %bb.4717:                             ;   in Loop: Header=BB2_4499 Depth=3
	s_or_b32 exec_lo, exec_lo, s16
	v_lshrrev_b32_e32 v79, 21, v79
	v_cmp_gt_i32_e32 vcc_lo, 32, v73
	v_min_i32_e32 v88, 31, v73
	v_and_b32_sdwa v78, v78, v98 dst_sel:DWORD dst_unused:UNUSED_PAD src0_sel:BYTE_3 src1_sel:DWORD
	v_cndmask_b32_e32 v79, 3, v79, vcc_lo
	v_lshlrev_b32_e32 v88, 2, v88
	v_and_b32_e32 v89, 3, v79
	v_or_b32_e32 v73, v73, v79
	v_or3_b32 v78, v88, v78, v89
	v_cmp_ne_u32_e32 vcc_lo, 0, v73
	v_cndmask_b32_e32 v73, 0, v78, vcc_lo
.LBB2_4718:                             ;   in Loop: Header=BB2_4499 Depth=3
	s_or_b32 exec_lo, exec_lo, s23
.LBB2_4719:                             ;   in Loop: Header=BB2_4499 Depth=3
	s_or_b32 exec_lo, exec_lo, s19
	v_cmp_gt_i16_sdwa s19, v63, v97 src0_sel:BYTE_0 src1_sel:DWORD
	s_mov_b32 s16, 0
	s_and_saveexec_b32 s23, s19
	s_xor_b32 s19, exec_lo, s23
	s_cbranch_execz .LBB2_4813
; %bb.4720:                             ;   in Loop: Header=BB2_4499 Depth=3
	v_cmp_eq_u16_sdwa s72, v63, v98 src0_sel:BYTE_0 src1_sel:DWORD
	s_mov_b32 s16, -1
	s_and_saveexec_b32 s23, s72
; %bb.4721:                             ;   in Loop: Header=BB2_4499 Depth=3
	s_xor_b32 s16, exec_lo, -1
; %bb.4722:                             ;   in Loop: Header=BB2_4499 Depth=3
	s_or_b32 exec_lo, exec_lo, s23
	s_and_b32 s16, s16, exec_lo
	s_or_saveexec_b32 s19, s19
	v_mov_b32_e32 v78, 0x7f800001
	s_xor_b32 exec_lo, exec_lo, s19
	s_cbranch_execnz .LBB2_4814
.LBB2_4723:                             ;   in Loop: Header=BB2_4499 Depth=3
	s_or_b32 exec_lo, exec_lo, s19
	s_and_saveexec_b32 s19, s16
	s_cbranch_execz .LBB2_4725
.LBB2_4724:                             ;   in Loop: Header=BB2_4499 Depth=3
	v_and_b32_e32 v78, 3, v63
	v_lshrrev_b16 v88, 2, v63
	v_ffbh_u32_e32 v79, v78
	v_and_b32_e32 v88, 31, v88
	v_min_u32_e32 v79, 32, v79
	v_cmp_eq_u32_e32 vcc_lo, 0, v88
	v_subrev_nc_u32_e32 v89, 29, v79
	v_sub_nc_u32_e32 v79, 30, v79
	v_lshlrev_b32_e32 v89, v89, v63
	v_lshlrev_b32_e32 v63, 24, v63
	v_cndmask_b32_e32 v79, v88, v79, vcc_lo
	v_and_b32_e32 v89, 3, v89
	v_and_b32_e32 v63, 0x80000000, v63
	v_lshl_add_u32 v79, v79, 23, 0x37800000
	v_cndmask_b32_e32 v78, v78, v89, vcc_lo
	v_lshlrev_b32_e32 v78, 21, v78
	v_or3_b32 v78, v63, v79, v78
.LBB2_4725:                             ;   in Loop: Header=BB2_4499 Depth=3
	s_or_b32 exec_lo, exec_lo, s19
	s_waitcnt vmcnt(2) lgkmcnt(2)
	v_cmp_gt_i16_sdwa s19, v77, v97 src0_sel:BYTE_0 src1_sel:DWORD
	s_mov_b32 s16, 0
	s_and_saveexec_b32 s23, s19
	s_xor_b32 s19, exec_lo, s23
	s_cbranch_execz .LBB2_4815
; %bb.4726:                             ;   in Loop: Header=BB2_4499 Depth=3
	v_cmp_eq_u16_sdwa s72, v77, v98 src0_sel:BYTE_0 src1_sel:DWORD
	s_mov_b32 s16, -1
	s_and_saveexec_b32 s23, s72
; %bb.4727:                             ;   in Loop: Header=BB2_4499 Depth=3
	s_xor_b32 s16, exec_lo, -1
; %bb.4728:                             ;   in Loop: Header=BB2_4499 Depth=3
	s_or_b32 exec_lo, exec_lo, s23
	s_and_b32 s16, s16, exec_lo
	s_or_saveexec_b32 s19, s19
	v_mov_b32_e32 v63, 0x7f800001
	s_xor_b32 exec_lo, exec_lo, s19
	s_cbranch_execnz .LBB2_4816
.LBB2_4729:                             ;   in Loop: Header=BB2_4499 Depth=3
	s_or_b32 exec_lo, exec_lo, s19
	s_and_saveexec_b32 s19, s16
	s_cbranch_execz .LBB2_4731
.LBB2_4730:                             ;   in Loop: Header=BB2_4499 Depth=3
	v_and_b32_e32 v63, 3, v77
	v_lshrrev_b16 v88, 2, v77
	v_ffbh_u32_e32 v79, v63
	v_and_b32_e32 v88, 31, v88
	v_min_u32_e32 v79, 32, v79
	v_cmp_eq_u32_e32 vcc_lo, 0, v88
	v_subrev_nc_u32_e32 v89, 29, v79
	v_sub_nc_u32_e32 v79, 30, v79
	v_lshlrev_b32_e32 v89, v89, v77
	v_lshlrev_b32_e32 v77, 24, v77
	v_cndmask_b32_e32 v79, v88, v79, vcc_lo
	v_and_b32_e32 v89, 3, v89
	v_and_b32_e32 v77, 0x80000000, v77
	v_lshl_add_u32 v79, v79, 23, 0x37800000
	v_cndmask_b32_e32 v63, v63, v89, vcc_lo
	v_lshlrev_b32_e32 v63, 21, v63
	v_or3_b32 v63, v77, v79, v63
.LBB2_4731:                             ;   in Loop: Header=BB2_4499 Depth=3
	s_or_b32 exec_lo, exec_lo, s19
	v_add_f32_e32 v77, v78, v63
	v_and_b32_e32 v63, 0x7f800000, v77
	v_cmp_ne_u32_e32 vcc_lo, 0x7f800000, v63
	v_mov_b32_e32 v63, 0x80
	s_and_saveexec_b32 s19, vcc_lo
	s_cbranch_execz .LBB2_4739
; %bb.4732:                             ;   in Loop: Header=BB2_4499 Depth=3
	v_mov_b32_e32 v63, 0
	s_mov_b32 s23, exec_lo
	v_cmpx_ne_u32_e32 0, v77
	s_cbranch_execz .LBB2_4738
; %bb.4733:                             ;   in Loop: Header=BB2_4499 Depth=3
	v_bfe_u32 v63, v77, 23, 8
	v_and_b32_e32 v78, 0x7fffff, v77
	v_sub_nc_u32_e32 v79, 0x70, v63
	v_cmp_gt_u32_e32 vcc_lo, 0x71, v63
	v_or_b32_e32 v88, 0x800000, v78
	v_cndmask_b32_e32 v79, 0, v79, vcc_lo
	v_cmp_eq_u32_e32 vcc_lo, 0, v63
	v_add_nc_u32_e32 v63, 0xffffff91, v63
	v_cndmask_b32_e64 v79, v79, 0x6f, vcc_lo
	v_cndmask_b32_e32 v78, v88, v78, vcc_lo
	v_cndmask_b32_e64 v63, v63, 0xffffff92, vcc_lo
	v_lshl_add_u32 v88, 0x200000, v79, -1
	v_lshrrev_b32_e32 v89, v79, v78
	v_lshlrev_b32_e64 v91, v79, 0x100000
	v_add_nc_u32_e32 v79, v79, v63
	v_and_b32_e32 v78, v88, v78
	v_bfe_u32 v90, v89, 21, 1
	v_cmp_eq_u32_e64 s16, v78, v91
	v_add_nc_u32_e32 v88, -1, v90
	v_cndmask_b32_e64 v78, 0, v88, s16
	v_lshrrev_b32_e32 v88, 23, v89
	s_mov_b32 s16, exec_lo
	v_add_nc_u32_e32 v78, v78, v89
	v_xor_b32_e32 v88, 1, v88
	v_and_b32_e32 v63, 0x1fffff, v78
	v_add_nc_u32_e32 v78, v63, v89
                                        ; implicit-def: $vgpr63
	v_cmpx_ne_u32_e64 v79, v88
	s_xor_b32 s16, exec_lo, s16
; %bb.4734:                             ;   in Loop: Header=BB2_4499 Depth=3
	v_cmp_lt_u32_e32 vcc_lo, 0xffffff, v78
	v_sub_nc_u32_e32 v63, v79, v88
	v_cndmask_b32_e64 v79, 0, 1, vcc_lo
	v_add_co_ci_u32_e64 v63, null, 0, v63, vcc_lo
	v_lshrrev_b32_e32 v78, v79, v78
; %bb.4735:                             ;   in Loop: Header=BB2_4499 Depth=3
	s_andn2_saveexec_b32 s16, s16
; %bb.4736:                             ;   in Loop: Header=BB2_4499 Depth=3
	v_bfe_u32 v63, v78, 23, 1
; %bb.4737:                             ;   in Loop: Header=BB2_4499 Depth=3
	s_or_b32 exec_lo, exec_lo, s16
	v_lshrrev_b32_e32 v78, 21, v78
	v_cmp_gt_i32_e32 vcc_lo, 32, v63
	v_min_i32_e32 v79, 31, v63
	v_and_b32_sdwa v77, v77, v98 dst_sel:DWORD dst_unused:UNUSED_PAD src0_sel:BYTE_3 src1_sel:DWORD
	v_cndmask_b32_e32 v78, 3, v78, vcc_lo
	v_lshlrev_b32_e32 v79, 2, v79
	v_and_b32_e32 v88, 3, v78
	v_or_b32_e32 v63, v63, v78
	v_or3_b32 v77, v79, v77, v88
	v_cmp_ne_u32_e32 vcc_lo, 0, v63
	v_cndmask_b32_e32 v63, 0, v77, vcc_lo
.LBB2_4738:                             ;   in Loop: Header=BB2_4499 Depth=3
	s_or_b32 exec_lo, exec_lo, s23
.LBB2_4739:                             ;   in Loop: Header=BB2_4499 Depth=3
	s_or_b32 exec_lo, exec_lo, s19
	v_cmp_gt_i16_sdwa s19, v62, v97 src0_sel:BYTE_0 src1_sel:DWORD
	s_mov_b32 s16, 0
	s_and_saveexec_b32 s23, s19
	s_xor_b32 s19, exec_lo, s23
	s_cbranch_execz .LBB2_4817
; %bb.4740:                             ;   in Loop: Header=BB2_4499 Depth=3
	v_cmp_eq_u16_sdwa s72, v62, v98 src0_sel:BYTE_0 src1_sel:DWORD
	s_mov_b32 s16, -1
	s_and_saveexec_b32 s23, s72
; %bb.4741:                             ;   in Loop: Header=BB2_4499 Depth=3
	s_xor_b32 s16, exec_lo, -1
; %bb.4742:                             ;   in Loop: Header=BB2_4499 Depth=3
	s_or_b32 exec_lo, exec_lo, s23
	s_and_b32 s16, s16, exec_lo
	s_or_saveexec_b32 s19, s19
	v_mov_b32_e32 v77, 0x7f800001
	s_xor_b32 exec_lo, exec_lo, s19
	s_cbranch_execnz .LBB2_4818
.LBB2_4743:                             ;   in Loop: Header=BB2_4499 Depth=3
	s_or_b32 exec_lo, exec_lo, s19
	s_and_saveexec_b32 s19, s16
	s_cbranch_execz .LBB2_4745
.LBB2_4744:                             ;   in Loop: Header=BB2_4499 Depth=3
	v_and_b32_e32 v77, 3, v62
	v_lshrrev_b16 v79, 2, v62
	v_ffbh_u32_e32 v78, v77
	v_and_b32_e32 v79, 31, v79
	v_min_u32_e32 v78, 32, v78
	v_cmp_eq_u32_e32 vcc_lo, 0, v79
	v_subrev_nc_u32_e32 v88, 29, v78
	v_sub_nc_u32_e32 v78, 30, v78
	v_lshlrev_b32_e32 v88, v88, v62
	v_lshlrev_b32_e32 v62, 24, v62
	v_cndmask_b32_e32 v78, v79, v78, vcc_lo
	v_and_b32_e32 v88, 3, v88
	v_and_b32_e32 v62, 0x80000000, v62
	v_lshl_add_u32 v78, v78, 23, 0x37800000
	v_cndmask_b32_e32 v77, v77, v88, vcc_lo
	v_lshlrev_b32_e32 v77, 21, v77
	v_or3_b32 v77, v62, v78, v77
.LBB2_4745:                             ;   in Loop: Header=BB2_4499 Depth=3
	s_or_b32 exec_lo, exec_lo, s19
	s_waitcnt vmcnt(1) lgkmcnt(1)
	v_cmp_gt_i16_sdwa s19, v72, v97 src0_sel:BYTE_0 src1_sel:DWORD
	s_mov_b32 s16, 0
	s_and_saveexec_b32 s23, s19
	s_xor_b32 s19, exec_lo, s23
	s_cbranch_execz .LBB2_4819
; %bb.4746:                             ;   in Loop: Header=BB2_4499 Depth=3
	v_cmp_eq_u16_sdwa s72, v72, v98 src0_sel:BYTE_0 src1_sel:DWORD
	s_mov_b32 s16, -1
	s_and_saveexec_b32 s23, s72
; %bb.4747:                             ;   in Loop: Header=BB2_4499 Depth=3
	s_xor_b32 s16, exec_lo, -1
; %bb.4748:                             ;   in Loop: Header=BB2_4499 Depth=3
	s_or_b32 exec_lo, exec_lo, s23
	s_and_b32 s16, s16, exec_lo
	s_or_saveexec_b32 s19, s19
	v_mov_b32_e32 v62, 0x7f800001
	s_xor_b32 exec_lo, exec_lo, s19
	s_cbranch_execnz .LBB2_4820
.LBB2_4749:                             ;   in Loop: Header=BB2_4499 Depth=3
	s_or_b32 exec_lo, exec_lo, s19
	s_and_saveexec_b32 s19, s16
	s_cbranch_execz .LBB2_4751
.LBB2_4750:                             ;   in Loop: Header=BB2_4499 Depth=3
	v_and_b32_e32 v62, 3, v72
	v_lshrrev_b16 v79, 2, v72
	v_ffbh_u32_e32 v78, v62
	v_and_b32_e32 v79, 31, v79
	v_min_u32_e32 v78, 32, v78
	v_cmp_eq_u32_e32 vcc_lo, 0, v79
	v_subrev_nc_u32_e32 v88, 29, v78
	v_sub_nc_u32_e32 v78, 30, v78
	v_lshlrev_b32_e32 v88, v88, v72
	v_lshlrev_b32_e32 v72, 24, v72
	v_cndmask_b32_e32 v78, v79, v78, vcc_lo
	v_and_b32_e32 v88, 3, v88
	v_and_b32_e32 v72, 0x80000000, v72
	v_lshl_add_u32 v78, v78, 23, 0x37800000
	v_cndmask_b32_e32 v62, v62, v88, vcc_lo
	v_lshlrev_b32_e32 v62, 21, v62
	v_or3_b32 v62, v72, v78, v62
.LBB2_4751:                             ;   in Loop: Header=BB2_4499 Depth=3
	s_or_b32 exec_lo, exec_lo, s19
	v_add_f32_e32 v72, v77, v62
	v_and_b32_e32 v62, 0x7f800000, v72
	v_cmp_ne_u32_e32 vcc_lo, 0x7f800000, v62
	v_mov_b32_e32 v62, 0x80
	s_and_saveexec_b32 s19, vcc_lo
	s_cbranch_execz .LBB2_4759
; %bb.4752:                             ;   in Loop: Header=BB2_4499 Depth=3
	v_mov_b32_e32 v62, 0
	s_mov_b32 s23, exec_lo
	v_cmpx_ne_u32_e32 0, v72
	s_cbranch_execz .LBB2_4758
; %bb.4753:                             ;   in Loop: Header=BB2_4499 Depth=3
	v_bfe_u32 v62, v72, 23, 8
	v_and_b32_e32 v77, 0x7fffff, v72
	v_sub_nc_u32_e32 v78, 0x70, v62
	v_cmp_gt_u32_e32 vcc_lo, 0x71, v62
	v_or_b32_e32 v79, 0x800000, v77
	v_cndmask_b32_e32 v78, 0, v78, vcc_lo
	v_cmp_eq_u32_e32 vcc_lo, 0, v62
	v_add_nc_u32_e32 v62, 0xffffff91, v62
	v_cndmask_b32_e64 v78, v78, 0x6f, vcc_lo
	v_cndmask_b32_e32 v77, v79, v77, vcc_lo
	v_cndmask_b32_e64 v62, v62, 0xffffff92, vcc_lo
	v_lshl_add_u32 v79, 0x200000, v78, -1
	v_lshrrev_b32_e32 v88, v78, v77
	v_lshlrev_b32_e64 v90, v78, 0x100000
	v_add_nc_u32_e32 v78, v78, v62
	v_and_b32_e32 v77, v79, v77
	v_bfe_u32 v89, v88, 21, 1
	v_cmp_eq_u32_e64 s16, v77, v90
	v_add_nc_u32_e32 v79, -1, v89
	v_cndmask_b32_e64 v77, 0, v79, s16
	v_lshrrev_b32_e32 v79, 23, v88
	s_mov_b32 s16, exec_lo
	v_add_nc_u32_e32 v77, v77, v88
	v_xor_b32_e32 v79, 1, v79
	v_and_b32_e32 v62, 0x1fffff, v77
	v_add_nc_u32_e32 v77, v62, v88
                                        ; implicit-def: $vgpr62
	v_cmpx_ne_u32_e64 v78, v79
	s_xor_b32 s16, exec_lo, s16
; %bb.4754:                             ;   in Loop: Header=BB2_4499 Depth=3
	v_cmp_lt_u32_e32 vcc_lo, 0xffffff, v77
	v_sub_nc_u32_e32 v62, v78, v79
	v_cndmask_b32_e64 v78, 0, 1, vcc_lo
	v_add_co_ci_u32_e64 v62, null, 0, v62, vcc_lo
	v_lshrrev_b32_e32 v77, v78, v77
; %bb.4755:                             ;   in Loop: Header=BB2_4499 Depth=3
	s_andn2_saveexec_b32 s16, s16
; %bb.4756:                             ;   in Loop: Header=BB2_4499 Depth=3
	v_bfe_u32 v62, v77, 23, 1
; %bb.4757:                             ;   in Loop: Header=BB2_4499 Depth=3
	s_or_b32 exec_lo, exec_lo, s16
	v_lshrrev_b32_e32 v77, 21, v77
	v_cmp_gt_i32_e32 vcc_lo, 32, v62
	v_min_i32_e32 v78, 31, v62
	v_and_b32_sdwa v72, v72, v98 dst_sel:DWORD dst_unused:UNUSED_PAD src0_sel:BYTE_3 src1_sel:DWORD
	v_cndmask_b32_e32 v77, 3, v77, vcc_lo
	v_lshlrev_b32_e32 v78, 2, v78
	v_and_b32_e32 v79, 3, v77
	v_or_b32_e32 v62, v62, v77
	v_or3_b32 v72, v78, v72, v79
	v_cmp_ne_u32_e32 vcc_lo, 0, v62
	v_cndmask_b32_e32 v62, 0, v72, vcc_lo
.LBB2_4758:                             ;   in Loop: Header=BB2_4499 Depth=3
	s_or_b32 exec_lo, exec_lo, s23
.LBB2_4759:                             ;   in Loop: Header=BB2_4499 Depth=3
	s_or_b32 exec_lo, exec_lo, s19
	v_cmp_gt_i16_sdwa s19, v69, v97 src0_sel:BYTE_0 src1_sel:DWORD
	s_mov_b32 s16, 0
	s_and_saveexec_b32 s23, s19
	s_xor_b32 s19, exec_lo, s23
	s_cbranch_execz .LBB2_4821
; %bb.4760:                             ;   in Loop: Header=BB2_4499 Depth=3
	v_cmp_eq_u16_sdwa s72, v69, v98 src0_sel:BYTE_0 src1_sel:DWORD
	s_mov_b32 s16, -1
	s_and_saveexec_b32 s23, s72
; %bb.4761:                             ;   in Loop: Header=BB2_4499 Depth=3
	s_xor_b32 s16, exec_lo, -1
; %bb.4762:                             ;   in Loop: Header=BB2_4499 Depth=3
	s_or_b32 exec_lo, exec_lo, s23
	s_and_b32 s16, s16, exec_lo
	s_or_saveexec_b32 s19, s19
	v_mov_b32_e32 v72, 0x7f800001
	s_xor_b32 exec_lo, exec_lo, s19
	s_cbranch_execnz .LBB2_4822
.LBB2_4763:                             ;   in Loop: Header=BB2_4499 Depth=3
	s_or_b32 exec_lo, exec_lo, s19
	s_and_saveexec_b32 s19, s16
	s_cbranch_execz .LBB2_4765
.LBB2_4764:                             ;   in Loop: Header=BB2_4499 Depth=3
	v_and_b32_e32 v72, 3, v69
	v_lshrrev_b16 v78, 2, v69
	v_ffbh_u32_e32 v77, v72
	v_and_b32_e32 v78, 31, v78
	v_min_u32_e32 v77, 32, v77
	v_cmp_eq_u32_e32 vcc_lo, 0, v78
	v_subrev_nc_u32_e32 v79, 29, v77
	v_sub_nc_u32_e32 v77, 30, v77
	v_lshlrev_b32_e32 v79, v79, v69
	v_lshlrev_b32_e32 v69, 24, v69
	v_cndmask_b32_e32 v77, v78, v77, vcc_lo
	v_and_b32_e32 v79, 3, v79
	v_and_b32_e32 v69, 0x80000000, v69
	v_lshl_add_u32 v77, v77, 23, 0x37800000
	v_cndmask_b32_e32 v72, v72, v79, vcc_lo
	v_lshlrev_b32_e32 v72, 21, v72
	v_or3_b32 v72, v69, v77, v72
.LBB2_4765:                             ;   in Loop: Header=BB2_4499 Depth=3
	s_or_b32 exec_lo, exec_lo, s19
	s_waitcnt vmcnt(0) lgkmcnt(0)
	v_cmp_gt_i16_sdwa s19, v68, v97 src0_sel:BYTE_0 src1_sel:DWORD
	s_mov_b32 s16, 0
	s_and_saveexec_b32 s23, s19
	s_xor_b32 s19, exec_lo, s23
	s_cbranch_execz .LBB2_4823
; %bb.4766:                             ;   in Loop: Header=BB2_4499 Depth=3
	v_cmp_eq_u16_sdwa s72, v68, v98 src0_sel:BYTE_0 src1_sel:DWORD
	s_mov_b32 s16, -1
	s_and_saveexec_b32 s23, s72
; %bb.4767:                             ;   in Loop: Header=BB2_4499 Depth=3
	s_xor_b32 s16, exec_lo, -1
; %bb.4768:                             ;   in Loop: Header=BB2_4499 Depth=3
	s_or_b32 exec_lo, exec_lo, s23
	s_and_b32 s16, s16, exec_lo
	s_or_saveexec_b32 s19, s19
	v_mov_b32_e32 v69, 0x7f800001
	s_xor_b32 exec_lo, exec_lo, s19
	s_cbranch_execnz .LBB2_4824
.LBB2_4769:                             ;   in Loop: Header=BB2_4499 Depth=3
	s_or_b32 exec_lo, exec_lo, s19
	s_and_saveexec_b32 s19, s16
	s_cbranch_execz .LBB2_4771
.LBB2_4770:                             ;   in Loop: Header=BB2_4499 Depth=3
	v_and_b32_e32 v69, 3, v68
	v_lshrrev_b16 v78, 2, v68
	v_ffbh_u32_e32 v77, v69
	v_and_b32_e32 v78, 31, v78
	v_min_u32_e32 v77, 32, v77
	v_cmp_eq_u32_e32 vcc_lo, 0, v78
	v_subrev_nc_u32_e32 v79, 29, v77
	v_sub_nc_u32_e32 v77, 30, v77
	v_lshlrev_b32_e32 v79, v79, v68
	v_lshlrev_b32_e32 v68, 24, v68
	v_cndmask_b32_e32 v77, v78, v77, vcc_lo
	v_and_b32_e32 v79, 3, v79
	v_and_b32_e32 v68, 0x80000000, v68
	v_lshl_add_u32 v77, v77, 23, 0x37800000
	v_cndmask_b32_e32 v69, v69, v79, vcc_lo
	v_lshlrev_b32_e32 v69, 21, v69
	v_or3_b32 v69, v68, v77, v69
.LBB2_4771:                             ;   in Loop: Header=BB2_4499 Depth=3
	s_or_b32 exec_lo, exec_lo, s19
	v_add_f32_e32 v68, v72, v69
	v_and_b32_e32 v69, 0x7f800000, v68
	v_cmp_ne_u32_e32 vcc_lo, 0x7f800000, v69
	v_mov_b32_e32 v69, 0x80
	s_and_saveexec_b32 s19, vcc_lo
	s_cbranch_execz .LBB2_4498
; %bb.4772:                             ;   in Loop: Header=BB2_4499 Depth=3
	v_mov_b32_e32 v69, 0
	s_mov_b32 s23, exec_lo
	v_cmpx_ne_u32_e32 0, v68
	s_cbranch_execz .LBB2_4497
; %bb.4773:                             ;   in Loop: Header=BB2_4499 Depth=3
	v_bfe_u32 v69, v68, 23, 8
	v_and_b32_e32 v72, 0x7fffff, v68
	v_sub_nc_u32_e32 v77, 0x70, v69
	v_cmp_gt_u32_e32 vcc_lo, 0x71, v69
	v_or_b32_e32 v78, 0x800000, v72
	v_cndmask_b32_e32 v77, 0, v77, vcc_lo
	v_cmp_eq_u32_e32 vcc_lo, 0, v69
	v_add_nc_u32_e32 v69, 0xffffff91, v69
	v_cndmask_b32_e64 v77, v77, 0x6f, vcc_lo
	v_cndmask_b32_e32 v72, v78, v72, vcc_lo
	v_cndmask_b32_e64 v69, v69, 0xffffff92, vcc_lo
	v_lshl_add_u32 v78, 0x200000, v77, -1
	v_lshrrev_b32_e32 v79, v77, v72
	v_lshlrev_b32_e64 v89, v77, 0x100000
	v_add_nc_u32_e32 v77, v77, v69
	v_and_b32_e32 v72, v78, v72
	v_bfe_u32 v88, v79, 21, 1
	v_cmp_eq_u32_e64 s16, v72, v89
	v_add_nc_u32_e32 v78, -1, v88
	v_cndmask_b32_e64 v72, 0, v78, s16
	v_lshrrev_b32_e32 v78, 23, v79
	s_mov_b32 s16, exec_lo
	v_add_nc_u32_e32 v72, v72, v79
	v_xor_b32_e32 v78, 1, v78
	v_and_b32_e32 v69, 0x1fffff, v72
	v_add_nc_u32_e32 v72, v69, v79
                                        ; implicit-def: $vgpr69
	v_cmpx_ne_u32_e64 v77, v78
	s_xor_b32 s16, exec_lo, s16
; %bb.4774:                             ;   in Loop: Header=BB2_4499 Depth=3
	v_cmp_lt_u32_e32 vcc_lo, 0xffffff, v72
	v_sub_nc_u32_e32 v69, v77, v78
	v_cndmask_b32_e64 v77, 0, 1, vcc_lo
	v_add_co_ci_u32_e64 v69, null, 0, v69, vcc_lo
	v_lshrrev_b32_e32 v72, v77, v72
; %bb.4775:                             ;   in Loop: Header=BB2_4499 Depth=3
	s_andn2_saveexec_b32 s16, s16
	s_cbranch_execz .LBB2_4496
; %bb.4776:                             ;   in Loop: Header=BB2_4499 Depth=3
	v_bfe_u32 v69, v72, 23, 1
	s_branch .LBB2_4496
.LBB2_4777:                             ;   in Loop: Header=BB2_4499 Depth=3
	s_or_saveexec_b32 s19, s19
	v_mov_b32_e32 v58, 0x7f800001
	s_xor_b32 exec_lo, exec_lo, s19
	s_cbranch_execz .LBB2_4511
.LBB2_4778:                             ;   in Loop: Header=BB2_4499 Depth=3
	v_cmp_ne_u16_e32 vcc_lo, 0, v68
	v_mov_b32_e32 v58, 0
	s_andn2_b32 s16, s16, exec_lo
	s_and_b32 s23, vcc_lo, exec_lo
	s_or_b32 s16, s16, s23
	s_or_b32 exec_lo, exec_lo, s19
	s_and_saveexec_b32 s19, s16
	s_cbranch_execnz .LBB2_4512
	s_branch .LBB2_4513
.LBB2_4779:                             ;   in Loop: Header=BB2_4499 Depth=3
	s_or_saveexec_b32 s19, s19
	v_mov_b32_e32 v62, 0x7f800001
	s_xor_b32 exec_lo, exec_lo, s19
	s_cbranch_execz .LBB2_4525
.LBB2_4780:                             ;   in Loop: Header=BB2_4499 Depth=3
	v_cmp_ne_u16_e32 vcc_lo, 0, v68
	v_mov_b32_e32 v62, 0
	s_andn2_b32 s16, s16, exec_lo
	s_and_b32 s23, vcc_lo, exec_lo
	s_or_b32 s16, s16, s23
	s_or_b32 exec_lo, exec_lo, s19
	s_and_saveexec_b32 s19, s16
	s_cbranch_execnz .LBB2_4526
	s_branch .LBB2_4527
.LBB2_4781:                             ;   in Loop: Header=BB2_4499 Depth=3
	s_or_saveexec_b32 s19, s19
	v_mov_b32_e32 v62, 0x7f800001
	s_xor_b32 exec_lo, exec_lo, s19
	s_cbranch_execz .LBB2_4539
.LBB2_4782:                             ;   in Loop: Header=BB2_4499 Depth=3
	v_cmp_ne_u16_e32 vcc_lo, 0, v68
	v_mov_b32_e32 v62, 0
	s_andn2_b32 s16, s16, exec_lo
	s_and_b32 s23, vcc_lo, exec_lo
	s_or_b32 s16, s16, s23
	s_or_b32 exec_lo, exec_lo, s19
	s_and_saveexec_b32 s19, s16
	s_cbranch_execnz .LBB2_4540
	s_branch .LBB2_4541
.LBB2_4783:                             ;   in Loop: Header=BB2_4499 Depth=3
	s_or_saveexec_b32 s19, s19
	v_mov_b32_e32 v62, 0x7f800001
	s_xor_b32 exec_lo, exec_lo, s19
	s_cbranch_execz .LBB2_4553
.LBB2_4784:                             ;   in Loop: Header=BB2_4499 Depth=3
	v_cmp_ne_u16_e32 vcc_lo, 0, v68
	v_mov_b32_e32 v62, 0
	s_andn2_b32 s16, s16, exec_lo
	s_and_b32 s23, vcc_lo, exec_lo
	s_or_b32 s16, s16, s23
	s_or_b32 exec_lo, exec_lo, s19
	s_and_saveexec_b32 s19, s16
	s_cbranch_execnz .LBB2_4554
	s_branch .LBB2_4555
.LBB2_4785:                             ;   in Loop: Header=BB2_4499 Depth=3
	s_or_saveexec_b32 s19, s19
	v_mov_b32_e32 v62, 0x7f800001
	s_xor_b32 exec_lo, exec_lo, s19
	s_cbranch_execz .LBB2_4567
.LBB2_4786:                             ;   in Loop: Header=BB2_4499 Depth=3
	v_cmp_ne_u16_e32 vcc_lo, 0, v68
	v_mov_b32_e32 v62, 0
	s_andn2_b32 s16, s16, exec_lo
	s_and_b32 s23, vcc_lo, exec_lo
	s_or_b32 s16, s16, s23
	s_or_b32 exec_lo, exec_lo, s19
	s_and_saveexec_b32 s19, s16
	s_cbranch_execnz .LBB2_4568
	s_branch .LBB2_4569
.LBB2_4787:                             ;   in Loop: Header=BB2_4499 Depth=3
	s_or_saveexec_b32 s19, s19
	v_mov_b32_e32 v62, 0x7f800001
	s_xor_b32 exec_lo, exec_lo, s19
	s_cbranch_execz .LBB2_4581
.LBB2_4788:                             ;   in Loop: Header=BB2_4499 Depth=3
	v_cmp_ne_u16_e32 vcc_lo, 0, v68
	v_mov_b32_e32 v62, 0
	s_andn2_b32 s16, s16, exec_lo
	s_and_b32 s23, vcc_lo, exec_lo
	s_or_b32 s16, s16, s23
	s_or_b32 exec_lo, exec_lo, s19
	s_and_saveexec_b32 s19, s16
	s_cbranch_execnz .LBB2_4582
	s_branch .LBB2_4583
.LBB2_4789:                             ;   in Loop: Header=BB2_4499 Depth=3
	s_or_saveexec_b32 s19, s19
	v_mov_b32_e32 v62, 0x7f800001
	s_xor_b32 exec_lo, exec_lo, s19
	s_cbranch_execz .LBB2_4595
.LBB2_4790:                             ;   in Loop: Header=BB2_4499 Depth=3
	v_cmp_ne_u16_e32 vcc_lo, 0, v68
	v_mov_b32_e32 v62, 0
	s_andn2_b32 s16, s16, exec_lo
	s_and_b32 s23, vcc_lo, exec_lo
	s_or_b32 s16, s16, s23
	s_or_b32 exec_lo, exec_lo, s19
	s_and_saveexec_b32 s19, s16
	s_cbranch_execnz .LBB2_4596
	s_branch .LBB2_4597
.LBB2_4791:                             ;   in Loop: Header=BB2_4499 Depth=3
	s_or_saveexec_b32 s19, s19
	v_mov_b32_e32 v72, 0x7f800001
	s_xor_b32 exec_lo, exec_lo, s19
	s_cbranch_execz .LBB2_4609
.LBB2_4792:                             ;   in Loop: Header=BB2_4499 Depth=3
	v_cmp_ne_u16_e32 vcc_lo, 0, v68
	v_mov_b32_e32 v72, 0
	s_andn2_b32 s16, s16, exec_lo
	s_and_b32 s23, vcc_lo, exec_lo
	s_or_b32 s16, s16, s23
	s_or_b32 exec_lo, exec_lo, s19
	s_and_saveexec_b32 s19, s16
	s_cbranch_execnz .LBB2_4610
	s_branch .LBB2_4611
.LBB2_4793:                             ;   in Loop: Header=BB2_4499 Depth=3
	s_or_saveexec_b32 s19, s19
	v_mov_b32_e32 v91, 0x7f800001
	s_xor_b32 exec_lo, exec_lo, s19
	s_cbranch_execz .LBB2_4623
.LBB2_4794:                             ;   in Loop: Header=BB2_4499 Depth=3
	v_cmp_ne_u16_sdwa s23, v58, v2 src0_sel:BYTE_0 src1_sel:DWORD
	v_mov_b32_e32 v91, 0
	s_andn2_b32 s16, s16, exec_lo
	s_and_b32 s23, s23, exec_lo
	s_or_b32 s16, s16, s23
	s_or_b32 exec_lo, exec_lo, s19
	s_and_saveexec_b32 s19, s16
	s_cbranch_execnz .LBB2_4624
	s_branch .LBB2_4625
.LBB2_4795:                             ;   in Loop: Header=BB2_4499 Depth=3
	s_or_saveexec_b32 s19, s19
	v_mov_b32_e32 v58, 0x7f800001
	s_xor_b32 exec_lo, exec_lo, s19
	s_cbranch_execz .LBB2_4629
.LBB2_4796:                             ;   in Loop: Header=BB2_4499 Depth=3
	v_cmp_ne_u16_sdwa s23, v90, v2 src0_sel:BYTE_0 src1_sel:DWORD
	v_mov_b32_e32 v58, 0
	s_andn2_b32 s16, s16, exec_lo
	s_and_b32 s23, s23, exec_lo
	s_or_b32 s16, s16, s23
	s_or_b32 exec_lo, exec_lo, s19
	s_and_saveexec_b32 s19, s16
	s_cbranch_execnz .LBB2_4630
	s_branch .LBB2_4631
.LBB2_4797:                             ;   in Loop: Header=BB2_4499 Depth=3
	s_or_saveexec_b32 s19, s19
	v_mov_b32_e32 v90, 0x7f800001
	s_xor_b32 exec_lo, exec_lo, s19
	s_cbranch_execz .LBB2_4643
.LBB2_4798:                             ;   in Loop: Header=BB2_4499 Depth=3
	v_cmp_ne_u16_sdwa s23, v75, v2 src0_sel:BYTE_0 src1_sel:DWORD
	v_mov_b32_e32 v90, 0
	s_andn2_b32 s16, s16, exec_lo
	s_and_b32 s23, s23, exec_lo
	s_or_b32 s16, s16, s23
	s_or_b32 exec_lo, exec_lo, s19
	s_and_saveexec_b32 s19, s16
	s_cbranch_execnz .LBB2_4644
	s_branch .LBB2_4645
.LBB2_4799:                             ;   in Loop: Header=BB2_4499 Depth=3
	s_or_saveexec_b32 s19, s19
	v_mov_b32_e32 v75, 0x7f800001
	s_xor_b32 exec_lo, exec_lo, s19
	s_cbranch_execz .LBB2_4649
.LBB2_4800:                             ;   in Loop: Header=BB2_4499 Depth=3
	v_cmp_ne_u16_sdwa s23, v89, v2 src0_sel:BYTE_0 src1_sel:DWORD
	v_mov_b32_e32 v75, 0
	s_andn2_b32 s16, s16, exec_lo
	s_and_b32 s23, s23, exec_lo
	s_or_b32 s16, s16, s23
	s_or_b32 exec_lo, exec_lo, s19
	s_and_saveexec_b32 s19, s16
	s_cbranch_execnz .LBB2_4650
	s_branch .LBB2_4651
.LBB2_4801:                             ;   in Loop: Header=BB2_4499 Depth=3
	s_or_saveexec_b32 s19, s19
	v_mov_b32_e32 v89, 0x7f800001
	s_xor_b32 exec_lo, exec_lo, s19
	s_cbranch_execz .LBB2_4663
.LBB2_4802:                             ;   in Loop: Header=BB2_4499 Depth=3
	v_cmp_ne_u16_sdwa s23, v76, v2 src0_sel:BYTE_0 src1_sel:DWORD
	v_mov_b32_e32 v89, 0
	s_andn2_b32 s16, s16, exec_lo
	s_and_b32 s23, s23, exec_lo
	s_or_b32 s16, s16, s23
	s_or_b32 exec_lo, exec_lo, s19
	s_and_saveexec_b32 s19, s16
	s_cbranch_execnz .LBB2_4664
	s_branch .LBB2_4665
.LBB2_4803:                             ;   in Loop: Header=BB2_4499 Depth=3
	s_or_saveexec_b32 s19, s19
	v_mov_b32_e32 v76, 0x7f800001
	s_xor_b32 exec_lo, exec_lo, s19
	s_cbranch_execz .LBB2_4669
.LBB2_4804:                             ;   in Loop: Header=BB2_4499 Depth=3
	v_cmp_ne_u16_sdwa s23, v88, v2 src0_sel:BYTE_0 src1_sel:DWORD
	v_mov_b32_e32 v76, 0
	s_andn2_b32 s16, s16, exec_lo
	s_and_b32 s23, s23, exec_lo
	s_or_b32 s16, s16, s23
	s_or_b32 exec_lo, exec_lo, s19
	s_and_saveexec_b32 s19, s16
	s_cbranch_execnz .LBB2_4670
	s_branch .LBB2_4671
.LBB2_4805:                             ;   in Loop: Header=BB2_4499 Depth=3
	s_or_saveexec_b32 s19, s19
	v_mov_b32_e32 v88, 0x7f800001
	s_xor_b32 exec_lo, exec_lo, s19
	s_cbranch_execz .LBB2_4683
.LBB2_4806:                             ;   in Loop: Header=BB2_4499 Depth=3
	v_cmp_ne_u16_sdwa s23, v74, v2 src0_sel:BYTE_0 src1_sel:DWORD
	v_mov_b32_e32 v88, 0
	s_andn2_b32 s16, s16, exec_lo
	s_and_b32 s23, s23, exec_lo
	s_or_b32 s16, s16, s23
	s_or_b32 exec_lo, exec_lo, s19
	s_and_saveexec_b32 s19, s16
	s_cbranch_execnz .LBB2_4684
	s_branch .LBB2_4685
.LBB2_4807:                             ;   in Loop: Header=BB2_4499 Depth=3
	s_or_saveexec_b32 s19, s19
	v_mov_b32_e32 v74, 0x7f800001
	s_xor_b32 exec_lo, exec_lo, s19
	s_cbranch_execz .LBB2_4689
.LBB2_4808:                             ;   in Loop: Header=BB2_4499 Depth=3
	v_cmp_ne_u16_sdwa s23, v79, v2 src0_sel:BYTE_0 src1_sel:DWORD
	v_mov_b32_e32 v74, 0
	s_andn2_b32 s16, s16, exec_lo
	s_and_b32 s23, s23, exec_lo
	s_or_b32 s16, s16, s23
	s_or_b32 exec_lo, exec_lo, s19
	s_and_saveexec_b32 s19, s16
	s_cbranch_execnz .LBB2_4690
	s_branch .LBB2_4691
.LBB2_4809:                             ;   in Loop: Header=BB2_4499 Depth=3
	s_or_saveexec_b32 s19, s19
	v_mov_b32_e32 v79, 0x7f800001
	s_xor_b32 exec_lo, exec_lo, s19
	s_cbranch_execz .LBB2_4703
.LBB2_4810:                             ;   in Loop: Header=BB2_4499 Depth=3
	v_cmp_ne_u16_sdwa s23, v73, v2 src0_sel:BYTE_0 src1_sel:DWORD
	v_mov_b32_e32 v79, 0
	s_andn2_b32 s16, s16, exec_lo
	s_and_b32 s23, s23, exec_lo
	s_or_b32 s16, s16, s23
	s_or_b32 exec_lo, exec_lo, s19
	s_and_saveexec_b32 s19, s16
	s_cbranch_execnz .LBB2_4704
	s_branch .LBB2_4705
.LBB2_4811:                             ;   in Loop: Header=BB2_4499 Depth=3
	s_or_saveexec_b32 s19, s19
	v_mov_b32_e32 v73, 0x7f800001
	s_xor_b32 exec_lo, exec_lo, s19
	s_cbranch_execz .LBB2_4709
.LBB2_4812:                             ;   in Loop: Header=BB2_4499 Depth=3
	v_cmp_ne_u16_sdwa s23, v78, v2 src0_sel:BYTE_0 src1_sel:DWORD
	v_mov_b32_e32 v73, 0
	s_andn2_b32 s16, s16, exec_lo
	s_and_b32 s23, s23, exec_lo
	s_or_b32 s16, s16, s23
	s_or_b32 exec_lo, exec_lo, s19
	s_and_saveexec_b32 s19, s16
	s_cbranch_execnz .LBB2_4710
	s_branch .LBB2_4711
.LBB2_4813:                             ;   in Loop: Header=BB2_4499 Depth=3
	s_or_saveexec_b32 s19, s19
	v_mov_b32_e32 v78, 0x7f800001
	s_xor_b32 exec_lo, exec_lo, s19
	s_cbranch_execz .LBB2_4723
.LBB2_4814:                             ;   in Loop: Header=BB2_4499 Depth=3
	v_cmp_ne_u16_sdwa s23, v63, v2 src0_sel:BYTE_0 src1_sel:DWORD
	v_mov_b32_e32 v78, 0
	s_andn2_b32 s16, s16, exec_lo
	s_and_b32 s23, s23, exec_lo
	s_or_b32 s16, s16, s23
	s_or_b32 exec_lo, exec_lo, s19
	s_and_saveexec_b32 s19, s16
	s_cbranch_execnz .LBB2_4724
	s_branch .LBB2_4725
.LBB2_4815:                             ;   in Loop: Header=BB2_4499 Depth=3
	s_or_saveexec_b32 s19, s19
	v_mov_b32_e32 v63, 0x7f800001
	s_xor_b32 exec_lo, exec_lo, s19
	s_cbranch_execz .LBB2_4729
.LBB2_4816:                             ;   in Loop: Header=BB2_4499 Depth=3
	v_cmp_ne_u16_sdwa s23, v77, v2 src0_sel:BYTE_0 src1_sel:DWORD
	v_mov_b32_e32 v63, 0
	s_andn2_b32 s16, s16, exec_lo
	s_and_b32 s23, s23, exec_lo
	s_or_b32 s16, s16, s23
	s_or_b32 exec_lo, exec_lo, s19
	s_and_saveexec_b32 s19, s16
	s_cbranch_execnz .LBB2_4730
	s_branch .LBB2_4731
.LBB2_4817:                             ;   in Loop: Header=BB2_4499 Depth=3
	s_or_saveexec_b32 s19, s19
	v_mov_b32_e32 v77, 0x7f800001
	s_xor_b32 exec_lo, exec_lo, s19
	s_cbranch_execz .LBB2_4743
.LBB2_4818:                             ;   in Loop: Header=BB2_4499 Depth=3
	v_cmp_ne_u16_sdwa s23, v62, v2 src0_sel:BYTE_0 src1_sel:DWORD
	v_mov_b32_e32 v77, 0
	s_andn2_b32 s16, s16, exec_lo
	s_and_b32 s23, s23, exec_lo
	s_or_b32 s16, s16, s23
	s_or_b32 exec_lo, exec_lo, s19
	s_and_saveexec_b32 s19, s16
	s_cbranch_execnz .LBB2_4744
	s_branch .LBB2_4745
.LBB2_4819:                             ;   in Loop: Header=BB2_4499 Depth=3
	s_or_saveexec_b32 s19, s19
	v_mov_b32_e32 v62, 0x7f800001
	s_xor_b32 exec_lo, exec_lo, s19
	s_cbranch_execz .LBB2_4749
.LBB2_4820:                             ;   in Loop: Header=BB2_4499 Depth=3
	v_cmp_ne_u16_sdwa s23, v72, v2 src0_sel:BYTE_0 src1_sel:DWORD
	v_mov_b32_e32 v62, 0
	s_andn2_b32 s16, s16, exec_lo
	s_and_b32 s23, s23, exec_lo
	s_or_b32 s16, s16, s23
	s_or_b32 exec_lo, exec_lo, s19
	s_and_saveexec_b32 s19, s16
	s_cbranch_execnz .LBB2_4750
	s_branch .LBB2_4751
.LBB2_4821:                             ;   in Loop: Header=BB2_4499 Depth=3
	s_or_saveexec_b32 s19, s19
	v_mov_b32_e32 v72, 0x7f800001
	s_xor_b32 exec_lo, exec_lo, s19
	s_cbranch_execz .LBB2_4763
.LBB2_4822:                             ;   in Loop: Header=BB2_4499 Depth=3
	v_cmp_ne_u16_sdwa s23, v69, v2 src0_sel:BYTE_0 src1_sel:DWORD
	v_mov_b32_e32 v72, 0
	s_andn2_b32 s16, s16, exec_lo
	s_and_b32 s23, s23, exec_lo
	s_or_b32 s16, s16, s23
	s_or_b32 exec_lo, exec_lo, s19
	s_and_saveexec_b32 s19, s16
	s_cbranch_execnz .LBB2_4764
	s_branch .LBB2_4765
.LBB2_4823:                             ;   in Loop: Header=BB2_4499 Depth=3
	s_or_saveexec_b32 s19, s19
	v_mov_b32_e32 v69, 0x7f800001
	s_xor_b32 exec_lo, exec_lo, s19
	s_cbranch_execz .LBB2_4769
.LBB2_4824:                             ;   in Loop: Header=BB2_4499 Depth=3
	v_cmp_ne_u16_sdwa s23, v68, v2 src0_sel:BYTE_0 src1_sel:DWORD
	v_mov_b32_e32 v69, 0
	s_andn2_b32 s16, s16, exec_lo
	s_and_b32 s23, s23, exec_lo
	s_or_b32 s16, s16, s23
	s_or_b32 exec_lo, exec_lo, s19
	s_and_saveexec_b32 s19, s16
	s_cbranch_execnz .LBB2_4770
	s_branch .LBB2_4771
.LBB2_4825:                             ;   in Loop: Header=BB2_3107 Depth=2
	s_or_b32 exec_lo, exec_lo, s18
.LBB2_4826:                             ;   in Loop: Header=BB2_3107 Depth=2
	s_or_b32 exec_lo, exec_lo, s17
	v_lshlrev_b32_e32 v8, 8, v57
	v_cmp_ne_u32_e32 vcc_lo, v61, v8
	s_and_b32 exec_lo, exec_lo, vcc_lo
	s_cbranch_execz .LBB2_4880
; %bb.4827:                             ;   in Loop: Header=BB2_3107 Depth=2
	v_lshlrev_b32_e32 v9, 5, v47
	v_lshlrev_b32_e32 v10, 5, v56
	v_sub_nc_u32_e32 v9, v60, v9
	v_sub_nc_u32_e32 v9, v9, v10
	v_add_nc_u32_e32 v8, v8, v9
	v_sub_nc_u32_e32 v47, v61, v8
	v_cmp_lt_i32_e32 vcc_lo, 0, v47
	s_and_b32 exec_lo, exec_lo, vcc_lo
	s_cbranch_execz .LBB2_4880
; %bb.4828:                             ;   in Loop: Header=BB2_3107 Depth=2
	s_trap 2
	ds_read_b128 v[64:67], v0
	v_add_nc_u32_e32 v10, v8, v59
	s_mov_b32 s23, 0
	v_ashrrev_i32_e32 v11, 31, v10
	s_waitcnt lgkmcnt(0)
	v_add_co_u32 v8, vcc_lo, v64, v10
	v_add_co_ci_u32_e64 v9, null, v65, v11, vcc_lo
	v_add_co_u32 v10, vcc_lo, v66, v10
	v_add_co_ci_u32_e64 v11, null, v67, v11, vcc_lo
	v_mov_b32_e32 v65, v9
	v_mov_b32_e32 v64, v8
	;; [unrolled: 1-line block ×4, first 2 shown]
.LBB2_4829:                             ;   Parent Loop BB2_47 Depth=1
                                        ;     Parent Loop BB2_3107 Depth=2
                                        ; =>    This Loop Header: Depth=3
                                        ;         Child Loop BB2_4872 Depth 4
	s_trap 2
	ds_read_b64 v[68:69], v0
	s_waitcnt lgkmcnt(0)
	v_readfirstlane_b32 s16, v68
	s_and_b32 s17, s16, 0xff
	s_cmpk_lt_i32 s17, 0x80
	s_cbranch_scc1 .LBB2_4833
; %bb.4830:                             ;   in Loop: Header=BB2_4829 Depth=3
	s_and_b32 s18, 0xffff, s17
	s_cmpk_eq_i32 s18, 0x80
	s_mov_b32 s18, -1
	s_cbranch_scc0 .LBB2_4832
; %bb.4831:                             ;   in Loop: Header=BB2_4829 Depth=3
	s_mov_b32 s18, 0
.LBB2_4832:                             ;   in Loop: Header=BB2_4829 Depth=3
	s_mov_b32 s19, 0x7f800001
	s_branch .LBB2_4835
.LBB2_4833:                             ;   in Loop: Header=BB2_4829 Depth=3
	s_mov_b32 s18, 0
	s_mov_b32 s19, 0x7f800001
	s_cbranch_execz .LBB2_4835
; %bb.4834:                             ;   in Loop: Header=BB2_4829 Depth=3
	s_and_b32 s17, 0xffff, s17
	s_mov_b32 s19, 0
	s_cmp_lg_u32 s17, 0
	s_cselect_b32 s18, -1, 0
.LBB2_4835:                             ;   in Loop: Header=BB2_4829 Depth=3
	v_mov_b32_e32 v69, s19
	s_andn2_b32 vcc_lo, exec_lo, s18
	s_cbranch_vccnz .LBB2_4837
; %bb.4836:                             ;   in Loop: Header=BB2_4829 Depth=3
	s_and_b32 s17, s16, 3
	s_bfe_u32 s19, s16, 0x50002
	s_flbit_i32_b32 s18, s17
	v_lshlrev_b32_e32 v68, 24, v68
	s_min_u32 s18, s18, 32
	s_sub_i32 s72, s18, 29
	s_sub_i32 s18, 30, s18
	s_lshl_b32 s16, s16, s72
	v_and_b32_e32 v68, 0x80000000, v68
	s_and_b32 s16, s16, 3
	s_cmp_eq_u32 s19, 0
	s_cselect_b32 s18, s18, s19
	s_cselect_b32 s16, s16, s17
	s_lshl_b32 s17, s18, 23
	s_lshl_b32 s16, s16, 21
	s_add_i32 s17, s17, 0x37800000
	v_or_b32_e32 v68, s17, v68
	v_or_b32_e32 v69, s16, v68
.LBB2_4837:                             ;   in Loop: Header=BB2_4829 Depth=3
	flat_load_ubyte v68, v[64:65] slc
	s_mov_b32 s16, 0
	s_mov_b32 s17, exec_lo
	s_waitcnt vmcnt(0) lgkmcnt(0)
	v_cmpx_lt_i16_e32 0x7f, v68
	s_xor_b32 s17, exec_lo, s17
	s_cbranch_execz .LBB2_4874
; %bb.4838:                             ;   in Loop: Header=BB2_4829 Depth=3
	s_mov_b32 s16, -1
	s_mov_b32 s18, exec_lo
	v_cmpx_eq_u16_e32 0x80, v68
; %bb.4839:                             ;   in Loop: Header=BB2_4829 Depth=3
	s_xor_b32 s16, exec_lo, -1
; %bb.4840:                             ;   in Loop: Header=BB2_4829 Depth=3
	s_or_b32 exec_lo, exec_lo, s18
	s_and_b32 s16, s16, exec_lo
	s_or_saveexec_b32 s17, s17
	v_mov_b32_e32 v56, 0x7f800001
	s_xor_b32 exec_lo, exec_lo, s17
	s_cbranch_execnz .LBB2_4875
.LBB2_4841:                             ;   in Loop: Header=BB2_4829 Depth=3
	s_or_b32 exec_lo, exec_lo, s17
	s_and_saveexec_b32 s17, s16
	s_cbranch_execz .LBB2_4843
.LBB2_4842:                             ;   in Loop: Header=BB2_4829 Depth=3
	v_and_b32_e32 v56, 0xffff, v68
	v_lshlrev_b32_e32 v68, 24, v68
	v_and_b32_e32 v57, 3, v56
	v_bfe_u32 v60, v56, 2, 5
	v_and_b32_e32 v68, 0x80000000, v68
	v_ffbh_u32_e32 v58, v57
	v_cmp_eq_u32_e32 vcc_lo, 0, v60
	v_min_u32_e32 v58, 32, v58
	v_subrev_nc_u32_e32 v59, 29, v58
	v_sub_nc_u32_e32 v58, 30, v58
	v_lshlrev_b32_e32 v56, v59, v56
	v_cndmask_b32_e32 v58, v60, v58, vcc_lo
	v_and_b32_e32 v56, 3, v56
	v_cndmask_b32_e32 v56, v57, v56, vcc_lo
	v_lshl_add_u32 v57, v58, 23, 0x37800000
	v_lshlrev_b32_e32 v56, 21, v56
	v_or3_b32 v56, v68, v57, v56
.LBB2_4843:                             ;   in Loop: Header=BB2_4829 Depth=3
	s_or_b32 exec_lo, exec_lo, s17
	v_mul_f32_e32 v68, v69, v56
	v_mov_b32_e32 v56, 0x80
	s_mov_b32 s17, exec_lo
	v_and_b32_e32 v69, 0x7f800000, v68
	v_cmpx_ne_u32_e32 0x7f800000, v69
	s_cbranch_execz .LBB2_4851
; %bb.4844:                             ;   in Loop: Header=BB2_4829 Depth=3
	v_mov_b32_e32 v56, 0
	s_mov_b32 s18, exec_lo
	v_cmpx_ne_u32_e32 0, v68
	s_cbranch_execz .LBB2_4850
; %bb.4845:                             ;   in Loop: Header=BB2_4829 Depth=3
	v_bfe_u32 v69, v68, 23, 8
	v_and_b32_e32 v56, 0x7fffff, v68
	v_sub_nc_u32_e32 v57, 0x70, v69
	v_cmp_gt_u32_e32 vcc_lo, 0x71, v69
	v_or_b32_e32 v58, 0x800000, v56
	v_cndmask_b32_e32 v57, 0, v57, vcc_lo
	v_cmp_eq_u32_e32 vcc_lo, 0, v69
	v_add_nc_u32_e32 v69, 0xffffff91, v69
	v_cndmask_b32_e64 v57, v57, 0x6f, vcc_lo
	v_cndmask_b32_e32 v56, v58, v56, vcc_lo
	v_cndmask_b32_e64 v69, v69, 0xffffff92, vcc_lo
	v_lshl_add_u32 v58, 0x200000, v57, -1
	v_lshrrev_b32_e32 v59, v57, v56
	v_lshlrev_b32_e64 v61, v57, 0x100000
	v_add_nc_u32_e32 v57, v57, v69
	v_and_b32_e32 v56, v58, v56
	v_bfe_u32 v60, v59, 21, 1
	v_cmp_eq_u32_e64 s16, v56, v61
	v_add_nc_u32_e32 v58, -1, v60
	v_cndmask_b32_e64 v56, 0, v58, s16
	v_lshrrev_b32_e32 v58, 23, v59
	s_mov_b32 s16, exec_lo
	v_add_nc_u32_e32 v56, v56, v59
	v_xor_b32_e32 v58, 1, v58
	v_and_b32_e32 v69, 0x1fffff, v56
	v_add_nc_u32_e32 v56, v69, v59
                                        ; implicit-def: $vgpr69
	v_cmpx_ne_u32_e64 v57, v58
	s_xor_b32 s16, exec_lo, s16
; %bb.4846:                             ;   in Loop: Header=BB2_4829 Depth=3
	v_cmp_lt_u32_e32 vcc_lo, 0xffffff, v56
	v_sub_nc_u32_e32 v69, v57, v58
	v_cndmask_b32_e64 v57, 0, 1, vcc_lo
	v_add_co_ci_u32_e64 v69, null, 0, v69, vcc_lo
	v_lshrrev_b32_e32 v56, v57, v56
; %bb.4847:                             ;   in Loop: Header=BB2_4829 Depth=3
	s_andn2_saveexec_b32 s16, s16
; %bb.4848:                             ;   in Loop: Header=BB2_4829 Depth=3
	v_bfe_u32 v69, v56, 23, 1
; %bb.4849:                             ;   in Loop: Header=BB2_4829 Depth=3
	s_or_b32 exec_lo, exec_lo, s16
	v_lshrrev_b32_e32 v56, 21, v56
	v_cmp_gt_i32_e32 vcc_lo, 32, v69
	v_min_i32_e32 v57, 31, v69
	v_and_b32_sdwa v68, v68, v98 dst_sel:DWORD dst_unused:UNUSED_PAD src0_sel:BYTE_3 src1_sel:DWORD
	v_cndmask_b32_e32 v56, 3, v56, vcc_lo
	v_lshlrev_b32_e32 v57, 2, v57
	v_and_b32_e32 v58, 3, v56
	v_or_b32_e32 v69, v69, v56
	v_or3_b32 v68, v57, v68, v58
	v_cmp_ne_u32_e32 vcc_lo, 0, v69
	v_cndmask_b32_e32 v56, 0, v68, vcc_lo
.LBB2_4850:                             ;   in Loop: Header=BB2_4829 Depth=3
	s_or_b32 exec_lo, exec_lo, s18
.LBB2_4851:                             ;   in Loop: Header=BB2_4829 Depth=3
	s_or_b32 exec_lo, exec_lo, s17
	flat_load_ubyte v68, v[66:67] slc
	v_cmp_gt_i16_sdwa s17, v56, v97 src0_sel:BYTE_0 src1_sel:DWORD
	s_mov_b32 s16, 0
	s_and_saveexec_b32 s18, s17
	s_xor_b32 s17, exec_lo, s18
	s_cbranch_execz .LBB2_4876
; %bb.4852:                             ;   in Loop: Header=BB2_4829 Depth=3
	v_cmp_eq_u16_sdwa s19, v56, v98 src0_sel:BYTE_0 src1_sel:DWORD
	s_mov_b32 s16, -1
	s_and_saveexec_b32 s18, s19
; %bb.4853:                             ;   in Loop: Header=BB2_4829 Depth=3
	s_xor_b32 s16, exec_lo, -1
; %bb.4854:                             ;   in Loop: Header=BB2_4829 Depth=3
	s_or_b32 exec_lo, exec_lo, s18
	s_and_b32 s16, s16, exec_lo
	s_or_saveexec_b32 s17, s17
	v_mov_b32_e32 v69, 0x7f800001
	s_xor_b32 exec_lo, exec_lo, s17
	s_cbranch_execnz .LBB2_4877
.LBB2_4855:                             ;   in Loop: Header=BB2_4829 Depth=3
	s_or_b32 exec_lo, exec_lo, s17
	s_and_saveexec_b32 s17, s16
	s_cbranch_execz .LBB2_4857
.LBB2_4856:                             ;   in Loop: Header=BB2_4829 Depth=3
	v_and_b32_e32 v69, 3, v56
	v_lshrrev_b16 v58, 2, v56
	v_ffbh_u32_e32 v57, v69
	v_and_b32_e32 v58, 31, v58
	v_min_u32_e32 v57, 32, v57
	v_cmp_eq_u32_e32 vcc_lo, 0, v58
	v_subrev_nc_u32_e32 v59, 29, v57
	v_sub_nc_u32_e32 v57, 30, v57
	v_lshlrev_b32_e32 v59, v59, v56
	v_lshlrev_b32_e32 v56, 24, v56
	v_cndmask_b32_e32 v57, v58, v57, vcc_lo
	v_and_b32_e32 v59, 3, v59
	v_and_b32_e32 v56, 0x80000000, v56
	v_lshl_add_u32 v57, v57, 23, 0x37800000
	v_cndmask_b32_e32 v69, v69, v59, vcc_lo
	v_lshlrev_b32_e32 v69, 21, v69
	v_or3_b32 v69, v56, v57, v69
.LBB2_4857:                             ;   in Loop: Header=BB2_4829 Depth=3
	s_or_b32 exec_lo, exec_lo, s17
	s_waitcnt vmcnt(0) lgkmcnt(0)
	v_cmp_gt_i16_sdwa s17, v68, v97 src0_sel:BYTE_0 src1_sel:DWORD
	s_mov_b32 s16, 0
	s_and_saveexec_b32 s18, s17
	s_xor_b32 s17, exec_lo, s18
	s_cbranch_execz .LBB2_4878
; %bb.4858:                             ;   in Loop: Header=BB2_4829 Depth=3
	v_cmp_eq_u16_sdwa s19, v68, v98 src0_sel:BYTE_0 src1_sel:DWORD
	s_mov_b32 s16, -1
	s_and_saveexec_b32 s18, s19
; %bb.4859:                             ;   in Loop: Header=BB2_4829 Depth=3
	s_xor_b32 s16, exec_lo, -1
; %bb.4860:                             ;   in Loop: Header=BB2_4829 Depth=3
	s_or_b32 exec_lo, exec_lo, s18
	s_and_b32 s16, s16, exec_lo
	s_or_saveexec_b32 s17, s17
	v_mov_b32_e32 v56, 0x7f800001
	s_xor_b32 exec_lo, exec_lo, s17
	s_cbranch_execnz .LBB2_4879
.LBB2_4861:                             ;   in Loop: Header=BB2_4829 Depth=3
	s_or_b32 exec_lo, exec_lo, s17
	s_and_saveexec_b32 s17, s16
	s_cbranch_execz .LBB2_4863
.LBB2_4862:                             ;   in Loop: Header=BB2_4829 Depth=3
	v_and_b32_e32 v56, 3, v68
	v_lshrrev_b16 v58, 2, v68
	v_ffbh_u32_e32 v57, v56
	v_and_b32_e32 v58, 31, v58
	v_min_u32_e32 v57, 32, v57
	v_cmp_eq_u32_e32 vcc_lo, 0, v58
	v_subrev_nc_u32_e32 v59, 29, v57
	v_sub_nc_u32_e32 v57, 30, v57
	v_lshlrev_b32_e32 v59, v59, v68
	v_lshlrev_b32_e32 v68, 24, v68
	v_cndmask_b32_e32 v57, v58, v57, vcc_lo
	v_and_b32_e32 v59, 3, v59
	v_and_b32_e32 v68, 0x80000000, v68
	v_lshl_add_u32 v57, v57, 23, 0x37800000
	v_cndmask_b32_e32 v56, v56, v59, vcc_lo
	v_lshlrev_b32_e32 v56, 21, v56
	v_or3_b32 v56, v68, v57, v56
.LBB2_4863:                             ;   in Loop: Header=BB2_4829 Depth=3
	s_or_b32 exec_lo, exec_lo, s17
	v_add_f32_e32 v68, v69, v56
	v_and_b32_e32 v69, 0x7f800000, v68
	v_cmp_ne_u32_e32 vcc_lo, 0x7f800000, v69
	v_mov_b32_e32 v69, 0x80
	s_and_saveexec_b32 s17, vcc_lo
	s_cbranch_execz .LBB2_4871
; %bb.4864:                             ;   in Loop: Header=BB2_4829 Depth=3
	v_mov_b32_e32 v69, 0
	s_mov_b32 s18, exec_lo
	v_cmpx_ne_u32_e32 0, v68
	s_cbranch_execz .LBB2_4870
; %bb.4865:                             ;   in Loop: Header=BB2_4829 Depth=3
	v_bfe_u32 v69, v68, 23, 8
	v_and_b32_e32 v56, 0x7fffff, v68
	v_sub_nc_u32_e32 v57, 0x70, v69
	v_cmp_gt_u32_e32 vcc_lo, 0x71, v69
	v_or_b32_e32 v58, 0x800000, v56
	v_cndmask_b32_e32 v57, 0, v57, vcc_lo
	v_cmp_eq_u32_e32 vcc_lo, 0, v69
	v_add_nc_u32_e32 v69, 0xffffff91, v69
	v_cndmask_b32_e64 v57, v57, 0x6f, vcc_lo
	v_cndmask_b32_e32 v56, v58, v56, vcc_lo
	v_cndmask_b32_e64 v69, v69, 0xffffff92, vcc_lo
	v_lshl_add_u32 v58, 0x200000, v57, -1
	v_lshrrev_b32_e32 v59, v57, v56
	v_lshlrev_b32_e64 v61, v57, 0x100000
	v_add_nc_u32_e32 v57, v57, v69
	v_and_b32_e32 v56, v58, v56
	v_bfe_u32 v60, v59, 21, 1
	v_cmp_eq_u32_e64 s16, v56, v61
	v_add_nc_u32_e32 v58, -1, v60
	v_cndmask_b32_e64 v56, 0, v58, s16
	v_lshrrev_b32_e32 v58, 23, v59
	s_mov_b32 s16, exec_lo
	v_add_nc_u32_e32 v56, v56, v59
	v_xor_b32_e32 v58, 1, v58
	v_and_b32_e32 v69, 0x1fffff, v56
	v_add_nc_u32_e32 v56, v69, v59
                                        ; implicit-def: $vgpr69
	v_cmpx_ne_u32_e64 v57, v58
	s_xor_b32 s16, exec_lo, s16
; %bb.4866:                             ;   in Loop: Header=BB2_4829 Depth=3
	v_cmp_lt_u32_e32 vcc_lo, 0xffffff, v56
	v_sub_nc_u32_e32 v69, v57, v58
	v_cndmask_b32_e64 v57, 0, 1, vcc_lo
	v_add_co_ci_u32_e64 v69, null, 0, v69, vcc_lo
	v_lshrrev_b32_e32 v56, v57, v56
; %bb.4867:                             ;   in Loop: Header=BB2_4829 Depth=3
	s_andn2_saveexec_b32 s16, s16
; %bb.4868:                             ;   in Loop: Header=BB2_4829 Depth=3
	v_bfe_u32 v69, v56, 23, 1
; %bb.4869:                             ;   in Loop: Header=BB2_4829 Depth=3
	s_or_b32 exec_lo, exec_lo, s16
	v_lshrrev_b32_e32 v56, 21, v56
	v_cmp_gt_i32_e32 vcc_lo, 32, v69
	v_min_i32_e32 v57, 31, v69
	v_and_b32_sdwa v68, v68, v98 dst_sel:DWORD dst_unused:UNUSED_PAD src0_sel:BYTE_3 src1_sel:DWORD
	v_cndmask_b32_e32 v56, 3, v56, vcc_lo
	v_lshlrev_b32_e32 v57, 2, v57
	v_and_b32_e32 v58, 3, v56
	v_or_b32_e32 v69, v69, v56
	v_or3_b32 v68, v57, v68, v58
	v_cmp_ne_u32_e32 vcc_lo, 0, v69
	v_cndmask_b32_e32 v69, 0, v68, vcc_lo
.LBB2_4870:                             ;   in Loop: Header=BB2_4829 Depth=3
	s_or_b32 exec_lo, exec_lo, s18
.LBB2_4871:                             ;   in Loop: Header=BB2_4829 Depth=3
	s_or_b32 exec_lo, exec_lo, s17
	s_mov_b64 s[18:19], 0
	s_mov_b32 s72, -1
	.p2align	6
.LBB2_4872:                             ;   Parent Loop BB2_47 Depth=1
                                        ;     Parent Loop BB2_3107 Depth=2
                                        ;       Parent Loop BB2_4829 Depth=3
                                        ; =>      This Inner Loop Header: Depth=4
	s_cmp_eq_u32 s18, 1
	s_cselect_b32 vcc_lo, -1, 0
	s_cmp_eq_u32 s18, 0
	v_cndmask_b32_e32 v56, v8, v10, vcc_lo
	v_cndmask_b32_e32 v57, v9, v11, vcc_lo
	s_mov_b64 s[18:19], 1
	v_add_co_u32 v68, s16, v56, 32
	v_add_co_ci_u32_e64 v58, null, 0, v57, s16
	s_cselect_b32 s16, -1, 0
	v_cndmask_b32_e32 v10, v10, v68, vcc_lo
	v_cndmask_b32_e64 v8, v8, v68, s16
	v_cndmask_b32_e32 v11, v11, v58, vcc_lo
	v_cndmask_b32_e64 v9, v9, v58, s16
	s_and_b32 s17, exec_lo, s72
	s_mov_b32 s72, 0
	s_mov_b32 vcc_lo, s17
	flat_store_byte v[56:57], v69 glc slc
	s_cbranch_vccnz .LBB2_4872
; %bb.4873:                             ;   in Loop: Header=BB2_4829 Depth=3
	v_add_co_u32 v64, vcc_lo, v64, v40
	v_sub_nc_u32_e32 v47, v47, v86
	v_add_co_ci_u32_e64 v65, null, v65, v41, vcc_lo
	v_add_co_u32 v66, vcc_lo, v66, v40
	v_add_co_ci_u32_e64 v67, null, v67, v41, vcc_lo
	v_add_co_u32 v8, vcc_lo, v8, v116
	v_add_co_ci_u32_e64 v9, null, v9, v118, vcc_lo
	v_cmp_gt_i32_e32 vcc_lo, 1, v47
	v_add_co_u32 v10, s16, v10, v116
	v_add_co_ci_u32_e64 v11, null, v11, v118, s16
	s_or_b32 s23, vcc_lo, s23
	s_andn2_b32 exec_lo, exec_lo, s23
	s_cbranch_execnz .LBB2_4829
	s_branch .LBB2_4880
.LBB2_4874:                             ;   in Loop: Header=BB2_4829 Depth=3
	s_or_saveexec_b32 s17, s17
	v_mov_b32_e32 v56, 0x7f800001
	s_xor_b32 exec_lo, exec_lo, s17
	s_cbranch_execz .LBB2_4841
.LBB2_4875:                             ;   in Loop: Header=BB2_4829 Depth=3
	v_cmp_ne_u16_e32 vcc_lo, 0, v68
	v_mov_b32_e32 v56, 0
	s_andn2_b32 s16, s16, exec_lo
	s_and_b32 s18, vcc_lo, exec_lo
	s_or_b32 s16, s16, s18
	s_or_b32 exec_lo, exec_lo, s17
	s_and_saveexec_b32 s17, s16
	s_cbranch_execnz .LBB2_4842
	s_branch .LBB2_4843
.LBB2_4876:                             ;   in Loop: Header=BB2_4829 Depth=3
	s_or_saveexec_b32 s17, s17
	v_mov_b32_e32 v69, 0x7f800001
	s_xor_b32 exec_lo, exec_lo, s17
	s_cbranch_execz .LBB2_4855
.LBB2_4877:                             ;   in Loop: Header=BB2_4829 Depth=3
	v_cmp_ne_u16_sdwa s18, v56, v2 src0_sel:BYTE_0 src1_sel:DWORD
	v_mov_b32_e32 v69, 0
	s_andn2_b32 s16, s16, exec_lo
	s_and_b32 s18, s18, exec_lo
	s_or_b32 s16, s16, s18
	s_or_b32 exec_lo, exec_lo, s17
	s_and_saveexec_b32 s17, s16
	s_cbranch_execnz .LBB2_4856
	s_branch .LBB2_4857
.LBB2_4878:                             ;   in Loop: Header=BB2_4829 Depth=3
	s_or_saveexec_b32 s17, s17
	v_mov_b32_e32 v56, 0x7f800001
	s_xor_b32 exec_lo, exec_lo, s17
	s_cbranch_execz .LBB2_4861
.LBB2_4879:                             ;   in Loop: Header=BB2_4829 Depth=3
	v_cmp_ne_u16_sdwa s18, v68, v2 src0_sel:BYTE_0 src1_sel:DWORD
	v_mov_b32_e32 v56, 0
	s_andn2_b32 s16, s16, exec_lo
	s_and_b32 s18, s18, exec_lo
	s_or_b32 s16, s16, s18
	s_or_b32 exec_lo, exec_lo, s17
	s_and_saveexec_b32 s17, s16
	s_cbranch_execnz .LBB2_4862
	s_branch .LBB2_4863
.LBB2_4880:                             ;   in Loop: Header=BB2_3107 Depth=2
	s_or_b32 exec_lo, exec_lo, s22
	s_mov_b32 s16, 0
.LBB2_4881:                             ;   in Loop: Header=BB2_3107 Depth=2
	s_and_b32 vcc_lo, exec_lo, s16
	s_cbranch_vccz .LBB2_4888
; %bb.4882:                             ;   in Loop: Header=BB2_3107 Depth=2
	s_mov_b32 s16, -1
	s_and_saveexec_b32 s17, s14
	s_cbranch_execz .LBB2_4884
; %bb.4883:                             ;   in Loop: Header=BB2_3107 Depth=2
	ds_read_b32 v8, v0 offset:720
	s_waitcnt lgkmcnt(0)
	v_and_b32_e32 v8, 15, v8
	v_cmp_eq_u32_e32 vcc_lo, 0, v8
	s_orn2_b32 s16, vcc_lo, exec_lo
.LBB2_4884:                             ;   in Loop: Header=BB2_3107 Depth=2
	s_or_b32 exec_lo, exec_lo, s17
	s_and_saveexec_b32 s17, s12
	s_cbranch_execz .LBB2_4886
; %bb.4885:                             ;   in Loop: Header=BB2_3107 Depth=2
	ds_read_b32 v8, v0 offset:784
	s_waitcnt lgkmcnt(0)
	v_and_b32_e32 v8, 15, v8
	v_cmp_eq_u32_e32 vcc_lo, 0, v8
	s_and_b32 s18, s16, vcc_lo
	s_andn2_b32 s16, s16, exec_lo
	s_and_b32 s18, s18, exec_lo
	s_or_b32 s16, s16, s18
.LBB2_4886:                             ;   in Loop: Header=BB2_3107 Depth=2
	s_or_b32 exec_lo, exec_lo, s17
	s_xor_b32 s16, s16, -1
	v_mov_b32_e32 v64, 0
	v_cndmask_b32_e64 v8, 0, 1, s16
	v_mov_b32_e32 v65, v46
	v_mov_b32_e32 v66, v0
	s_mov_b32 s19, -1
	v_cmp_ne_u32_e32 vcc_lo, 0, v8
	s_cbranch_vccz .LBB2_4889
; %bb.4887:                             ;   in Loop: Header=BB2_3107 Depth=2
	s_and_saveexec_b32 s17, s19
	s_cbranch_execnz .LBB2_6196
	s_branch .LBB2_6580
.LBB2_4888:                             ;   in Loop: Header=BB2_3107 Depth=2
	v_cmp_lt_i32_e64 s16, 0, v46
	s_and_saveexec_b32 s17, s6
	s_cbranch_execnz .LBB2_6581
	s_branch .LBB2_6599
.LBB2_4889:                             ;   in Loop: Header=BB2_3107 Depth=2
	v_ashrrev_i32_e32 v8, 31, v46
	v_sub_nc_u32_e32 v56, v46, v87
	s_mov_b32 s18, exec_lo
	v_lshrrev_b32_e32 v8, 23, v8
	v_add_nc_u32_e32 v8, v46, v8
	v_and_b32_e32 v47, 0xfffffe00, v8
	v_ashrrev_i32_e32 v8, 9, v8
	v_sub_nc_u32_e32 v57, v46, v47
	v_sub_nc_u32_e32 v8, v8, v85
	v_cmp_lt_i32_e64 s16, 15, v57
	v_add_co_ci_u32_e64 v58, null, 0, v8, s16
	v_cmpx_lt_i32_e32 15, v56
	s_cbranch_execz .LBB2_5541
; %bb.4890:                             ;   in Loop: Header=BB2_3107 Depth=2
	s_trap 2
	ds_read_b64 v[8:9], v0
	v_add_co_u32 v64, vcc_lo, v51, v87
	v_add_co_ci_u32_e64 v65, null, 0, v52, vcc_lo
	v_add_co_u32 v66, vcc_lo, v53, v87
	v_add_co_ci_u32_e64 v67, null, 0, v54, vcc_lo
	s_waitcnt lgkmcnt(0)
	v_readfirstlane_b32 s17, v8
	v_add_co_u32 v68, vcc_lo, v8, v87
	v_add_co_ci_u32_e64 v69, null, 0, v9, vcc_lo
	s_and_b32 s19, s17, 3
	s_bfe_u32 s72, s17, 0x50002
	s_flbit_i32_b32 s22, s19
	s_min_u32 s22, s22, 32
	s_sub_i32 s23, s22, 29
	s_sub_i32 s22, 30, s22
	s_lshl_b32 s23, s17, s23
	s_and_b32 s23, s23, 3
	s_cmp_eq_u32 s72, 0
	s_cselect_b32 s22, s22, s72
	s_cselect_b32 s19, s23, s19
	s_lshl_b32 s23, s17, 24
	s_lshl_b32 s22, s22, 23
	s_and_b32 s23, s23, 0x80000000
	s_add_i32 s22, s22, 0x37800000
	s_lshl_b32 s72, s19, 21
	s_or_b32 s22, s23, s22
	s_mov_b32 s19, 0
	s_or_b32 s22, s22, s72
	s_and_b32 s23, s17, 0xff
	s_branch .LBB2_4894
.LBB2_4891:                             ;   in Loop: Header=BB2_4894 Depth=3
	s_or_b32 exec_lo, exec_lo, s17
	v_lshrrev_b32_e32 v73, 21, v73
	v_min_i32_e32 v88, 31, v63
	v_cmp_gt_i32_e32 vcc_lo, 32, v63
	v_and_b32_sdwa v11, v11, v98 dst_sel:DWORD dst_unused:UNUSED_PAD src0_sel:BYTE_3 src1_sel:DWORD
	v_lshlrev_b32_e32 v88, 2, v88
	v_cndmask_b32_e32 v73, 3, v73, vcc_lo
	v_and_b32_e32 v88, 0xfc, v88
	v_and_b32_e32 v90, 3, v73
	v_or_b32_e32 v63, v63, v73
	v_or3_b32 v11, v11, v88, v90
	v_cmp_ne_u32_e32 vcc_lo, 0, v63
	v_lshlrev_b32_e32 v11, 8, v11
	v_cndmask_b32_e32 v63, 0, v11, vcc_lo
.LBB2_4892:                             ;   in Loop: Header=BB2_4894 Depth=3
	s_or_b32 exec_lo, exec_lo, s73
.LBB2_4893:                             ;   in Loop: Header=BB2_4894 Depth=3
	s_or_b32 exec_lo, exec_lo, s72
	v_or_b32_sdwa v9, v9, v77 dst_sel:WORD_1 dst_unused:UNUSED_PAD src0_sel:DWORD src1_sel:DWORD
	v_or_b32_sdwa v8, v8, v75 dst_sel:WORD_1 dst_unused:UNUSED_PAD src0_sel:DWORD src1_sel:DWORD
	;; [unrolled: 1-line block ×4, first 2 shown]
	v_sub_nc_u32_e32 v56, v56, v114
	v_or3_b32 v9, v89, v79, v9
	v_or3_b32 v8, v62, v59, v8
	;; [unrolled: 1-line block ×4, first 2 shown]
	v_add_co_u32 v64, vcc_lo, v64, v114
	v_add_co_ci_u32_e64 v65, null, 0, v65, vcc_lo
	v_add_co_u32 v68, vcc_lo, v68, v114
	global_store_dwordx4 v[66:67], v[8:11], off glc slc
	v_add_co_ci_u32_e64 v69, null, 0, v69, vcc_lo
	v_cmp_gt_i32_e32 vcc_lo, 16, v56
	v_add_co_u32 v66, s17, v66, v114
	v_add_co_ci_u32_e64 v67, null, 0, v67, s17
	v_sub_nc_u32_e32 v58, v58, v83
	s_or_b32 s19, vcc_lo, s19
	s_andn2_b32 exec_lo, exec_lo, s19
	s_cbranch_execz .LBB2_5540
.LBB2_4894:                             ;   Parent Loop BB2_47 Depth=1
                                        ;     Parent Loop BB2_3107 Depth=2
                                        ; =>    This Inner Loop Header: Depth=3
	s_cmpk_lt_i32 s23, 0x80
	s_cbranch_scc1 .LBB2_4898
; %bb.4895:                             ;   in Loop: Header=BB2_4894 Depth=3
	s_and_b32 s17, 0xffff, s23
	s_cmpk_eq_i32 s17, 0x80
	s_mov_b32 s17, -1
	s_cbranch_scc0 .LBB2_4897
; %bb.4896:                             ;   in Loop: Header=BB2_4894 Depth=3
	s_mov_b32 s17, 0
.LBB2_4897:                             ;   in Loop: Header=BB2_4894 Depth=3
	s_mov_b32 s72, 0x7f800001
	s_branch .LBB2_4900
.LBB2_4898:                             ;   in Loop: Header=BB2_4894 Depth=3
	s_mov_b32 s17, 0
	s_mov_b32 s72, 0x7f800001
	s_cbranch_execz .LBB2_4900
; %bb.4899:                             ;   in Loop: Header=BB2_4894 Depth=3
	s_and_b32 s17, 0xffff, s23
	s_mov_b32 s72, 0
	s_cmp_lg_u32 s17, 0
	s_cselect_b32 s17, -1, 0
.LBB2_4900:                             ;   in Loop: Header=BB2_4894 Depth=3
	s_andn2_b32 vcc_lo, exec_lo, s17
	s_cbranch_vccnz .LBB2_4902
; %bb.4901:                             ;   in Loop: Header=BB2_4894 Depth=3
	s_mov_b32 s72, s22
.LBB2_4902:                             ;   in Loop: Header=BB2_4894 Depth=3
	global_load_dwordx4 v[8:11], v[64:65], off slc
	s_mov_b32 s17, 0
	s_waitcnt vmcnt(0)
	v_cmp_gt_i16_sdwa s73, v8, v97 src0_sel:BYTE_0 src1_sel:DWORD
	s_and_saveexec_b32 s74, s73
	s_xor_b32 s73, exec_lo, s74
	s_cbranch_execz .LBB2_5444
; %bb.4903:                             ;   in Loop: Header=BB2_4894 Depth=3
	v_cmp_eq_u16_sdwa s75, v8, v98 src0_sel:BYTE_0 src1_sel:DWORD
	s_mov_b32 s17, -1
	s_and_saveexec_b32 s74, s75
; %bb.4904:                             ;   in Loop: Header=BB2_4894 Depth=3
	s_xor_b32 s17, exec_lo, -1
; %bb.4905:                             ;   in Loop: Header=BB2_4894 Depth=3
	s_or_b32 exec_lo, exec_lo, s74
	s_and_b32 s17, s17, exec_lo
	s_or_saveexec_b32 s73, s73
	v_mov_b32_e32 v59, 0x7f800001
	s_xor_b32 exec_lo, exec_lo, s73
	s_cbranch_execnz .LBB2_5445
.LBB2_4906:                             ;   in Loop: Header=BB2_4894 Depth=3
	s_or_b32 exec_lo, exec_lo, s73
	s_and_saveexec_b32 s73, s17
	s_cbranch_execz .LBB2_4908
.LBB2_4907:                             ;   in Loop: Header=BB2_4894 Depth=3
	v_and_b32_e32 v59, 3, v8
	v_bfe_u32 v62, v8, 2, 5
	v_lshlrev_b32_e32 v63, 24, v8
	v_ffbh_u32_e32 v60, v59
	v_cmp_eq_u32_e32 vcc_lo, 0, v62
	v_min_u32_e32 v60, 32, v60
	v_subrev_nc_u32_e32 v61, 29, v60
	v_sub_nc_u32_e32 v60, 30, v60
	v_lshlrev_b32_e32 v61, v61, v8
	v_cndmask_b32_e32 v60, v62, v60, vcc_lo
	v_and_b32_e32 v61, 3, v61
	v_lshl_add_u32 v60, v60, 23, 0x37800000
	v_cndmask_b32_e32 v59, v59, v61, vcc_lo
	v_and_b32_e32 v61, 0x80000000, v63
	v_lshlrev_b32_e32 v59, 21, v59
	v_or3_b32 v59, v61, v60, v59
.LBB2_4908:                             ;   in Loop: Header=BB2_4894 Depth=3
	s_or_b32 exec_lo, exec_lo, s73
	v_mul_f32_e32 v60, s72, v59
	v_and_b32_e32 v59, 0x7f800000, v60
	v_cmp_ne_u32_e32 vcc_lo, 0x7f800000, v59
	v_mov_b32_e32 v59, 0x80
	s_and_saveexec_b32 s73, vcc_lo
	s_cbranch_execz .LBB2_4916
; %bb.4909:                             ;   in Loop: Header=BB2_4894 Depth=3
	v_mov_b32_e32 v59, 0
	s_mov_b32 s74, exec_lo
	v_cmpx_ne_u32_e32 0, v60
	s_cbranch_execz .LBB2_4915
; %bb.4910:                             ;   in Loop: Header=BB2_4894 Depth=3
	v_bfe_u32 v59, v60, 23, 8
	v_and_b32_e32 v61, 0x7fffff, v60
	v_sub_nc_u32_e32 v62, 0x70, v59
	v_cmp_gt_u32_e32 vcc_lo, 0x71, v59
	v_or_b32_e32 v63, 0x800000, v61
	v_cndmask_b32_e32 v62, 0, v62, vcc_lo
	v_cmp_eq_u32_e32 vcc_lo, 0, v59
	v_add_nc_u32_e32 v59, 0xffffff91, v59
	v_cndmask_b32_e64 v62, v62, 0x6f, vcc_lo
	v_cndmask_b32_e32 v61, v63, v61, vcc_lo
	v_cndmask_b32_e64 v59, v59, 0xffffff92, vcc_lo
	v_lshl_add_u32 v63, 0x200000, v62, -1
	v_lshrrev_b32_e32 v72, v62, v61
	v_lshlrev_b32_e64 v74, v62, 0x100000
	v_add_nc_u32_e32 v62, v62, v59
	v_and_b32_e32 v61, v63, v61
	v_bfe_u32 v73, v72, 21, 1
	v_cmp_eq_u32_e64 s17, v61, v74
	v_add_nc_u32_e32 v63, -1, v73
	v_cndmask_b32_e64 v61, 0, v63, s17
	v_lshrrev_b32_e32 v63, 23, v72
	s_mov_b32 s17, exec_lo
	v_add_nc_u32_e32 v61, v61, v72
	v_xor_b32_e32 v63, 1, v63
	v_and_b32_e32 v59, 0x1fffff, v61
	v_add_nc_u32_e32 v61, v59, v72
                                        ; implicit-def: $vgpr59
	v_cmpx_ne_u32_e64 v62, v63
	s_xor_b32 s17, exec_lo, s17
; %bb.4911:                             ;   in Loop: Header=BB2_4894 Depth=3
	v_cmp_lt_u32_e32 vcc_lo, 0xffffff, v61
	v_sub_nc_u32_e32 v59, v62, v63
	v_cndmask_b32_e64 v62, 0, 1, vcc_lo
	v_add_co_ci_u32_e64 v59, null, 0, v59, vcc_lo
	v_lshrrev_b32_e32 v61, v62, v61
; %bb.4912:                             ;   in Loop: Header=BB2_4894 Depth=3
	s_andn2_saveexec_b32 s17, s17
; %bb.4913:                             ;   in Loop: Header=BB2_4894 Depth=3
	v_bfe_u32 v59, v61, 23, 1
; %bb.4914:                             ;   in Loop: Header=BB2_4894 Depth=3
	s_or_b32 exec_lo, exec_lo, s17
	v_lshrrev_b32_e32 v61, 21, v61
	v_min_i32_e32 v62, 31, v59
	v_cmp_gt_i32_e32 vcc_lo, 32, v59
	v_and_b32_sdwa v60, v60, v98 dst_sel:DWORD dst_unused:UNUSED_PAD src0_sel:BYTE_3 src1_sel:DWORD
	v_lshlrev_b32_e32 v62, 2, v62
	v_cndmask_b32_e32 v61, 3, v61, vcc_lo
	v_and_b32_e32 v62, 0xfc, v62
	v_and_b32_e32 v63, 3, v61
	v_or_b32_e32 v59, v59, v61
	v_or3_b32 v60, v62, v60, v63
	v_cmp_ne_u32_e32 vcc_lo, 0, v59
	v_cndmask_b32_e32 v59, 0, v60, vcc_lo
.LBB2_4915:                             ;   in Loop: Header=BB2_4894 Depth=3
	s_or_b32 exec_lo, exec_lo, s74
.LBB2_4916:                             ;   in Loop: Header=BB2_4894 Depth=3
	s_or_b32 exec_lo, exec_lo, s73
	v_cmp_gt_i16_sdwa s73, v8, v97 src0_sel:BYTE_1 src1_sel:DWORD
	s_mov_b32 s17, 0
	s_and_saveexec_b32 s74, s73
	s_xor_b32 s73, exec_lo, s74
	s_cbranch_execz .LBB2_5446
; %bb.4917:                             ;   in Loop: Header=BB2_4894 Depth=3
	v_cmp_eq_u16_sdwa s75, v8, v98 src0_sel:BYTE_1 src1_sel:DWORD
	s_mov_b32 s17, -1
	s_and_saveexec_b32 s74, s75
; %bb.4918:                             ;   in Loop: Header=BB2_4894 Depth=3
	s_xor_b32 s17, exec_lo, -1
; %bb.4919:                             ;   in Loop: Header=BB2_4894 Depth=3
	s_or_b32 exec_lo, exec_lo, s74
	s_and_b32 s17, s17, exec_lo
	s_or_saveexec_b32 s73, s73
	v_mov_b32_e32 v60, 0x7f800001
	s_xor_b32 exec_lo, exec_lo, s73
	s_cbranch_execnz .LBB2_5447
.LBB2_4920:                             ;   in Loop: Header=BB2_4894 Depth=3
	s_or_b32 exec_lo, exec_lo, s73
	s_and_saveexec_b32 s73, s17
	s_cbranch_execz .LBB2_4922
.LBB2_4921:                             ;   in Loop: Header=BB2_4894 Depth=3
	v_and_b32_sdwa v60, v99, v8 dst_sel:DWORD dst_unused:UNUSED_PAD src0_sel:DWORD src1_sel:BYTE_1
	v_and_b32_e32 v61, 3, v60
	v_bfe_u32 v72, v60, 2, 5
	v_ffbh_u32_e32 v62, v61
	v_cmp_eq_u32_e32 vcc_lo, 0, v72
	v_min_u32_e32 v62, 32, v62
	v_subrev_nc_u32_e32 v63, 29, v62
	v_sub_nc_u32_e32 v62, 30, v62
	v_lshlrev_b32_e32 v60, v63, v60
	v_lshlrev_b32_sdwa v63, v100, v8 dst_sel:DWORD dst_unused:UNUSED_PAD src0_sel:DWORD src1_sel:BYTE_1
	v_cndmask_b32_e32 v62, v72, v62, vcc_lo
	v_and_b32_e32 v60, 3, v60
	v_lshl_add_u32 v62, v62, 23, 0x37800000
	v_cndmask_b32_e32 v60, v61, v60, vcc_lo
	v_and_b32_e32 v61, 0x80000000, v63
	v_lshlrev_b32_e32 v60, 21, v60
	v_or3_b32 v60, v61, v62, v60
.LBB2_4922:                             ;   in Loop: Header=BB2_4894 Depth=3
	s_or_b32 exec_lo, exec_lo, s73
	v_mul_f32_e32 v60, s72, v60
	v_mov_b32_e32 v62, 0x8000
	s_mov_b32 s73, exec_lo
	v_and_b32_e32 v61, 0x7f800000, v60
	v_cmpx_ne_u32_e32 0x7f800000, v61
	s_cbranch_execz .LBB2_4930
; %bb.4923:                             ;   in Loop: Header=BB2_4894 Depth=3
	v_mov_b32_e32 v62, 0
	s_mov_b32 s74, exec_lo
	v_cmpx_ne_u32_e32 0, v60
	s_cbranch_execz .LBB2_4929
; %bb.4924:                             ;   in Loop: Header=BB2_4894 Depth=3
	v_bfe_u32 v61, v60, 23, 8
	v_and_b32_e32 v62, 0x7fffff, v60
	v_sub_nc_u32_e32 v63, 0x70, v61
	v_cmp_gt_u32_e32 vcc_lo, 0x71, v61
	v_or_b32_e32 v72, 0x800000, v62
	v_cndmask_b32_e32 v63, 0, v63, vcc_lo
	v_cmp_eq_u32_e32 vcc_lo, 0, v61
	v_add_nc_u32_e32 v61, 0xffffff91, v61
	v_cndmask_b32_e64 v63, v63, 0x6f, vcc_lo
	v_cndmask_b32_e32 v62, v72, v62, vcc_lo
	v_cndmask_b32_e64 v61, v61, 0xffffff92, vcc_lo
	v_lshl_add_u32 v72, 0x200000, v63, -1
	v_lshrrev_b32_e32 v73, v63, v62
	v_lshlrev_b32_e64 v75, v63, 0x100000
	v_add_nc_u32_e32 v63, v63, v61
	v_and_b32_e32 v62, v72, v62
	v_bfe_u32 v74, v73, 21, 1
	v_cmp_eq_u32_e64 s17, v62, v75
	v_add_nc_u32_e32 v72, -1, v74
	v_cndmask_b32_e64 v62, 0, v72, s17
	v_lshrrev_b32_e32 v72, 23, v73
	s_mov_b32 s17, exec_lo
	v_add_nc_u32_e32 v62, v62, v73
	v_xor_b32_e32 v72, 1, v72
	v_and_b32_e32 v61, 0x1fffff, v62
	v_add_nc_u32_e32 v62, v61, v73
                                        ; implicit-def: $vgpr61
	v_cmpx_ne_u32_e64 v63, v72
	s_xor_b32 s17, exec_lo, s17
; %bb.4925:                             ;   in Loop: Header=BB2_4894 Depth=3
	v_cmp_lt_u32_e32 vcc_lo, 0xffffff, v62
	v_sub_nc_u32_e32 v61, v63, v72
	v_cndmask_b32_e64 v63, 0, 1, vcc_lo
	v_add_co_ci_u32_e64 v61, null, 0, v61, vcc_lo
	v_lshrrev_b32_e32 v62, v63, v62
; %bb.4926:                             ;   in Loop: Header=BB2_4894 Depth=3
	s_andn2_saveexec_b32 s17, s17
; %bb.4927:                             ;   in Loop: Header=BB2_4894 Depth=3
	v_bfe_u32 v61, v62, 23, 1
; %bb.4928:                             ;   in Loop: Header=BB2_4894 Depth=3
	s_or_b32 exec_lo, exec_lo, s17
	v_lshrrev_b32_e32 v62, 21, v62
	v_min_i32_e32 v63, 31, v61
	v_cmp_gt_i32_e32 vcc_lo, 32, v61
	v_and_b32_sdwa v60, v60, v98 dst_sel:DWORD dst_unused:UNUSED_PAD src0_sel:BYTE_3 src1_sel:DWORD
	v_lshlrev_b32_e32 v63, 2, v63
	v_cndmask_b32_e32 v62, 3, v62, vcc_lo
	v_and_b32_e32 v63, 0xfc, v63
	v_and_b32_e32 v72, 3, v62
	v_or_b32_e32 v61, v61, v62
	v_or3_b32 v60, v60, v63, v72
	v_cmp_ne_u32_e32 vcc_lo, 0, v61
	v_lshlrev_b32_e32 v60, 8, v60
	v_cndmask_b32_e32 v62, 0, v60, vcc_lo
.LBB2_4929:                             ;   in Loop: Header=BB2_4894 Depth=3
	s_or_b32 exec_lo, exec_lo, s74
.LBB2_4930:                             ;   in Loop: Header=BB2_4894 Depth=3
	s_or_b32 exec_lo, exec_lo, s73
	v_and_b32_sdwa v61, v8, v101 dst_sel:DWORD dst_unused:UNUSED_PAD src0_sel:WORD_1 src1_sel:DWORD
	s_mov_b32 s17, 0
	s_mov_b32 s73, exec_lo
	v_cmpx_lt_i16_e32 0x7f, v61
	s_xor_b32 s73, exec_lo, s73
	s_cbranch_execz .LBB2_5448
; %bb.4931:                             ;   in Loop: Header=BB2_4894 Depth=3
	s_mov_b32 s17, -1
	s_mov_b32 s74, exec_lo
	v_cmpx_eq_u16_e32 0x80, v61
; %bb.4932:                             ;   in Loop: Header=BB2_4894 Depth=3
	s_xor_b32 s17, exec_lo, -1
; %bb.4933:                             ;   in Loop: Header=BB2_4894 Depth=3
	s_or_b32 exec_lo, exec_lo, s74
	s_and_b32 s17, s17, exec_lo
                                        ; implicit-def: $vgpr61
	s_or_saveexec_b32 s73, s73
	v_mov_b32_e32 v60, 0x7f800001
	s_xor_b32 exec_lo, exec_lo, s73
	s_cbranch_execnz .LBB2_5449
.LBB2_4934:                             ;   in Loop: Header=BB2_4894 Depth=3
	s_or_b32 exec_lo, exec_lo, s73
	s_and_saveexec_b32 s73, s17
	s_cbranch_execz .LBB2_4936
.LBB2_4935:                             ;   in Loop: Header=BB2_4894 Depth=3
	v_bfe_u32 v60, v8, 16, 2
	v_bfe_u32 v72, v8, 18, 5
	v_lshlrev_b32_e32 v73, 8, v8
	v_ffbh_u32_e32 v61, v60
	v_cmp_eq_u32_e32 vcc_lo, 0, v72
	v_min_u32_e32 v61, 32, v61
	v_subrev_nc_u32_e32 v63, 29, v61
	v_sub_nc_u32_e32 v61, 30, v61
	v_lshlrev_b32_sdwa v63, v63, v8 dst_sel:DWORD dst_unused:UNUSED_PAD src0_sel:DWORD src1_sel:WORD_1
	v_cndmask_b32_e32 v61, v72, v61, vcc_lo
	v_and_b32_e32 v63, 3, v63
	v_lshl_add_u32 v61, v61, 23, 0x37800000
	v_cndmask_b32_e32 v60, v60, v63, vcc_lo
	v_and_b32_e32 v63, 0x80000000, v73
	v_lshlrev_b32_e32 v60, 21, v60
	v_or3_b32 v60, v63, v61, v60
.LBB2_4936:                             ;   in Loop: Header=BB2_4894 Depth=3
	s_or_b32 exec_lo, exec_lo, s73
	v_mul_f32_e32 v60, s72, v60
	v_mov_b32_e32 v75, 0x80
	s_mov_b32 s73, exec_lo
	v_and_b32_e32 v61, 0x7f800000, v60
	v_cmpx_ne_u32_e32 0x7f800000, v61
	s_cbranch_execz .LBB2_4944
; %bb.4937:                             ;   in Loop: Header=BB2_4894 Depth=3
	v_mov_b32_e32 v75, 0
	s_mov_b32 s74, exec_lo
	v_cmpx_ne_u32_e32 0, v60
	s_cbranch_execz .LBB2_4943
; %bb.4938:                             ;   in Loop: Header=BB2_4894 Depth=3
	v_bfe_u32 v61, v60, 23, 8
	v_and_b32_e32 v63, 0x7fffff, v60
	v_sub_nc_u32_e32 v72, 0x70, v61
	v_cmp_gt_u32_e32 vcc_lo, 0x71, v61
	v_or_b32_e32 v73, 0x800000, v63
	v_cndmask_b32_e32 v72, 0, v72, vcc_lo
	v_cmp_eq_u32_e32 vcc_lo, 0, v61
	v_add_nc_u32_e32 v61, 0xffffff91, v61
	v_cndmask_b32_e64 v72, v72, 0x6f, vcc_lo
	v_cndmask_b32_e32 v63, v73, v63, vcc_lo
	v_cndmask_b32_e64 v61, v61, 0xffffff92, vcc_lo
	v_lshl_add_u32 v73, 0x200000, v72, -1
	v_lshrrev_b32_e32 v74, v72, v63
	v_lshlrev_b32_e64 v76, v72, 0x100000
	v_add_nc_u32_e32 v72, v72, v61
	v_and_b32_e32 v63, v73, v63
	v_bfe_u32 v75, v74, 21, 1
	v_cmp_eq_u32_e64 s17, v63, v76
	v_add_nc_u32_e32 v73, -1, v75
	v_cndmask_b32_e64 v63, 0, v73, s17
	v_lshrrev_b32_e32 v73, 23, v74
	s_mov_b32 s17, exec_lo
	v_add_nc_u32_e32 v63, v63, v74
	v_xor_b32_e32 v73, 1, v73
	v_and_b32_e32 v61, 0x1fffff, v63
	v_add_nc_u32_e32 v63, v61, v74
                                        ; implicit-def: $vgpr61
	v_cmpx_ne_u32_e64 v72, v73
	s_xor_b32 s17, exec_lo, s17
; %bb.4939:                             ;   in Loop: Header=BB2_4894 Depth=3
	v_cmp_lt_u32_e32 vcc_lo, 0xffffff, v63
	v_sub_nc_u32_e32 v61, v72, v73
	v_cndmask_b32_e64 v72, 0, 1, vcc_lo
	v_add_co_ci_u32_e64 v61, null, 0, v61, vcc_lo
	v_lshrrev_b32_e32 v63, v72, v63
; %bb.4940:                             ;   in Loop: Header=BB2_4894 Depth=3
	s_andn2_saveexec_b32 s17, s17
; %bb.4941:                             ;   in Loop: Header=BB2_4894 Depth=3
	v_bfe_u32 v61, v63, 23, 1
; %bb.4942:                             ;   in Loop: Header=BB2_4894 Depth=3
	s_or_b32 exec_lo, exec_lo, s17
	v_lshrrev_b32_e32 v63, 21, v63
	v_min_i32_e32 v72, 31, v61
	v_cmp_gt_i32_e32 vcc_lo, 32, v61
	v_and_b32_sdwa v60, v60, v98 dst_sel:DWORD dst_unused:UNUSED_PAD src0_sel:BYTE_3 src1_sel:DWORD
	v_lshlrev_b32_e32 v72, 2, v72
	v_cndmask_b32_e32 v63, 3, v63, vcc_lo
	v_and_b32_e32 v72, 0xfc, v72
	v_and_b32_e32 v73, 3, v63
	v_or_b32_e32 v61, v61, v63
	v_or3_b32 v60, v72, v60, v73
	v_cmp_ne_u32_e32 vcc_lo, 0, v61
	v_cndmask_b32_e32 v75, 0, v60, vcc_lo
.LBB2_4943:                             ;   in Loop: Header=BB2_4894 Depth=3
	s_or_b32 exec_lo, exec_lo, s74
.LBB2_4944:                             ;   in Loop: Header=BB2_4894 Depth=3
	s_or_b32 exec_lo, exec_lo, s73
	v_cmp_gt_i16_sdwa s73, v8, v97 src0_sel:BYTE_3 src1_sel:DWORD
	s_mov_b32 s17, 0
	s_and_saveexec_b32 s74, s73
	s_xor_b32 s73, exec_lo, s74
	s_cbranch_execz .LBB2_5450
; %bb.4945:                             ;   in Loop: Header=BB2_4894 Depth=3
	v_cmp_eq_u16_sdwa s75, v8, v98 src0_sel:BYTE_3 src1_sel:DWORD
	s_mov_b32 s17, -1
	s_and_saveexec_b32 s74, s75
; %bb.4946:                             ;   in Loop: Header=BB2_4894 Depth=3
	s_xor_b32 s17, exec_lo, -1
; %bb.4947:                             ;   in Loop: Header=BB2_4894 Depth=3
	s_or_b32 exec_lo, exec_lo, s74
	s_and_b32 s17, s17, exec_lo
	s_or_saveexec_b32 s73, s73
	v_mov_b32_e32 v60, 0x7f800001
	s_xor_b32 exec_lo, exec_lo, s73
	s_cbranch_execnz .LBB2_5451
.LBB2_4948:                             ;   in Loop: Header=BB2_4894 Depth=3
	s_or_b32 exec_lo, exec_lo, s73
	s_and_saveexec_b32 s73, s17
	s_cbranch_execz .LBB2_4950
.LBB2_4949:                             ;   in Loop: Header=BB2_4894 Depth=3
	v_bfe_u32 v60, v8, 24, 2
	v_bfe_u32 v72, v8, 26, 5
	v_ffbh_u32_e32 v61, v60
	v_cmp_eq_u32_e32 vcc_lo, 0, v72
	v_min_u32_e32 v61, 32, v61
	v_subrev_nc_u32_e32 v63, 29, v61
	v_sub_nc_u32_e32 v61, 30, v61
	v_lshlrev_b32_sdwa v63, v63, v8 dst_sel:DWORD dst_unused:UNUSED_PAD src0_sel:DWORD src1_sel:BYTE_3
	v_cndmask_b32_e32 v61, v72, v61, vcc_lo
	v_and_b32_e32 v8, 0x80000000, v8
	v_and_b32_e32 v63, 3, v63
	v_lshl_add_u32 v61, v61, 23, 0x37800000
	v_cndmask_b32_e32 v60, v60, v63, vcc_lo
	v_lshlrev_b32_e32 v60, 21, v60
	v_or3_b32 v60, v8, v61, v60
.LBB2_4950:                             ;   in Loop: Header=BB2_4894 Depth=3
	s_or_b32 exec_lo, exec_lo, s73
	v_mul_f32_e32 v8, s72, v60
	v_mov_b32_e32 v90, 0x8000
	s_mov_b32 s73, exec_lo
	v_and_b32_e32 v60, 0x7f800000, v8
	v_cmpx_ne_u32_e32 0x7f800000, v60
	s_cbranch_execz .LBB2_4958
; %bb.4951:                             ;   in Loop: Header=BB2_4894 Depth=3
	v_mov_b32_e32 v90, 0
	s_mov_b32 s74, exec_lo
	v_cmpx_ne_u32_e32 0, v8
	s_cbranch_execz .LBB2_4957
; %bb.4952:                             ;   in Loop: Header=BB2_4894 Depth=3
	v_bfe_u32 v60, v8, 23, 8
	v_and_b32_e32 v61, 0x7fffff, v8
	v_sub_nc_u32_e32 v63, 0x70, v60
	v_cmp_gt_u32_e32 vcc_lo, 0x71, v60
	v_or_b32_e32 v72, 0x800000, v61
	v_cndmask_b32_e32 v63, 0, v63, vcc_lo
	v_cmp_eq_u32_e32 vcc_lo, 0, v60
	v_add_nc_u32_e32 v60, 0xffffff91, v60
	v_cndmask_b32_e64 v63, v63, 0x6f, vcc_lo
	v_cndmask_b32_e32 v61, v72, v61, vcc_lo
	v_cndmask_b32_e64 v60, v60, 0xffffff92, vcc_lo
	v_lshl_add_u32 v72, 0x200000, v63, -1
	v_lshrrev_b32_e32 v73, v63, v61
	v_lshlrev_b32_e64 v76, v63, 0x100000
	v_add_nc_u32_e32 v63, v63, v60
	v_and_b32_e32 v61, v72, v61
	v_bfe_u32 v74, v73, 21, 1
	v_cmp_eq_u32_e64 s17, v61, v76
	v_add_nc_u32_e32 v72, -1, v74
	v_cndmask_b32_e64 v61, 0, v72, s17
	v_lshrrev_b32_e32 v72, 23, v73
	s_mov_b32 s17, exec_lo
	v_add_nc_u32_e32 v61, v61, v73
	v_xor_b32_e32 v72, 1, v72
	v_and_b32_e32 v60, 0x1fffff, v61
	v_add_nc_u32_e32 v61, v60, v73
                                        ; implicit-def: $vgpr60
	v_cmpx_ne_u32_e64 v63, v72
	s_xor_b32 s17, exec_lo, s17
; %bb.4953:                             ;   in Loop: Header=BB2_4894 Depth=3
	v_cmp_lt_u32_e32 vcc_lo, 0xffffff, v61
	v_sub_nc_u32_e32 v60, v63, v72
	v_cndmask_b32_e64 v63, 0, 1, vcc_lo
	v_add_co_ci_u32_e64 v60, null, 0, v60, vcc_lo
	v_lshrrev_b32_e32 v61, v63, v61
; %bb.4954:                             ;   in Loop: Header=BB2_4894 Depth=3
	s_andn2_saveexec_b32 s17, s17
; %bb.4955:                             ;   in Loop: Header=BB2_4894 Depth=3
	v_bfe_u32 v60, v61, 23, 1
; %bb.4956:                             ;   in Loop: Header=BB2_4894 Depth=3
	s_or_b32 exec_lo, exec_lo, s17
	v_lshrrev_b32_e32 v61, 21, v61
	v_min_i32_e32 v63, 31, v60
	v_cmp_gt_i32_e32 vcc_lo, 32, v60
	v_and_b32_sdwa v8, v8, v98 dst_sel:DWORD dst_unused:UNUSED_PAD src0_sel:BYTE_3 src1_sel:DWORD
	v_lshlrev_b32_e32 v63, 2, v63
	v_cndmask_b32_e32 v61, 3, v61, vcc_lo
	v_and_b32_e32 v63, 0xfc, v63
	v_and_b32_e32 v72, 3, v61
	v_or_b32_e32 v60, v60, v61
	v_or3_b32 v8, v8, v63, v72
	v_cmp_ne_u32_e32 vcc_lo, 0, v60
	v_lshlrev_b32_e32 v8, 8, v8
	v_cndmask_b32_e32 v90, 0, v8, vcc_lo
.LBB2_4957:                             ;   in Loop: Header=BB2_4894 Depth=3
	s_or_b32 exec_lo, exec_lo, s74
.LBB2_4958:                             ;   in Loop: Header=BB2_4894 Depth=3
	s_or_b32 exec_lo, exec_lo, s73
	v_cmp_gt_i16_sdwa s73, v9, v97 src0_sel:BYTE_0 src1_sel:DWORD
	s_mov_b32 s17, 0
	s_and_saveexec_b32 s74, s73
	s_xor_b32 s73, exec_lo, s74
	s_cbranch_execz .LBB2_5452
; %bb.4959:                             ;   in Loop: Header=BB2_4894 Depth=3
	v_cmp_eq_u16_sdwa s75, v9, v98 src0_sel:BYTE_0 src1_sel:DWORD
	s_mov_b32 s17, -1
	s_and_saveexec_b32 s74, s75
; %bb.4960:                             ;   in Loop: Header=BB2_4894 Depth=3
	s_xor_b32 s17, exec_lo, -1
; %bb.4961:                             ;   in Loop: Header=BB2_4894 Depth=3
	s_or_b32 exec_lo, exec_lo, s74
	s_and_b32 s17, s17, exec_lo
	s_or_saveexec_b32 s73, s73
	v_mov_b32_e32 v8, 0x7f800001
	s_xor_b32 exec_lo, exec_lo, s73
	s_cbranch_execnz .LBB2_5453
.LBB2_4962:                             ;   in Loop: Header=BB2_4894 Depth=3
	s_or_b32 exec_lo, exec_lo, s73
	s_and_saveexec_b32 s73, s17
	s_cbranch_execz .LBB2_4964
.LBB2_4963:                             ;   in Loop: Header=BB2_4894 Depth=3
	v_and_b32_e32 v8, 3, v9
	v_bfe_u32 v63, v9, 2, 5
	v_lshlrev_b32_e32 v72, 24, v9
	v_ffbh_u32_e32 v60, v8
	v_cmp_eq_u32_e32 vcc_lo, 0, v63
	v_min_u32_e32 v60, 32, v60
	v_subrev_nc_u32_e32 v61, 29, v60
	v_sub_nc_u32_e32 v60, 30, v60
	v_lshlrev_b32_e32 v61, v61, v9
	v_cndmask_b32_e32 v60, v63, v60, vcc_lo
	v_and_b32_e32 v61, 3, v61
	v_lshl_add_u32 v60, v60, 23, 0x37800000
	v_cndmask_b32_e32 v8, v8, v61, vcc_lo
	v_and_b32_e32 v61, 0x80000000, v72
	v_lshlrev_b32_e32 v8, 21, v8
	v_or3_b32 v8, v61, v60, v8
.LBB2_4964:                             ;   in Loop: Header=BB2_4894 Depth=3
	s_or_b32 exec_lo, exec_lo, s73
	v_mul_f32_e32 v8, s72, v8
	v_mov_b32_e32 v79, 0x80
	s_mov_b32 s73, exec_lo
	v_and_b32_e32 v60, 0x7f800000, v8
	v_cmpx_ne_u32_e32 0x7f800000, v60
	s_cbranch_execz .LBB2_4972
; %bb.4965:                             ;   in Loop: Header=BB2_4894 Depth=3
	v_mov_b32_e32 v79, 0
	s_mov_b32 s74, exec_lo
	v_cmpx_ne_u32_e32 0, v8
	s_cbranch_execz .LBB2_4971
; %bb.4966:                             ;   in Loop: Header=BB2_4894 Depth=3
	v_bfe_u32 v60, v8, 23, 8
	v_and_b32_e32 v61, 0x7fffff, v8
	v_sub_nc_u32_e32 v63, 0x70, v60
	v_cmp_gt_u32_e32 vcc_lo, 0x71, v60
	v_or_b32_e32 v72, 0x800000, v61
	v_cndmask_b32_e32 v63, 0, v63, vcc_lo
	v_cmp_eq_u32_e32 vcc_lo, 0, v60
	v_add_nc_u32_e32 v60, 0xffffff91, v60
	v_cndmask_b32_e64 v63, v63, 0x6f, vcc_lo
	v_cndmask_b32_e32 v61, v72, v61, vcc_lo
	v_cndmask_b32_e64 v60, v60, 0xffffff92, vcc_lo
	v_lshl_add_u32 v72, 0x200000, v63, -1
	v_lshrrev_b32_e32 v73, v63, v61
	v_lshlrev_b32_e64 v76, v63, 0x100000
	v_add_nc_u32_e32 v63, v63, v60
	v_and_b32_e32 v61, v72, v61
	v_bfe_u32 v74, v73, 21, 1
	v_cmp_eq_u32_e64 s17, v61, v76
	v_add_nc_u32_e32 v72, -1, v74
	v_cndmask_b32_e64 v61, 0, v72, s17
	v_lshrrev_b32_e32 v72, 23, v73
	s_mov_b32 s17, exec_lo
	v_add_nc_u32_e32 v61, v61, v73
	v_xor_b32_e32 v72, 1, v72
	v_and_b32_e32 v60, 0x1fffff, v61
	v_add_nc_u32_e32 v61, v60, v73
                                        ; implicit-def: $vgpr60
	v_cmpx_ne_u32_e64 v63, v72
	s_xor_b32 s17, exec_lo, s17
; %bb.4967:                             ;   in Loop: Header=BB2_4894 Depth=3
	v_cmp_lt_u32_e32 vcc_lo, 0xffffff, v61
	v_sub_nc_u32_e32 v60, v63, v72
	v_cndmask_b32_e64 v63, 0, 1, vcc_lo
	v_add_co_ci_u32_e64 v60, null, 0, v60, vcc_lo
	v_lshrrev_b32_e32 v61, v63, v61
; %bb.4968:                             ;   in Loop: Header=BB2_4894 Depth=3
	s_andn2_saveexec_b32 s17, s17
; %bb.4969:                             ;   in Loop: Header=BB2_4894 Depth=3
	v_bfe_u32 v60, v61, 23, 1
; %bb.4970:                             ;   in Loop: Header=BB2_4894 Depth=3
	s_or_b32 exec_lo, exec_lo, s17
	v_lshrrev_b32_e32 v61, 21, v61
	v_min_i32_e32 v63, 31, v60
	v_cmp_gt_i32_e32 vcc_lo, 32, v60
	v_and_b32_sdwa v8, v8, v98 dst_sel:DWORD dst_unused:UNUSED_PAD src0_sel:BYTE_3 src1_sel:DWORD
	v_lshlrev_b32_e32 v63, 2, v63
	v_cndmask_b32_e32 v61, 3, v61, vcc_lo
	v_and_b32_e32 v63, 0xfc, v63
	v_and_b32_e32 v72, 3, v61
	v_or_b32_e32 v60, v60, v61
	v_or3_b32 v8, v63, v8, v72
	v_cmp_ne_u32_e32 vcc_lo, 0, v60
	v_cndmask_b32_e32 v79, 0, v8, vcc_lo
.LBB2_4971:                             ;   in Loop: Header=BB2_4894 Depth=3
	s_or_b32 exec_lo, exec_lo, s74
.LBB2_4972:                             ;   in Loop: Header=BB2_4894 Depth=3
	s_or_b32 exec_lo, exec_lo, s73
	v_cmp_gt_i16_sdwa s73, v9, v97 src0_sel:BYTE_1 src1_sel:DWORD
	s_mov_b32 s17, 0
	s_and_saveexec_b32 s74, s73
	s_xor_b32 s73, exec_lo, s74
	s_cbranch_execz .LBB2_5454
; %bb.4973:                             ;   in Loop: Header=BB2_4894 Depth=3
	v_cmp_eq_u16_sdwa s75, v9, v98 src0_sel:BYTE_1 src1_sel:DWORD
	s_mov_b32 s17, -1
	s_and_saveexec_b32 s74, s75
; %bb.4974:                             ;   in Loop: Header=BB2_4894 Depth=3
	s_xor_b32 s17, exec_lo, -1
; %bb.4975:                             ;   in Loop: Header=BB2_4894 Depth=3
	s_or_b32 exec_lo, exec_lo, s74
	s_and_b32 s17, s17, exec_lo
	s_or_saveexec_b32 s73, s73
	v_mov_b32_e32 v8, 0x7f800001
	s_xor_b32 exec_lo, exec_lo, s73
	s_cbranch_execnz .LBB2_5455
.LBB2_4976:                             ;   in Loop: Header=BB2_4894 Depth=3
	s_or_b32 exec_lo, exec_lo, s73
	s_and_saveexec_b32 s73, s17
	s_cbranch_execz .LBB2_4978
.LBB2_4977:                             ;   in Loop: Header=BB2_4894 Depth=3
	v_and_b32_sdwa v8, v99, v9 dst_sel:DWORD dst_unused:UNUSED_PAD src0_sel:DWORD src1_sel:BYTE_1
	v_and_b32_e32 v60, 3, v8
	v_bfe_u32 v72, v8, 2, 5
	v_ffbh_u32_e32 v61, v60
	v_cmp_eq_u32_e32 vcc_lo, 0, v72
	v_min_u32_e32 v61, 32, v61
	v_subrev_nc_u32_e32 v63, 29, v61
	v_sub_nc_u32_e32 v61, 30, v61
	v_lshlrev_b32_e32 v8, v63, v8
	v_lshlrev_b32_sdwa v63, v100, v9 dst_sel:DWORD dst_unused:UNUSED_PAD src0_sel:DWORD src1_sel:BYTE_1
	v_cndmask_b32_e32 v61, v72, v61, vcc_lo
	v_and_b32_e32 v8, 3, v8
	v_lshl_add_u32 v61, v61, 23, 0x37800000
	v_cndmask_b32_e32 v8, v60, v8, vcc_lo
	v_and_b32_e32 v60, 0x80000000, v63
	v_lshlrev_b32_e32 v8, 21, v8
	v_or3_b32 v8, v60, v61, v8
.LBB2_4978:                             ;   in Loop: Header=BB2_4894 Depth=3
	s_or_b32 exec_lo, exec_lo, s73
	v_mul_f32_e32 v8, s72, v8
	v_mov_b32_e32 v89, 0x8000
	s_mov_b32 s73, exec_lo
	v_and_b32_e32 v60, 0x7f800000, v8
	v_cmpx_ne_u32_e32 0x7f800000, v60
	s_cbranch_execz .LBB2_4986
; %bb.4979:                             ;   in Loop: Header=BB2_4894 Depth=3
	v_mov_b32_e32 v89, 0
	s_mov_b32 s74, exec_lo
	v_cmpx_ne_u32_e32 0, v8
	s_cbranch_execz .LBB2_4985
; %bb.4980:                             ;   in Loop: Header=BB2_4894 Depth=3
	v_bfe_u32 v60, v8, 23, 8
	v_and_b32_e32 v61, 0x7fffff, v8
	v_sub_nc_u32_e32 v63, 0x70, v60
	v_cmp_gt_u32_e32 vcc_lo, 0x71, v60
	v_or_b32_e32 v72, 0x800000, v61
	v_cndmask_b32_e32 v63, 0, v63, vcc_lo
	v_cmp_eq_u32_e32 vcc_lo, 0, v60
	v_add_nc_u32_e32 v60, 0xffffff91, v60
	v_cndmask_b32_e64 v63, v63, 0x6f, vcc_lo
	v_cndmask_b32_e32 v61, v72, v61, vcc_lo
	v_cndmask_b32_e64 v60, v60, 0xffffff92, vcc_lo
	v_lshl_add_u32 v72, 0x200000, v63, -1
	v_lshrrev_b32_e32 v73, v63, v61
	v_lshlrev_b32_e64 v76, v63, 0x100000
	v_add_nc_u32_e32 v63, v63, v60
	v_and_b32_e32 v61, v72, v61
	v_bfe_u32 v74, v73, 21, 1
	v_cmp_eq_u32_e64 s17, v61, v76
	v_add_nc_u32_e32 v72, -1, v74
	v_cndmask_b32_e64 v61, 0, v72, s17
	v_lshrrev_b32_e32 v72, 23, v73
	s_mov_b32 s17, exec_lo
	v_add_nc_u32_e32 v61, v61, v73
	v_xor_b32_e32 v72, 1, v72
	v_and_b32_e32 v60, 0x1fffff, v61
	v_add_nc_u32_e32 v61, v60, v73
                                        ; implicit-def: $vgpr60
	v_cmpx_ne_u32_e64 v63, v72
	s_xor_b32 s17, exec_lo, s17
; %bb.4981:                             ;   in Loop: Header=BB2_4894 Depth=3
	v_cmp_lt_u32_e32 vcc_lo, 0xffffff, v61
	v_sub_nc_u32_e32 v60, v63, v72
	v_cndmask_b32_e64 v63, 0, 1, vcc_lo
	v_add_co_ci_u32_e64 v60, null, 0, v60, vcc_lo
	v_lshrrev_b32_e32 v61, v63, v61
; %bb.4982:                             ;   in Loop: Header=BB2_4894 Depth=3
	s_andn2_saveexec_b32 s17, s17
; %bb.4983:                             ;   in Loop: Header=BB2_4894 Depth=3
	v_bfe_u32 v60, v61, 23, 1
; %bb.4984:                             ;   in Loop: Header=BB2_4894 Depth=3
	s_or_b32 exec_lo, exec_lo, s17
	v_lshrrev_b32_e32 v61, 21, v61
	v_min_i32_e32 v63, 31, v60
	v_cmp_gt_i32_e32 vcc_lo, 32, v60
	v_and_b32_sdwa v8, v8, v98 dst_sel:DWORD dst_unused:UNUSED_PAD src0_sel:BYTE_3 src1_sel:DWORD
	v_lshlrev_b32_e32 v63, 2, v63
	v_cndmask_b32_e32 v61, 3, v61, vcc_lo
	v_and_b32_e32 v63, 0xfc, v63
	v_and_b32_e32 v72, 3, v61
	v_or_b32_e32 v60, v60, v61
	v_or3_b32 v8, v8, v63, v72
	v_cmp_ne_u32_e32 vcc_lo, 0, v60
	v_lshlrev_b32_e32 v8, 8, v8
	v_cndmask_b32_e32 v89, 0, v8, vcc_lo
.LBB2_4985:                             ;   in Loop: Header=BB2_4894 Depth=3
	s_or_b32 exec_lo, exec_lo, s74
.LBB2_4986:                             ;   in Loop: Header=BB2_4894 Depth=3
	s_or_b32 exec_lo, exec_lo, s73
	v_and_b32_sdwa v60, v9, v101 dst_sel:DWORD dst_unused:UNUSED_PAD src0_sel:WORD_1 src1_sel:DWORD
	s_mov_b32 s17, 0
	s_mov_b32 s73, exec_lo
	v_cmpx_lt_i16_e32 0x7f, v60
	s_xor_b32 s73, exec_lo, s73
	s_cbranch_execz .LBB2_5456
; %bb.4987:                             ;   in Loop: Header=BB2_4894 Depth=3
	s_mov_b32 s17, -1
	s_mov_b32 s74, exec_lo
	v_cmpx_eq_u16_e32 0x80, v60
; %bb.4988:                             ;   in Loop: Header=BB2_4894 Depth=3
	s_xor_b32 s17, exec_lo, -1
; %bb.4989:                             ;   in Loop: Header=BB2_4894 Depth=3
	s_or_b32 exec_lo, exec_lo, s74
	s_and_b32 s17, s17, exec_lo
                                        ; implicit-def: $vgpr60
	s_or_saveexec_b32 s73, s73
	v_mov_b32_e32 v8, 0x7f800001
	s_xor_b32 exec_lo, exec_lo, s73
	s_cbranch_execnz .LBB2_5457
.LBB2_4990:                             ;   in Loop: Header=BB2_4894 Depth=3
	s_or_b32 exec_lo, exec_lo, s73
	s_and_saveexec_b32 s73, s17
	s_cbranch_execz .LBB2_4992
.LBB2_4991:                             ;   in Loop: Header=BB2_4894 Depth=3
	v_bfe_u32 v8, v9, 16, 2
	v_bfe_u32 v63, v9, 18, 5
	v_lshlrev_b32_e32 v72, 8, v9
	v_ffbh_u32_e32 v60, v8
	v_cmp_eq_u32_e32 vcc_lo, 0, v63
	v_min_u32_e32 v60, 32, v60
	v_subrev_nc_u32_e32 v61, 29, v60
	v_sub_nc_u32_e32 v60, 30, v60
	v_lshlrev_b32_sdwa v61, v61, v9 dst_sel:DWORD dst_unused:UNUSED_PAD src0_sel:DWORD src1_sel:WORD_1
	v_cndmask_b32_e32 v60, v63, v60, vcc_lo
	v_and_b32_e32 v61, 3, v61
	v_lshl_add_u32 v60, v60, 23, 0x37800000
	v_cndmask_b32_e32 v8, v8, v61, vcc_lo
	v_and_b32_e32 v61, 0x80000000, v72
	v_lshlrev_b32_e32 v8, 21, v8
	v_or3_b32 v8, v61, v60, v8
.LBB2_4992:                             ;   in Loop: Header=BB2_4894 Depth=3
	s_or_b32 exec_lo, exec_lo, s73
	v_mul_f32_e32 v8, s72, v8
	v_mov_b32_e32 v77, 0x80
	s_mov_b32 s73, exec_lo
	v_and_b32_e32 v60, 0x7f800000, v8
	v_cmpx_ne_u32_e32 0x7f800000, v60
	s_cbranch_execz .LBB2_5000
; %bb.4993:                             ;   in Loop: Header=BB2_4894 Depth=3
	v_mov_b32_e32 v77, 0
	s_mov_b32 s74, exec_lo
	v_cmpx_ne_u32_e32 0, v8
	s_cbranch_execz .LBB2_4999
; %bb.4994:                             ;   in Loop: Header=BB2_4894 Depth=3
	v_bfe_u32 v60, v8, 23, 8
	v_and_b32_e32 v61, 0x7fffff, v8
	v_sub_nc_u32_e32 v63, 0x70, v60
	v_cmp_gt_u32_e32 vcc_lo, 0x71, v60
	v_or_b32_e32 v72, 0x800000, v61
	v_cndmask_b32_e32 v63, 0, v63, vcc_lo
	v_cmp_eq_u32_e32 vcc_lo, 0, v60
	v_add_nc_u32_e32 v60, 0xffffff91, v60
	v_cndmask_b32_e64 v63, v63, 0x6f, vcc_lo
	v_cndmask_b32_e32 v61, v72, v61, vcc_lo
	v_cndmask_b32_e64 v60, v60, 0xffffff92, vcc_lo
	v_lshl_add_u32 v72, 0x200000, v63, -1
	v_lshrrev_b32_e32 v73, v63, v61
	v_lshlrev_b32_e64 v76, v63, 0x100000
	v_add_nc_u32_e32 v63, v63, v60
	v_and_b32_e32 v61, v72, v61
	v_bfe_u32 v74, v73, 21, 1
	v_cmp_eq_u32_e64 s17, v61, v76
	v_add_nc_u32_e32 v72, -1, v74
	v_cndmask_b32_e64 v61, 0, v72, s17
	v_lshrrev_b32_e32 v72, 23, v73
	s_mov_b32 s17, exec_lo
	v_add_nc_u32_e32 v61, v61, v73
	v_xor_b32_e32 v72, 1, v72
	v_and_b32_e32 v60, 0x1fffff, v61
	v_add_nc_u32_e32 v61, v60, v73
                                        ; implicit-def: $vgpr60
	v_cmpx_ne_u32_e64 v63, v72
	s_xor_b32 s17, exec_lo, s17
; %bb.4995:                             ;   in Loop: Header=BB2_4894 Depth=3
	v_cmp_lt_u32_e32 vcc_lo, 0xffffff, v61
	v_sub_nc_u32_e32 v60, v63, v72
	v_cndmask_b32_e64 v63, 0, 1, vcc_lo
	v_add_co_ci_u32_e64 v60, null, 0, v60, vcc_lo
	v_lshrrev_b32_e32 v61, v63, v61
; %bb.4996:                             ;   in Loop: Header=BB2_4894 Depth=3
	s_andn2_saveexec_b32 s17, s17
; %bb.4997:                             ;   in Loop: Header=BB2_4894 Depth=3
	v_bfe_u32 v60, v61, 23, 1
; %bb.4998:                             ;   in Loop: Header=BB2_4894 Depth=3
	s_or_b32 exec_lo, exec_lo, s17
	v_lshrrev_b32_e32 v61, 21, v61
	v_min_i32_e32 v63, 31, v60
	v_cmp_gt_i32_e32 vcc_lo, 32, v60
	v_and_b32_sdwa v8, v8, v98 dst_sel:DWORD dst_unused:UNUSED_PAD src0_sel:BYTE_3 src1_sel:DWORD
	v_lshlrev_b32_e32 v63, 2, v63
	v_cndmask_b32_e32 v61, 3, v61, vcc_lo
	v_and_b32_e32 v63, 0xfc, v63
	v_and_b32_e32 v72, 3, v61
	v_or_b32_e32 v60, v60, v61
	v_or3_b32 v8, v63, v8, v72
	v_cmp_ne_u32_e32 vcc_lo, 0, v60
	v_cndmask_b32_e32 v77, 0, v8, vcc_lo
.LBB2_4999:                             ;   in Loop: Header=BB2_4894 Depth=3
	s_or_b32 exec_lo, exec_lo, s74
.LBB2_5000:                             ;   in Loop: Header=BB2_4894 Depth=3
	s_or_b32 exec_lo, exec_lo, s73
	v_cmp_gt_i16_sdwa s73, v9, v97 src0_sel:BYTE_3 src1_sel:DWORD
	s_mov_b32 s17, 0
	s_and_saveexec_b32 s74, s73
	s_xor_b32 s73, exec_lo, s74
	s_cbranch_execz .LBB2_5458
; %bb.5001:                             ;   in Loop: Header=BB2_4894 Depth=3
	v_cmp_eq_u16_sdwa s75, v9, v98 src0_sel:BYTE_3 src1_sel:DWORD
	s_mov_b32 s17, -1
	s_and_saveexec_b32 s74, s75
; %bb.5002:                             ;   in Loop: Header=BB2_4894 Depth=3
	s_xor_b32 s17, exec_lo, -1
; %bb.5003:                             ;   in Loop: Header=BB2_4894 Depth=3
	s_or_b32 exec_lo, exec_lo, s74
	s_and_b32 s17, s17, exec_lo
	s_or_saveexec_b32 s73, s73
	v_mov_b32_e32 v8, 0x7f800001
	s_xor_b32 exec_lo, exec_lo, s73
	s_cbranch_execnz .LBB2_5459
.LBB2_5004:                             ;   in Loop: Header=BB2_4894 Depth=3
	s_or_b32 exec_lo, exec_lo, s73
	s_and_saveexec_b32 s73, s17
	s_cbranch_execz .LBB2_5006
.LBB2_5005:                             ;   in Loop: Header=BB2_4894 Depth=3
	v_bfe_u32 v8, v9, 24, 2
	v_bfe_u32 v63, v9, 26, 5
	v_ffbh_u32_e32 v60, v8
	v_cmp_eq_u32_e32 vcc_lo, 0, v63
	v_min_u32_e32 v60, 32, v60
	v_subrev_nc_u32_e32 v61, 29, v60
	v_sub_nc_u32_e32 v60, 30, v60
	v_lshlrev_b32_sdwa v61, v61, v9 dst_sel:DWORD dst_unused:UNUSED_PAD src0_sel:DWORD src1_sel:BYTE_3
	v_cndmask_b32_e32 v60, v63, v60, vcc_lo
	v_and_b32_e32 v9, 0x80000000, v9
	v_and_b32_e32 v61, 3, v61
	v_lshl_add_u32 v60, v60, 23, 0x37800000
	v_cndmask_b32_e32 v8, v8, v61, vcc_lo
	v_lshlrev_b32_e32 v8, 21, v8
	v_or3_b32 v8, v9, v60, v8
.LBB2_5006:                             ;   in Loop: Header=BB2_4894 Depth=3
	s_or_b32 exec_lo, exec_lo, s73
	v_mul_f32_e32 v8, s72, v8
	v_mov_b32_e32 v88, 0x8000
	s_mov_b32 s73, exec_lo
	v_and_b32_e32 v9, 0x7f800000, v8
	v_cmpx_ne_u32_e32 0x7f800000, v9
	s_cbranch_execz .LBB2_5014
; %bb.5007:                             ;   in Loop: Header=BB2_4894 Depth=3
	v_mov_b32_e32 v88, 0
	s_mov_b32 s74, exec_lo
	v_cmpx_ne_u32_e32 0, v8
	s_cbranch_execz .LBB2_5013
; %bb.5008:                             ;   in Loop: Header=BB2_4894 Depth=3
	v_bfe_u32 v9, v8, 23, 8
	v_and_b32_e32 v60, 0x7fffff, v8
	v_sub_nc_u32_e32 v61, 0x70, v9
	v_cmp_gt_u32_e32 vcc_lo, 0x71, v9
	v_or_b32_e32 v63, 0x800000, v60
	v_cndmask_b32_e32 v61, 0, v61, vcc_lo
	v_cmp_eq_u32_e32 vcc_lo, 0, v9
	v_add_nc_u32_e32 v9, 0xffffff91, v9
	v_cndmask_b32_e64 v61, v61, 0x6f, vcc_lo
	v_cndmask_b32_e32 v60, v63, v60, vcc_lo
	v_cndmask_b32_e64 v9, v9, 0xffffff92, vcc_lo
	v_lshl_add_u32 v63, 0x200000, v61, -1
	v_lshrrev_b32_e32 v72, v61, v60
	v_lshlrev_b32_e64 v74, v61, 0x100000
	v_add_nc_u32_e32 v61, v61, v9
	v_and_b32_e32 v60, v63, v60
	v_bfe_u32 v73, v72, 21, 1
	v_cmp_eq_u32_e64 s17, v60, v74
	v_add_nc_u32_e32 v63, -1, v73
	v_cndmask_b32_e64 v60, 0, v63, s17
	v_lshrrev_b32_e32 v63, 23, v72
	s_mov_b32 s17, exec_lo
	v_add_nc_u32_e32 v60, v60, v72
	v_xor_b32_e32 v63, 1, v63
	v_and_b32_e32 v9, 0x1fffff, v60
	v_add_nc_u32_e32 v60, v9, v72
                                        ; implicit-def: $vgpr9
	v_cmpx_ne_u32_e64 v61, v63
	s_xor_b32 s17, exec_lo, s17
; %bb.5009:                             ;   in Loop: Header=BB2_4894 Depth=3
	v_cmp_lt_u32_e32 vcc_lo, 0xffffff, v60
	v_sub_nc_u32_e32 v9, v61, v63
	v_cndmask_b32_e64 v61, 0, 1, vcc_lo
	v_add_co_ci_u32_e64 v9, null, 0, v9, vcc_lo
	v_lshrrev_b32_e32 v60, v61, v60
; %bb.5010:                             ;   in Loop: Header=BB2_4894 Depth=3
	s_andn2_saveexec_b32 s17, s17
; %bb.5011:                             ;   in Loop: Header=BB2_4894 Depth=3
	v_bfe_u32 v9, v60, 23, 1
; %bb.5012:                             ;   in Loop: Header=BB2_4894 Depth=3
	s_or_b32 exec_lo, exec_lo, s17
	v_lshrrev_b32_e32 v60, 21, v60
	v_min_i32_e32 v61, 31, v9
	v_cmp_gt_i32_e32 vcc_lo, 32, v9
	v_and_b32_sdwa v8, v8, v98 dst_sel:DWORD dst_unused:UNUSED_PAD src0_sel:BYTE_3 src1_sel:DWORD
	v_lshlrev_b32_e32 v61, 2, v61
	v_cndmask_b32_e32 v60, 3, v60, vcc_lo
	v_and_b32_e32 v61, 0xfc, v61
	v_and_b32_e32 v63, 3, v60
	v_or_b32_e32 v9, v9, v60
	v_or3_b32 v8, v8, v61, v63
	v_cmp_ne_u32_e32 vcc_lo, 0, v9
	v_lshlrev_b32_e32 v8, 8, v8
	v_cndmask_b32_e32 v88, 0, v8, vcc_lo
.LBB2_5013:                             ;   in Loop: Header=BB2_4894 Depth=3
	s_or_b32 exec_lo, exec_lo, s74
.LBB2_5014:                             ;   in Loop: Header=BB2_4894 Depth=3
	s_or_b32 exec_lo, exec_lo, s73
	v_cmp_gt_i16_sdwa s73, v10, v97 src0_sel:BYTE_0 src1_sel:DWORD
	s_mov_b32 s17, 0
	s_and_saveexec_b32 s74, s73
	s_xor_b32 s73, exec_lo, s74
	s_cbranch_execz .LBB2_5460
; %bb.5015:                             ;   in Loop: Header=BB2_4894 Depth=3
	v_cmp_eq_u16_sdwa s75, v10, v98 src0_sel:BYTE_0 src1_sel:DWORD
	s_mov_b32 s17, -1
	s_and_saveexec_b32 s74, s75
; %bb.5016:                             ;   in Loop: Header=BB2_4894 Depth=3
	s_xor_b32 s17, exec_lo, -1
; %bb.5017:                             ;   in Loop: Header=BB2_4894 Depth=3
	s_or_b32 exec_lo, exec_lo, s74
	s_and_b32 s17, s17, exec_lo
	s_or_saveexec_b32 s73, s73
	v_mov_b32_e32 v8, 0x7f800001
	s_xor_b32 exec_lo, exec_lo, s73
	s_cbranch_execnz .LBB2_5461
.LBB2_5018:                             ;   in Loop: Header=BB2_4894 Depth=3
	s_or_b32 exec_lo, exec_lo, s73
	s_and_saveexec_b32 s73, s17
	s_cbranch_execz .LBB2_5020
.LBB2_5019:                             ;   in Loop: Header=BB2_4894 Depth=3
	v_and_b32_e32 v8, 3, v10
	v_bfe_u32 v61, v10, 2, 5
	v_lshlrev_b32_e32 v63, 24, v10
	v_ffbh_u32_e32 v9, v8
	v_cmp_eq_u32_e32 vcc_lo, 0, v61
	v_min_u32_e32 v9, 32, v9
	v_subrev_nc_u32_e32 v60, 29, v9
	v_sub_nc_u32_e32 v9, 30, v9
	v_lshlrev_b32_e32 v60, v60, v10
	v_cndmask_b32_e32 v9, v61, v9, vcc_lo
	v_and_b32_e32 v60, 3, v60
	v_lshl_add_u32 v9, v9, 23, 0x37800000
	v_cndmask_b32_e32 v8, v8, v60, vcc_lo
	v_and_b32_e32 v60, 0x80000000, v63
	v_lshlrev_b32_e32 v8, 21, v8
	v_or3_b32 v8, v60, v9, v8
.LBB2_5020:                             ;   in Loop: Header=BB2_4894 Depth=3
	s_or_b32 exec_lo, exec_lo, s73
	v_mul_f32_e32 v8, s72, v8
	v_mov_b32_e32 v74, 0x80
	s_mov_b32 s73, exec_lo
	v_and_b32_e32 v9, 0x7f800000, v8
	v_cmpx_ne_u32_e32 0x7f800000, v9
	s_cbranch_execz .LBB2_5028
; %bb.5021:                             ;   in Loop: Header=BB2_4894 Depth=3
	v_mov_b32_e32 v74, 0
	s_mov_b32 s74, exec_lo
	v_cmpx_ne_u32_e32 0, v8
	s_cbranch_execz .LBB2_5027
; %bb.5022:                             ;   in Loop: Header=BB2_4894 Depth=3
	v_bfe_u32 v9, v8, 23, 8
	v_and_b32_e32 v60, 0x7fffff, v8
	v_sub_nc_u32_e32 v61, 0x70, v9
	v_cmp_gt_u32_e32 vcc_lo, 0x71, v9
	v_or_b32_e32 v63, 0x800000, v60
	v_cndmask_b32_e32 v61, 0, v61, vcc_lo
	v_cmp_eq_u32_e32 vcc_lo, 0, v9
	v_add_nc_u32_e32 v9, 0xffffff91, v9
	v_cndmask_b32_e64 v61, v61, 0x6f, vcc_lo
	v_cndmask_b32_e32 v60, v63, v60, vcc_lo
	v_cndmask_b32_e64 v9, v9, 0xffffff92, vcc_lo
	v_lshl_add_u32 v63, 0x200000, v61, -1
	v_lshrrev_b32_e32 v72, v61, v60
	v_lshlrev_b32_e64 v74, v61, 0x100000
	v_add_nc_u32_e32 v61, v61, v9
	v_and_b32_e32 v60, v63, v60
	v_bfe_u32 v73, v72, 21, 1
	v_cmp_eq_u32_e64 s17, v60, v74
	v_add_nc_u32_e32 v63, -1, v73
	v_cndmask_b32_e64 v60, 0, v63, s17
	v_lshrrev_b32_e32 v63, 23, v72
	s_mov_b32 s17, exec_lo
	v_add_nc_u32_e32 v60, v60, v72
	v_xor_b32_e32 v63, 1, v63
	v_and_b32_e32 v9, 0x1fffff, v60
	v_add_nc_u32_e32 v60, v9, v72
                                        ; implicit-def: $vgpr9
	v_cmpx_ne_u32_e64 v61, v63
	s_xor_b32 s17, exec_lo, s17
; %bb.5023:                             ;   in Loop: Header=BB2_4894 Depth=3
	v_cmp_lt_u32_e32 vcc_lo, 0xffffff, v60
	v_sub_nc_u32_e32 v9, v61, v63
	v_cndmask_b32_e64 v61, 0, 1, vcc_lo
	v_add_co_ci_u32_e64 v9, null, 0, v9, vcc_lo
	v_lshrrev_b32_e32 v60, v61, v60
; %bb.5024:                             ;   in Loop: Header=BB2_4894 Depth=3
	s_andn2_saveexec_b32 s17, s17
; %bb.5025:                             ;   in Loop: Header=BB2_4894 Depth=3
	v_bfe_u32 v9, v60, 23, 1
; %bb.5026:                             ;   in Loop: Header=BB2_4894 Depth=3
	s_or_b32 exec_lo, exec_lo, s17
	v_lshrrev_b32_e32 v60, 21, v60
	v_min_i32_e32 v61, 31, v9
	v_cmp_gt_i32_e32 vcc_lo, 32, v9
	v_and_b32_sdwa v8, v8, v98 dst_sel:DWORD dst_unused:UNUSED_PAD src0_sel:BYTE_3 src1_sel:DWORD
	v_lshlrev_b32_e32 v61, 2, v61
	v_cndmask_b32_e32 v60, 3, v60, vcc_lo
	v_and_b32_e32 v61, 0xfc, v61
	v_and_b32_e32 v63, 3, v60
	v_or_b32_e32 v9, v9, v60
	v_or3_b32 v8, v61, v8, v63
	v_cmp_ne_u32_e32 vcc_lo, 0, v9
	v_cndmask_b32_e32 v74, 0, v8, vcc_lo
.LBB2_5027:                             ;   in Loop: Header=BB2_4894 Depth=3
	s_or_b32 exec_lo, exec_lo, s74
.LBB2_5028:                             ;   in Loop: Header=BB2_4894 Depth=3
	s_or_b32 exec_lo, exec_lo, s73
	v_cmp_gt_i16_sdwa s73, v10, v97 src0_sel:BYTE_1 src1_sel:DWORD
	s_mov_b32 s17, 0
	s_and_saveexec_b32 s74, s73
	s_xor_b32 s73, exec_lo, s74
	s_cbranch_execz .LBB2_5462
; %bb.5029:                             ;   in Loop: Header=BB2_4894 Depth=3
	v_cmp_eq_u16_sdwa s75, v10, v98 src0_sel:BYTE_1 src1_sel:DWORD
	s_mov_b32 s17, -1
	s_and_saveexec_b32 s74, s75
; %bb.5030:                             ;   in Loop: Header=BB2_4894 Depth=3
	s_xor_b32 s17, exec_lo, -1
; %bb.5031:                             ;   in Loop: Header=BB2_4894 Depth=3
	s_or_b32 exec_lo, exec_lo, s74
	s_and_b32 s17, s17, exec_lo
	s_or_saveexec_b32 s73, s73
	v_mov_b32_e32 v8, 0x7f800001
	s_xor_b32 exec_lo, exec_lo, s73
	s_cbranch_execnz .LBB2_5463
.LBB2_5032:                             ;   in Loop: Header=BB2_4894 Depth=3
	s_or_b32 exec_lo, exec_lo, s73
	s_and_saveexec_b32 s73, s17
	s_cbranch_execz .LBB2_5034
.LBB2_5033:                             ;   in Loop: Header=BB2_4894 Depth=3
	v_and_b32_sdwa v8, v99, v10 dst_sel:DWORD dst_unused:UNUSED_PAD src0_sel:DWORD src1_sel:BYTE_1
	v_and_b32_e32 v9, 3, v8
	v_bfe_u32 v63, v8, 2, 5
	v_ffbh_u32_e32 v60, v9
	v_cmp_eq_u32_e32 vcc_lo, 0, v63
	v_min_u32_e32 v60, 32, v60
	v_subrev_nc_u32_e32 v61, 29, v60
	v_sub_nc_u32_e32 v60, 30, v60
	v_lshlrev_b32_e32 v8, v61, v8
	v_lshlrev_b32_sdwa v61, v100, v10 dst_sel:DWORD dst_unused:UNUSED_PAD src0_sel:DWORD src1_sel:BYTE_1
	v_cndmask_b32_e32 v60, v63, v60, vcc_lo
	v_and_b32_e32 v8, 3, v8
	v_lshl_add_u32 v60, v60, 23, 0x37800000
	v_cndmask_b32_e32 v8, v9, v8, vcc_lo
	v_and_b32_e32 v9, 0x80000000, v61
	v_lshlrev_b32_e32 v8, 21, v8
	v_or3_b32 v8, v9, v60, v8
.LBB2_5034:                             ;   in Loop: Header=BB2_4894 Depth=3
	s_or_b32 exec_lo, exec_lo, s73
	v_mul_f32_e32 v8, s72, v8
	v_mov_b32_e32 v78, 0x8000
	s_mov_b32 s73, exec_lo
	v_and_b32_e32 v9, 0x7f800000, v8
	v_cmpx_ne_u32_e32 0x7f800000, v9
	s_cbranch_execz .LBB2_5042
; %bb.5035:                             ;   in Loop: Header=BB2_4894 Depth=3
	v_mov_b32_e32 v78, 0
	s_mov_b32 s74, exec_lo
	v_cmpx_ne_u32_e32 0, v8
	s_cbranch_execz .LBB2_5041
; %bb.5036:                             ;   in Loop: Header=BB2_4894 Depth=3
	v_bfe_u32 v9, v8, 23, 8
	v_and_b32_e32 v60, 0x7fffff, v8
	v_sub_nc_u32_e32 v61, 0x70, v9
	v_cmp_gt_u32_e32 vcc_lo, 0x71, v9
	v_or_b32_e32 v63, 0x800000, v60
	v_cndmask_b32_e32 v61, 0, v61, vcc_lo
	v_cmp_eq_u32_e32 vcc_lo, 0, v9
	v_add_nc_u32_e32 v9, 0xffffff91, v9
	v_cndmask_b32_e64 v61, v61, 0x6f, vcc_lo
	v_cndmask_b32_e32 v60, v63, v60, vcc_lo
	v_cndmask_b32_e64 v9, v9, 0xffffff92, vcc_lo
	v_lshl_add_u32 v63, 0x200000, v61, -1
	v_lshrrev_b32_e32 v72, v61, v60
	v_lshlrev_b32_e64 v76, v61, 0x100000
	v_add_nc_u32_e32 v61, v61, v9
	v_and_b32_e32 v60, v63, v60
	v_bfe_u32 v73, v72, 21, 1
	v_cmp_eq_u32_e64 s17, v60, v76
	v_add_nc_u32_e32 v63, -1, v73
	v_cndmask_b32_e64 v60, 0, v63, s17
	v_lshrrev_b32_e32 v63, 23, v72
	s_mov_b32 s17, exec_lo
	v_add_nc_u32_e32 v60, v60, v72
	v_xor_b32_e32 v63, 1, v63
	v_and_b32_e32 v9, 0x1fffff, v60
	v_add_nc_u32_e32 v60, v9, v72
                                        ; implicit-def: $vgpr9
	v_cmpx_ne_u32_e64 v61, v63
	s_xor_b32 s17, exec_lo, s17
; %bb.5037:                             ;   in Loop: Header=BB2_4894 Depth=3
	v_cmp_lt_u32_e32 vcc_lo, 0xffffff, v60
	v_sub_nc_u32_e32 v9, v61, v63
	v_cndmask_b32_e64 v61, 0, 1, vcc_lo
	v_add_co_ci_u32_e64 v9, null, 0, v9, vcc_lo
	v_lshrrev_b32_e32 v60, v61, v60
; %bb.5038:                             ;   in Loop: Header=BB2_4894 Depth=3
	s_andn2_saveexec_b32 s17, s17
; %bb.5039:                             ;   in Loop: Header=BB2_4894 Depth=3
	v_bfe_u32 v9, v60, 23, 1
; %bb.5040:                             ;   in Loop: Header=BB2_4894 Depth=3
	s_or_b32 exec_lo, exec_lo, s17
	v_lshrrev_b32_e32 v60, 21, v60
	v_min_i32_e32 v61, 31, v9
	v_cmp_gt_i32_e32 vcc_lo, 32, v9
	v_and_b32_sdwa v8, v8, v98 dst_sel:DWORD dst_unused:UNUSED_PAD src0_sel:BYTE_3 src1_sel:DWORD
	v_lshlrev_b32_e32 v61, 2, v61
	v_cndmask_b32_e32 v60, 3, v60, vcc_lo
	v_and_b32_e32 v61, 0xfc, v61
	v_and_b32_e32 v63, 3, v60
	v_or_b32_e32 v9, v9, v60
	v_or3_b32 v8, v8, v61, v63
	v_cmp_ne_u32_e32 vcc_lo, 0, v9
	v_lshlrev_b32_e32 v8, 8, v8
	v_cndmask_b32_e32 v78, 0, v8, vcc_lo
.LBB2_5041:                             ;   in Loop: Header=BB2_4894 Depth=3
	s_or_b32 exec_lo, exec_lo, s74
.LBB2_5042:                             ;   in Loop: Header=BB2_4894 Depth=3
	s_or_b32 exec_lo, exec_lo, s73
	v_and_b32_sdwa v9, v10, v101 dst_sel:DWORD dst_unused:UNUSED_PAD src0_sel:WORD_1 src1_sel:DWORD
	s_mov_b32 s17, 0
	s_mov_b32 s73, exec_lo
	v_cmpx_lt_i16_e32 0x7f, v9
	s_xor_b32 s73, exec_lo, s73
	s_cbranch_execz .LBB2_5464
; %bb.5043:                             ;   in Loop: Header=BB2_4894 Depth=3
	s_mov_b32 s17, -1
	s_mov_b32 s74, exec_lo
	v_cmpx_eq_u16_e32 0x80, v9
; %bb.5044:                             ;   in Loop: Header=BB2_4894 Depth=3
	s_xor_b32 s17, exec_lo, -1
; %bb.5045:                             ;   in Loop: Header=BB2_4894 Depth=3
	s_or_b32 exec_lo, exec_lo, s74
	s_and_b32 s17, s17, exec_lo
                                        ; implicit-def: $vgpr9
	s_or_saveexec_b32 s73, s73
	v_mov_b32_e32 v8, 0x7f800001
	s_xor_b32 exec_lo, exec_lo, s73
	s_cbranch_execnz .LBB2_5465
.LBB2_5046:                             ;   in Loop: Header=BB2_4894 Depth=3
	s_or_b32 exec_lo, exec_lo, s73
	s_and_saveexec_b32 s73, s17
	s_cbranch_execz .LBB2_5048
.LBB2_5047:                             ;   in Loop: Header=BB2_4894 Depth=3
	v_bfe_u32 v8, v10, 16, 2
	v_bfe_u32 v61, v10, 18, 5
	v_lshlrev_b32_e32 v63, 8, v10
	v_ffbh_u32_e32 v9, v8
	v_cmp_eq_u32_e32 vcc_lo, 0, v61
	v_min_u32_e32 v9, 32, v9
	v_subrev_nc_u32_e32 v60, 29, v9
	v_sub_nc_u32_e32 v9, 30, v9
	v_lshlrev_b32_sdwa v60, v60, v10 dst_sel:DWORD dst_unused:UNUSED_PAD src0_sel:DWORD src1_sel:WORD_1
	v_cndmask_b32_e32 v9, v61, v9, vcc_lo
	v_and_b32_e32 v60, 3, v60
	v_lshl_add_u32 v9, v9, 23, 0x37800000
	v_cndmask_b32_e32 v8, v8, v60, vcc_lo
	v_and_b32_e32 v60, 0x80000000, v63
	v_lshlrev_b32_e32 v8, 21, v8
	v_or3_b32 v8, v60, v9, v8
.LBB2_5048:                             ;   in Loop: Header=BB2_4894 Depth=3
	s_or_b32 exec_lo, exec_lo, s73
	v_mul_f32_e32 v8, s72, v8
	v_mov_b32_e32 v72, 0x80
	s_mov_b32 s73, exec_lo
	v_and_b32_e32 v9, 0x7f800000, v8
	v_cmpx_ne_u32_e32 0x7f800000, v9
	s_cbranch_execz .LBB2_5056
; %bb.5049:                             ;   in Loop: Header=BB2_4894 Depth=3
	v_mov_b32_e32 v72, 0
	s_mov_b32 s74, exec_lo
	v_cmpx_ne_u32_e32 0, v8
	s_cbranch_execz .LBB2_5055
; %bb.5050:                             ;   in Loop: Header=BB2_4894 Depth=3
	v_bfe_u32 v9, v8, 23, 8
	v_and_b32_e32 v60, 0x7fffff, v8
	v_sub_nc_u32_e32 v61, 0x70, v9
	v_cmp_gt_u32_e32 vcc_lo, 0x71, v9
	v_or_b32_e32 v63, 0x800000, v60
	v_cndmask_b32_e32 v61, 0, v61, vcc_lo
	v_cmp_eq_u32_e32 vcc_lo, 0, v9
	v_add_nc_u32_e32 v9, 0xffffff91, v9
	v_cndmask_b32_e64 v61, v61, 0x6f, vcc_lo
	v_cndmask_b32_e32 v60, v63, v60, vcc_lo
	v_cndmask_b32_e64 v9, v9, 0xffffff92, vcc_lo
	v_lshl_add_u32 v63, 0x200000, v61, -1
	v_lshrrev_b32_e32 v72, v61, v60
	v_lshlrev_b32_e64 v76, v61, 0x100000
	v_add_nc_u32_e32 v61, v61, v9
	v_and_b32_e32 v60, v63, v60
	v_bfe_u32 v73, v72, 21, 1
	v_cmp_eq_u32_e64 s17, v60, v76
	v_add_nc_u32_e32 v63, -1, v73
	v_cndmask_b32_e64 v60, 0, v63, s17
	v_lshrrev_b32_e32 v63, 23, v72
	s_mov_b32 s17, exec_lo
	v_add_nc_u32_e32 v60, v60, v72
	v_xor_b32_e32 v63, 1, v63
	v_and_b32_e32 v9, 0x1fffff, v60
	v_add_nc_u32_e32 v60, v9, v72
                                        ; implicit-def: $vgpr9
	v_cmpx_ne_u32_e64 v61, v63
	s_xor_b32 s17, exec_lo, s17
; %bb.5051:                             ;   in Loop: Header=BB2_4894 Depth=3
	v_cmp_lt_u32_e32 vcc_lo, 0xffffff, v60
	v_sub_nc_u32_e32 v9, v61, v63
	v_cndmask_b32_e64 v61, 0, 1, vcc_lo
	v_add_co_ci_u32_e64 v9, null, 0, v9, vcc_lo
	v_lshrrev_b32_e32 v60, v61, v60
; %bb.5052:                             ;   in Loop: Header=BB2_4894 Depth=3
	s_andn2_saveexec_b32 s17, s17
; %bb.5053:                             ;   in Loop: Header=BB2_4894 Depth=3
	v_bfe_u32 v9, v60, 23, 1
; %bb.5054:                             ;   in Loop: Header=BB2_4894 Depth=3
	s_or_b32 exec_lo, exec_lo, s17
	v_lshrrev_b32_e32 v60, 21, v60
	v_min_i32_e32 v61, 31, v9
	v_cmp_gt_i32_e32 vcc_lo, 32, v9
	v_and_b32_sdwa v8, v8, v98 dst_sel:DWORD dst_unused:UNUSED_PAD src0_sel:BYTE_3 src1_sel:DWORD
	v_lshlrev_b32_e32 v61, 2, v61
	v_cndmask_b32_e32 v60, 3, v60, vcc_lo
	v_and_b32_e32 v61, 0xfc, v61
	v_and_b32_e32 v63, 3, v60
	v_or_b32_e32 v9, v9, v60
	v_or3_b32 v8, v61, v8, v63
	v_cmp_ne_u32_e32 vcc_lo, 0, v9
	v_cndmask_b32_e32 v72, 0, v8, vcc_lo
.LBB2_5055:                             ;   in Loop: Header=BB2_4894 Depth=3
	s_or_b32 exec_lo, exec_lo, s74
.LBB2_5056:                             ;   in Loop: Header=BB2_4894 Depth=3
	s_or_b32 exec_lo, exec_lo, s73
	v_cmp_gt_i16_sdwa s73, v10, v97 src0_sel:BYTE_3 src1_sel:DWORD
	s_mov_b32 s17, 0
	s_and_saveexec_b32 s74, s73
	s_xor_b32 s73, exec_lo, s74
	s_cbranch_execz .LBB2_5466
; %bb.5057:                             ;   in Loop: Header=BB2_4894 Depth=3
	v_cmp_eq_u16_sdwa s75, v10, v98 src0_sel:BYTE_3 src1_sel:DWORD
	s_mov_b32 s17, -1
	s_and_saveexec_b32 s74, s75
; %bb.5058:                             ;   in Loop: Header=BB2_4894 Depth=3
	s_xor_b32 s17, exec_lo, -1
; %bb.5059:                             ;   in Loop: Header=BB2_4894 Depth=3
	s_or_b32 exec_lo, exec_lo, s74
	s_and_b32 s17, s17, exec_lo
	s_or_saveexec_b32 s73, s73
	v_mov_b32_e32 v8, 0x7f800001
	s_xor_b32 exec_lo, exec_lo, s73
	s_cbranch_execnz .LBB2_5467
.LBB2_5060:                             ;   in Loop: Header=BB2_4894 Depth=3
	s_or_b32 exec_lo, exec_lo, s73
	s_and_saveexec_b32 s73, s17
	s_cbranch_execz .LBB2_5062
.LBB2_5061:                             ;   in Loop: Header=BB2_4894 Depth=3
	v_bfe_u32 v8, v10, 24, 2
	v_bfe_u32 v61, v10, 26, 5
	v_ffbh_u32_e32 v9, v8
	v_cmp_eq_u32_e32 vcc_lo, 0, v61
	v_min_u32_e32 v9, 32, v9
	v_subrev_nc_u32_e32 v60, 29, v9
	v_sub_nc_u32_e32 v9, 30, v9
	v_lshlrev_b32_sdwa v60, v60, v10 dst_sel:DWORD dst_unused:UNUSED_PAD src0_sel:DWORD src1_sel:BYTE_3
	v_cndmask_b32_e32 v9, v61, v9, vcc_lo
	v_and_b32_e32 v10, 0x80000000, v10
	v_and_b32_e32 v60, 3, v60
	v_lshl_add_u32 v9, v9, 23, 0x37800000
	v_cndmask_b32_e32 v8, v8, v60, vcc_lo
	v_lshlrev_b32_e32 v8, 21, v8
	v_or3_b32 v8, v10, v9, v8
.LBB2_5062:                             ;   in Loop: Header=BB2_4894 Depth=3
	s_or_b32 exec_lo, exec_lo, s73
	v_mul_f32_e32 v8, s72, v8
	v_mov_b32_e32 v76, 0x8000
	s_mov_b32 s73, exec_lo
	v_and_b32_e32 v9, 0x7f800000, v8
	v_cmpx_ne_u32_e32 0x7f800000, v9
	s_cbranch_execz .LBB2_5070
; %bb.5063:                             ;   in Loop: Header=BB2_4894 Depth=3
	v_mov_b32_e32 v76, 0
	s_mov_b32 s74, exec_lo
	v_cmpx_ne_u32_e32 0, v8
	s_cbranch_execz .LBB2_5069
; %bb.5064:                             ;   in Loop: Header=BB2_4894 Depth=3
	v_bfe_u32 v9, v8, 23, 8
	v_and_b32_e32 v10, 0x7fffff, v8
	v_sub_nc_u32_e32 v60, 0x70, v9
	v_cmp_gt_u32_e32 vcc_lo, 0x71, v9
	v_or_b32_e32 v61, 0x800000, v10
	v_cndmask_b32_e32 v60, 0, v60, vcc_lo
	v_cmp_eq_u32_e32 vcc_lo, 0, v9
	v_add_nc_u32_e32 v9, 0xffffff91, v9
	v_cndmask_b32_e64 v60, v60, 0x6f, vcc_lo
	v_cndmask_b32_e32 v10, v61, v10, vcc_lo
	v_cndmask_b32_e64 v9, v9, 0xffffff92, vcc_lo
	v_lshl_add_u32 v61, 0x200000, v60, -1
	v_lshrrev_b32_e32 v63, v60, v10
	v_lshlrev_b32_e64 v76, v60, 0x100000
	v_add_nc_u32_e32 v60, v60, v9
	v_and_b32_e32 v10, v61, v10
	v_bfe_u32 v73, v63, 21, 1
	v_cmp_eq_u32_e64 s17, v10, v76
	v_add_nc_u32_e32 v61, -1, v73
	v_cndmask_b32_e64 v10, 0, v61, s17
	v_lshrrev_b32_e32 v61, 23, v63
	s_mov_b32 s17, exec_lo
	v_add_nc_u32_e32 v10, v10, v63
	v_xor_b32_e32 v61, 1, v61
	v_and_b32_e32 v9, 0x1fffff, v10
	v_add_nc_u32_e32 v10, v9, v63
                                        ; implicit-def: $vgpr9
	v_cmpx_ne_u32_e64 v60, v61
	s_xor_b32 s17, exec_lo, s17
; %bb.5065:                             ;   in Loop: Header=BB2_4894 Depth=3
	v_cmp_lt_u32_e32 vcc_lo, 0xffffff, v10
	v_sub_nc_u32_e32 v9, v60, v61
	v_cndmask_b32_e64 v60, 0, 1, vcc_lo
	v_add_co_ci_u32_e64 v9, null, 0, v9, vcc_lo
	v_lshrrev_b32_e32 v10, v60, v10
; %bb.5066:                             ;   in Loop: Header=BB2_4894 Depth=3
	s_andn2_saveexec_b32 s17, s17
; %bb.5067:                             ;   in Loop: Header=BB2_4894 Depth=3
	v_bfe_u32 v9, v10, 23, 1
; %bb.5068:                             ;   in Loop: Header=BB2_4894 Depth=3
	s_or_b32 exec_lo, exec_lo, s17
	v_lshrrev_b32_e32 v10, 21, v10
	v_min_i32_e32 v60, 31, v9
	v_cmp_gt_i32_e32 vcc_lo, 32, v9
	v_and_b32_sdwa v8, v8, v98 dst_sel:DWORD dst_unused:UNUSED_PAD src0_sel:BYTE_3 src1_sel:DWORD
	v_lshlrev_b32_e32 v60, 2, v60
	v_cndmask_b32_e32 v10, 3, v10, vcc_lo
	v_and_b32_e32 v60, 0xfc, v60
	v_and_b32_e32 v61, 3, v10
	v_or_b32_e32 v9, v9, v10
	v_or3_b32 v8, v8, v60, v61
	v_cmp_ne_u32_e32 vcc_lo, 0, v9
	v_lshlrev_b32_e32 v8, 8, v8
	v_cndmask_b32_e32 v76, 0, v8, vcc_lo
.LBB2_5069:                             ;   in Loop: Header=BB2_4894 Depth=3
	s_or_b32 exec_lo, exec_lo, s74
.LBB2_5070:                             ;   in Loop: Header=BB2_4894 Depth=3
	s_or_b32 exec_lo, exec_lo, s73
	v_cmp_gt_i16_sdwa s73, v11, v97 src0_sel:BYTE_0 src1_sel:DWORD
	s_mov_b32 s17, 0
	s_and_saveexec_b32 s74, s73
	s_xor_b32 s73, exec_lo, s74
	s_cbranch_execz .LBB2_5468
; %bb.5071:                             ;   in Loop: Header=BB2_4894 Depth=3
	v_cmp_eq_u16_sdwa s75, v11, v98 src0_sel:BYTE_0 src1_sel:DWORD
	s_mov_b32 s17, -1
	s_and_saveexec_b32 s74, s75
; %bb.5072:                             ;   in Loop: Header=BB2_4894 Depth=3
	s_xor_b32 s17, exec_lo, -1
; %bb.5073:                             ;   in Loop: Header=BB2_4894 Depth=3
	s_or_b32 exec_lo, exec_lo, s74
	s_and_b32 s17, s17, exec_lo
	s_or_saveexec_b32 s73, s73
	v_mov_b32_e32 v8, 0x7f800001
	s_xor_b32 exec_lo, exec_lo, s73
	s_cbranch_execnz .LBB2_5469
.LBB2_5074:                             ;   in Loop: Header=BB2_4894 Depth=3
	s_or_b32 exec_lo, exec_lo, s73
	s_and_saveexec_b32 s73, s17
	s_cbranch_execz .LBB2_5076
.LBB2_5075:                             ;   in Loop: Header=BB2_4894 Depth=3
	v_and_b32_e32 v8, 3, v11
	v_bfe_u32 v60, v11, 2, 5
	v_lshlrev_b32_e32 v61, 24, v11
	v_ffbh_u32_e32 v9, v8
	v_cmp_eq_u32_e32 vcc_lo, 0, v60
	v_min_u32_e32 v9, 32, v9
	v_subrev_nc_u32_e32 v10, 29, v9
	v_sub_nc_u32_e32 v9, 30, v9
	v_lshlrev_b32_e32 v10, v10, v11
	v_cndmask_b32_e32 v9, v60, v9, vcc_lo
	v_and_b32_e32 v10, 3, v10
	v_lshl_add_u32 v9, v9, 23, 0x37800000
	v_cndmask_b32_e32 v8, v8, v10, vcc_lo
	v_and_b32_e32 v10, 0x80000000, v61
	v_lshlrev_b32_e32 v8, 21, v8
	v_or3_b32 v8, v10, v9, v8
.LBB2_5076:                             ;   in Loop: Header=BB2_4894 Depth=3
	s_or_b32 exec_lo, exec_lo, s73
	v_mul_f32_e32 v8, s72, v8
	v_mov_b32_e32 v61, 0x80
	s_mov_b32 s73, exec_lo
	v_and_b32_e32 v9, 0x7f800000, v8
	v_cmpx_ne_u32_e32 0x7f800000, v9
	s_cbranch_execz .LBB2_5084
; %bb.5077:                             ;   in Loop: Header=BB2_4894 Depth=3
	v_mov_b32_e32 v61, 0
	s_mov_b32 s74, exec_lo
	v_cmpx_ne_u32_e32 0, v8
	s_cbranch_execz .LBB2_5083
; %bb.5078:                             ;   in Loop: Header=BB2_4894 Depth=3
	v_bfe_u32 v9, v8, 23, 8
	v_and_b32_e32 v10, 0x7fffff, v8
	v_sub_nc_u32_e32 v60, 0x70, v9
	v_cmp_gt_u32_e32 vcc_lo, 0x71, v9
	v_or_b32_e32 v61, 0x800000, v10
	v_cndmask_b32_e32 v60, 0, v60, vcc_lo
	v_cmp_eq_u32_e32 vcc_lo, 0, v9
	v_add_nc_u32_e32 v9, 0xffffff91, v9
	v_cndmask_b32_e64 v60, v60, 0x6f, vcc_lo
	v_cndmask_b32_e32 v10, v61, v10, vcc_lo
	v_cndmask_b32_e64 v9, v9, 0xffffff92, vcc_lo
	v_lshl_add_u32 v61, 0x200000, v60, -1
	v_lshrrev_b32_e32 v63, v60, v10
	v_lshlrev_b32_e64 v91, v60, 0x100000
	v_add_nc_u32_e32 v60, v60, v9
	v_and_b32_e32 v10, v61, v10
	v_bfe_u32 v73, v63, 21, 1
	v_cmp_eq_u32_e64 s17, v10, v91
	v_add_nc_u32_e32 v61, -1, v73
	v_cndmask_b32_e64 v10, 0, v61, s17
	v_lshrrev_b32_e32 v61, 23, v63
	s_mov_b32 s17, exec_lo
	v_add_nc_u32_e32 v10, v10, v63
	v_xor_b32_e32 v61, 1, v61
	v_and_b32_e32 v9, 0x1fffff, v10
	v_add_nc_u32_e32 v10, v9, v63
                                        ; implicit-def: $vgpr9
	v_cmpx_ne_u32_e64 v60, v61
	s_xor_b32 s17, exec_lo, s17
; %bb.5079:                             ;   in Loop: Header=BB2_4894 Depth=3
	v_cmp_lt_u32_e32 vcc_lo, 0xffffff, v10
	v_sub_nc_u32_e32 v9, v60, v61
	v_cndmask_b32_e64 v60, 0, 1, vcc_lo
	v_add_co_ci_u32_e64 v9, null, 0, v9, vcc_lo
	v_lshrrev_b32_e32 v10, v60, v10
; %bb.5080:                             ;   in Loop: Header=BB2_4894 Depth=3
	s_andn2_saveexec_b32 s17, s17
; %bb.5081:                             ;   in Loop: Header=BB2_4894 Depth=3
	v_bfe_u32 v9, v10, 23, 1
; %bb.5082:                             ;   in Loop: Header=BB2_4894 Depth=3
	s_or_b32 exec_lo, exec_lo, s17
	v_lshrrev_b32_e32 v10, 21, v10
	v_min_i32_e32 v60, 31, v9
	v_cmp_gt_i32_e32 vcc_lo, 32, v9
	v_and_b32_sdwa v8, v8, v98 dst_sel:DWORD dst_unused:UNUSED_PAD src0_sel:BYTE_3 src1_sel:DWORD
	v_lshlrev_b32_e32 v60, 2, v60
	v_cndmask_b32_e32 v10, 3, v10, vcc_lo
	v_and_b32_e32 v60, 0xfc, v60
	v_and_b32_e32 v61, 3, v10
	v_or_b32_e32 v9, v9, v10
	v_or3_b32 v8, v60, v8, v61
	v_cmp_ne_u32_e32 vcc_lo, 0, v9
	v_cndmask_b32_e32 v61, 0, v8, vcc_lo
.LBB2_5083:                             ;   in Loop: Header=BB2_4894 Depth=3
	s_or_b32 exec_lo, exec_lo, s74
.LBB2_5084:                             ;   in Loop: Header=BB2_4894 Depth=3
	s_or_b32 exec_lo, exec_lo, s73
	v_cmp_gt_i16_sdwa s73, v11, v97 src0_sel:BYTE_1 src1_sel:DWORD
	s_mov_b32 s17, 0
	s_and_saveexec_b32 s74, s73
	s_xor_b32 s73, exec_lo, s74
	s_cbranch_execz .LBB2_5470
; %bb.5085:                             ;   in Loop: Header=BB2_4894 Depth=3
	v_cmp_eq_u16_sdwa s75, v11, v98 src0_sel:BYTE_1 src1_sel:DWORD
	s_mov_b32 s17, -1
	s_and_saveexec_b32 s74, s75
; %bb.5086:                             ;   in Loop: Header=BB2_4894 Depth=3
	s_xor_b32 s17, exec_lo, -1
; %bb.5087:                             ;   in Loop: Header=BB2_4894 Depth=3
	s_or_b32 exec_lo, exec_lo, s74
	s_and_b32 s17, s17, exec_lo
	s_or_saveexec_b32 s73, s73
	v_mov_b32_e32 v8, 0x7f800001
	s_xor_b32 exec_lo, exec_lo, s73
	s_cbranch_execnz .LBB2_5471
.LBB2_5088:                             ;   in Loop: Header=BB2_4894 Depth=3
	s_or_b32 exec_lo, exec_lo, s73
	s_and_saveexec_b32 s73, s17
	s_cbranch_execz .LBB2_5090
.LBB2_5089:                             ;   in Loop: Header=BB2_4894 Depth=3
	v_and_b32_sdwa v8, v99, v11 dst_sel:DWORD dst_unused:UNUSED_PAD src0_sel:DWORD src1_sel:BYTE_1
	v_and_b32_e32 v9, 3, v8
	v_bfe_u32 v63, v8, 2, 5
	v_ffbh_u32_e32 v10, v9
	v_cmp_eq_u32_e32 vcc_lo, 0, v63
	v_min_u32_e32 v10, 32, v10
	v_subrev_nc_u32_e32 v60, 29, v10
	v_sub_nc_u32_e32 v10, 30, v10
	v_lshlrev_b32_e32 v8, v60, v8
	v_lshlrev_b32_sdwa v60, v100, v11 dst_sel:DWORD dst_unused:UNUSED_PAD src0_sel:DWORD src1_sel:BYTE_1
	v_cndmask_b32_e32 v10, v63, v10, vcc_lo
	v_and_b32_e32 v8, 3, v8
	v_lshl_add_u32 v10, v10, 23, 0x37800000
	v_cndmask_b32_e32 v8, v9, v8, vcc_lo
	v_and_b32_e32 v9, 0x80000000, v60
	v_lshlrev_b32_e32 v8, 21, v8
	v_or3_b32 v8, v9, v10, v8
.LBB2_5090:                             ;   in Loop: Header=BB2_4894 Depth=3
	s_or_b32 exec_lo, exec_lo, s73
	v_mul_f32_e32 v8, s72, v8
	v_mov_b32_e32 v73, 0x8000
	s_mov_b32 s73, exec_lo
	v_and_b32_e32 v9, 0x7f800000, v8
	v_cmpx_ne_u32_e32 0x7f800000, v9
	s_cbranch_execz .LBB2_5098
; %bb.5091:                             ;   in Loop: Header=BB2_4894 Depth=3
	v_mov_b32_e32 v73, 0
	s_mov_b32 s74, exec_lo
	v_cmpx_ne_u32_e32 0, v8
	s_cbranch_execz .LBB2_5097
; %bb.5092:                             ;   in Loop: Header=BB2_4894 Depth=3
	v_bfe_u32 v9, v8, 23, 8
	v_and_b32_e32 v10, 0x7fffff, v8
	v_sub_nc_u32_e32 v60, 0x70, v9
	v_cmp_gt_u32_e32 vcc_lo, 0x71, v9
	v_or_b32_e32 v63, 0x800000, v10
	v_cndmask_b32_e32 v60, 0, v60, vcc_lo
	v_cmp_eq_u32_e32 vcc_lo, 0, v9
	v_add_nc_u32_e32 v9, 0xffffff91, v9
	v_cndmask_b32_e64 v60, v60, 0x6f, vcc_lo
	v_cndmask_b32_e32 v10, v63, v10, vcc_lo
	v_cndmask_b32_e64 v9, v9, 0xffffff92, vcc_lo
	v_lshl_add_u32 v63, 0x200000, v60, -1
	v_lshrrev_b32_e32 v73, v60, v10
	v_lshlrev_b32_e64 v92, v60, 0x100000
	v_add_nc_u32_e32 v60, v60, v9
	v_and_b32_e32 v10, v63, v10
	v_bfe_u32 v91, v73, 21, 1
	v_cmp_eq_u32_e64 s17, v10, v92
	v_add_nc_u32_e32 v63, -1, v91
	v_cndmask_b32_e64 v10, 0, v63, s17
	v_lshrrev_b32_e32 v63, 23, v73
	s_mov_b32 s17, exec_lo
	v_add_nc_u32_e32 v10, v10, v73
	v_xor_b32_e32 v63, 1, v63
	v_and_b32_e32 v9, 0x1fffff, v10
	v_add_nc_u32_e32 v10, v9, v73
                                        ; implicit-def: $vgpr9
	v_cmpx_ne_u32_e64 v60, v63
	s_xor_b32 s17, exec_lo, s17
; %bb.5093:                             ;   in Loop: Header=BB2_4894 Depth=3
	v_cmp_lt_u32_e32 vcc_lo, 0xffffff, v10
	v_sub_nc_u32_e32 v9, v60, v63
	v_cndmask_b32_e64 v60, 0, 1, vcc_lo
	v_add_co_ci_u32_e64 v9, null, 0, v9, vcc_lo
	v_lshrrev_b32_e32 v10, v60, v10
; %bb.5094:                             ;   in Loop: Header=BB2_4894 Depth=3
	s_andn2_saveexec_b32 s17, s17
; %bb.5095:                             ;   in Loop: Header=BB2_4894 Depth=3
	v_bfe_u32 v9, v10, 23, 1
; %bb.5096:                             ;   in Loop: Header=BB2_4894 Depth=3
	s_or_b32 exec_lo, exec_lo, s17
	v_lshrrev_b32_e32 v10, 21, v10
	v_min_i32_e32 v60, 31, v9
	v_cmp_gt_i32_e32 vcc_lo, 32, v9
	v_and_b32_sdwa v8, v8, v98 dst_sel:DWORD dst_unused:UNUSED_PAD src0_sel:BYTE_3 src1_sel:DWORD
	v_lshlrev_b32_e32 v60, 2, v60
	v_cndmask_b32_e32 v10, 3, v10, vcc_lo
	v_and_b32_e32 v60, 0xfc, v60
	v_and_b32_e32 v63, 3, v10
	v_or_b32_e32 v9, v9, v10
	v_or3_b32 v8, v8, v60, v63
	v_cmp_ne_u32_e32 vcc_lo, 0, v9
	v_lshlrev_b32_e32 v8, 8, v8
	v_cndmask_b32_e32 v73, 0, v8, vcc_lo
.LBB2_5097:                             ;   in Loop: Header=BB2_4894 Depth=3
	s_or_b32 exec_lo, exec_lo, s74
.LBB2_5098:                             ;   in Loop: Header=BB2_4894 Depth=3
	s_or_b32 exec_lo, exec_lo, s73
	v_and_b32_sdwa v9, v11, v101 dst_sel:DWORD dst_unused:UNUSED_PAD src0_sel:WORD_1 src1_sel:DWORD
	s_mov_b32 s17, 0
	s_mov_b32 s73, exec_lo
	v_cmpx_lt_i16_e32 0x7f, v9
	s_xor_b32 s73, exec_lo, s73
	s_cbranch_execz .LBB2_5472
; %bb.5099:                             ;   in Loop: Header=BB2_4894 Depth=3
	s_mov_b32 s17, -1
	s_mov_b32 s74, exec_lo
	v_cmpx_eq_u16_e32 0x80, v9
; %bb.5100:                             ;   in Loop: Header=BB2_4894 Depth=3
	s_xor_b32 s17, exec_lo, -1
; %bb.5101:                             ;   in Loop: Header=BB2_4894 Depth=3
	s_or_b32 exec_lo, exec_lo, s74
	s_and_b32 s17, s17, exec_lo
                                        ; implicit-def: $vgpr9
	s_or_saveexec_b32 s73, s73
	v_mov_b32_e32 v8, 0x7f800001
	s_xor_b32 exec_lo, exec_lo, s73
	s_cbranch_execnz .LBB2_5473
.LBB2_5102:                             ;   in Loop: Header=BB2_4894 Depth=3
	s_or_b32 exec_lo, exec_lo, s73
	s_and_saveexec_b32 s73, s17
	s_cbranch_execz .LBB2_5104
.LBB2_5103:                             ;   in Loop: Header=BB2_4894 Depth=3
	v_bfe_u32 v8, v11, 16, 2
	v_bfe_u32 v60, v11, 18, 5
	v_lshlrev_b32_e32 v63, 8, v11
	v_ffbh_u32_e32 v9, v8
	v_cmp_eq_u32_e32 vcc_lo, 0, v60
	v_min_u32_e32 v9, 32, v9
	v_subrev_nc_u32_e32 v10, 29, v9
	v_sub_nc_u32_e32 v9, 30, v9
	v_lshlrev_b32_sdwa v10, v10, v11 dst_sel:DWORD dst_unused:UNUSED_PAD src0_sel:DWORD src1_sel:WORD_1
	v_cndmask_b32_e32 v9, v60, v9, vcc_lo
	v_and_b32_e32 v10, 3, v10
	v_lshl_add_u32 v9, v9, 23, 0x37800000
	v_cndmask_b32_e32 v8, v8, v10, vcc_lo
	v_and_b32_e32 v10, 0x80000000, v63
	v_lshlrev_b32_e32 v8, 21, v8
	v_or3_b32 v8, v10, v9, v8
.LBB2_5104:                             ;   in Loop: Header=BB2_4894 Depth=3
	s_or_b32 exec_lo, exec_lo, s73
	v_mul_f32_e32 v8, s72, v8
	v_mov_b32_e32 v60, 0x80
	s_mov_b32 s73, exec_lo
	v_and_b32_e32 v9, 0x7f800000, v8
	v_cmpx_ne_u32_e32 0x7f800000, v9
	s_cbranch_execz .LBB2_5112
; %bb.5105:                             ;   in Loop: Header=BB2_4894 Depth=3
	v_mov_b32_e32 v60, 0
	s_mov_b32 s74, exec_lo
	v_cmpx_ne_u32_e32 0, v8
	s_cbranch_execz .LBB2_5111
; %bb.5106:                             ;   in Loop: Header=BB2_4894 Depth=3
	v_bfe_u32 v9, v8, 23, 8
	v_and_b32_e32 v10, 0x7fffff, v8
	v_sub_nc_u32_e32 v60, 0x70, v9
	v_cmp_gt_u32_e32 vcc_lo, 0x71, v9
	v_or_b32_e32 v63, 0x800000, v10
	v_cndmask_b32_e32 v60, 0, v60, vcc_lo
	v_cmp_eq_u32_e32 vcc_lo, 0, v9
	v_add_nc_u32_e32 v9, 0xffffff91, v9
	v_cndmask_b32_e64 v60, v60, 0x6f, vcc_lo
	v_cndmask_b32_e32 v10, v63, v10, vcc_lo
	v_cndmask_b32_e64 v9, v9, 0xffffff92, vcc_lo
	v_lshl_add_u32 v63, 0x200000, v60, -1
	v_lshrrev_b32_e32 v91, v60, v10
	v_lshlrev_b32_e64 v93, v60, 0x100000
	v_add_nc_u32_e32 v60, v60, v9
	v_and_b32_e32 v10, v63, v10
	v_bfe_u32 v92, v91, 21, 1
	v_cmp_eq_u32_e64 s17, v10, v93
	v_add_nc_u32_e32 v63, -1, v92
	v_cndmask_b32_e64 v10, 0, v63, s17
	v_lshrrev_b32_e32 v63, 23, v91
	s_mov_b32 s17, exec_lo
	v_add_nc_u32_e32 v10, v10, v91
	v_xor_b32_e32 v63, 1, v63
	v_and_b32_e32 v9, 0x1fffff, v10
	v_add_nc_u32_e32 v10, v9, v91
                                        ; implicit-def: $vgpr9
	v_cmpx_ne_u32_e64 v60, v63
	s_xor_b32 s17, exec_lo, s17
; %bb.5107:                             ;   in Loop: Header=BB2_4894 Depth=3
	v_cmp_lt_u32_e32 vcc_lo, 0xffffff, v10
	v_sub_nc_u32_e32 v9, v60, v63
	v_cndmask_b32_e64 v60, 0, 1, vcc_lo
	v_add_co_ci_u32_e64 v9, null, 0, v9, vcc_lo
	v_lshrrev_b32_e32 v10, v60, v10
; %bb.5108:                             ;   in Loop: Header=BB2_4894 Depth=3
	s_andn2_saveexec_b32 s17, s17
; %bb.5109:                             ;   in Loop: Header=BB2_4894 Depth=3
	v_bfe_u32 v9, v10, 23, 1
; %bb.5110:                             ;   in Loop: Header=BB2_4894 Depth=3
	s_or_b32 exec_lo, exec_lo, s17
	v_lshrrev_b32_e32 v10, 21, v10
	v_min_i32_e32 v60, 31, v9
	v_cmp_gt_i32_e32 vcc_lo, 32, v9
	v_and_b32_sdwa v8, v8, v98 dst_sel:DWORD dst_unused:UNUSED_PAD src0_sel:BYTE_3 src1_sel:DWORD
	v_lshlrev_b32_e32 v60, 2, v60
	v_cndmask_b32_e32 v10, 3, v10, vcc_lo
	v_and_b32_e32 v60, 0xfc, v60
	v_and_b32_e32 v63, 3, v10
	v_or_b32_e32 v9, v9, v10
	v_or3_b32 v8, v60, v8, v63
	v_cmp_ne_u32_e32 vcc_lo, 0, v9
	v_cndmask_b32_e32 v60, 0, v8, vcc_lo
.LBB2_5111:                             ;   in Loop: Header=BB2_4894 Depth=3
	s_or_b32 exec_lo, exec_lo, s74
.LBB2_5112:                             ;   in Loop: Header=BB2_4894 Depth=3
	s_or_b32 exec_lo, exec_lo, s73
	v_cmp_gt_i16_sdwa s73, v11, v97 src0_sel:BYTE_3 src1_sel:DWORD
	s_mov_b32 s17, 0
	s_and_saveexec_b32 s74, s73
	s_xor_b32 s73, exec_lo, s74
	s_cbranch_execz .LBB2_5474
; %bb.5113:                             ;   in Loop: Header=BB2_4894 Depth=3
	v_cmp_eq_u16_sdwa s75, v11, v98 src0_sel:BYTE_3 src1_sel:DWORD
	s_mov_b32 s17, -1
	s_and_saveexec_b32 s74, s75
; %bb.5114:                             ;   in Loop: Header=BB2_4894 Depth=3
	s_xor_b32 s17, exec_lo, -1
; %bb.5115:                             ;   in Loop: Header=BB2_4894 Depth=3
	s_or_b32 exec_lo, exec_lo, s74
	s_and_b32 s17, s17, exec_lo
	s_or_saveexec_b32 s73, s73
	v_mov_b32_e32 v8, 0x7f800001
	s_xor_b32 exec_lo, exec_lo, s73
	s_cbranch_execnz .LBB2_5475
.LBB2_5116:                             ;   in Loop: Header=BB2_4894 Depth=3
	s_or_b32 exec_lo, exec_lo, s73
	s_and_saveexec_b32 s73, s17
	s_cbranch_execz .LBB2_5118
.LBB2_5117:                             ;   in Loop: Header=BB2_4894 Depth=3
	v_bfe_u32 v8, v11, 24, 2
	v_bfe_u32 v63, v11, 26, 5
	v_ffbh_u32_e32 v9, v8
	v_cmp_eq_u32_e32 vcc_lo, 0, v63
	v_min_u32_e32 v9, 32, v9
	v_subrev_nc_u32_e32 v10, 29, v9
	v_sub_nc_u32_e32 v9, 30, v9
	v_lshlrev_b32_sdwa v10, v10, v11 dst_sel:DWORD dst_unused:UNUSED_PAD src0_sel:DWORD src1_sel:BYTE_3
	v_cndmask_b32_e32 v9, v63, v9, vcc_lo
	v_and_b32_e32 v10, 3, v10
	v_lshl_add_u32 v9, v9, 23, 0x37800000
	v_cndmask_b32_e32 v8, v8, v10, vcc_lo
	v_and_b32_e32 v10, 0x80000000, v11
	v_lshlrev_b32_e32 v8, 21, v8
	v_or3_b32 v8, v10, v9, v8
.LBB2_5118:                             ;   in Loop: Header=BB2_4894 Depth=3
	s_or_b32 exec_lo, exec_lo, s73
	v_mul_f32_e32 v8, s72, v8
	v_mov_b32_e32 v63, 0x8000
	s_mov_b32 s72, exec_lo
	v_and_b32_e32 v9, 0x7f800000, v8
	v_cmpx_ne_u32_e32 0x7f800000, v9
	s_cbranch_execz .LBB2_5126
; %bb.5119:                             ;   in Loop: Header=BB2_4894 Depth=3
	v_mov_b32_e32 v63, 0
	s_mov_b32 s73, exec_lo
	v_cmpx_ne_u32_e32 0, v8
	s_cbranch_execz .LBB2_5125
; %bb.5120:                             ;   in Loop: Header=BB2_4894 Depth=3
	v_bfe_u32 v9, v8, 23, 8
	v_and_b32_e32 v10, 0x7fffff, v8
	v_sub_nc_u32_e32 v11, 0x70, v9
	v_cmp_gt_u32_e32 vcc_lo, 0x71, v9
	v_or_b32_e32 v63, 0x800000, v10
	v_cndmask_b32_e32 v11, 0, v11, vcc_lo
	v_cmp_eq_u32_e32 vcc_lo, 0, v9
	v_add_nc_u32_e32 v9, 0xffffff91, v9
	v_cndmask_b32_e64 v11, v11, 0x6f, vcc_lo
	v_cndmask_b32_e32 v10, v63, v10, vcc_lo
	v_cndmask_b32_e64 v9, v9, 0xffffff92, vcc_lo
	v_lshl_add_u32 v63, 0x200000, v11, -1
	v_lshrrev_b32_e32 v91, v11, v10
	v_lshlrev_b32_e64 v93, v11, 0x100000
	v_add_nc_u32_e32 v11, v11, v9
	v_and_b32_e32 v10, v63, v10
	v_bfe_u32 v92, v91, 21, 1
	v_cmp_eq_u32_e64 s17, v10, v93
	v_add_nc_u32_e32 v63, -1, v92
	v_cndmask_b32_e64 v10, 0, v63, s17
	v_lshrrev_b32_e32 v63, 23, v91
	s_mov_b32 s17, exec_lo
	v_add_nc_u32_e32 v10, v10, v91
	v_xor_b32_e32 v63, 1, v63
	v_and_b32_e32 v9, 0x1fffff, v10
	v_add_nc_u32_e32 v10, v9, v91
                                        ; implicit-def: $vgpr9
	v_cmpx_ne_u32_e64 v11, v63
	s_xor_b32 s17, exec_lo, s17
; %bb.5121:                             ;   in Loop: Header=BB2_4894 Depth=3
	v_cmp_lt_u32_e32 vcc_lo, 0xffffff, v10
	v_sub_nc_u32_e32 v9, v11, v63
	v_cndmask_b32_e64 v11, 0, 1, vcc_lo
	v_add_co_ci_u32_e64 v9, null, 0, v9, vcc_lo
	v_lshrrev_b32_e32 v10, v11, v10
; %bb.5122:                             ;   in Loop: Header=BB2_4894 Depth=3
	s_andn2_saveexec_b32 s17, s17
; %bb.5123:                             ;   in Loop: Header=BB2_4894 Depth=3
	v_bfe_u32 v9, v10, 23, 1
; %bb.5124:                             ;   in Loop: Header=BB2_4894 Depth=3
	s_or_b32 exec_lo, exec_lo, s17
	v_lshrrev_b32_e32 v10, 21, v10
	v_min_i32_e32 v11, 31, v9
	v_cmp_gt_i32_e32 vcc_lo, 32, v9
	v_and_b32_sdwa v8, v8, v98 dst_sel:DWORD dst_unused:UNUSED_PAD src0_sel:BYTE_3 src1_sel:DWORD
	v_lshlrev_b32_e32 v11, 2, v11
	v_cndmask_b32_e32 v10, 3, v10, vcc_lo
	v_and_b32_e32 v11, 0xfc, v11
	v_and_b32_e32 v63, 3, v10
	v_or_b32_e32 v9, v9, v10
	v_or3_b32 v8, v8, v11, v63
	v_cmp_ne_u32_e32 vcc_lo, 0, v9
	v_lshlrev_b32_e32 v8, 8, v8
	v_cndmask_b32_e32 v63, 0, v8, vcc_lo
.LBB2_5125:                             ;   in Loop: Header=BB2_4894 Depth=3
	s_or_b32 exec_lo, exec_lo, s73
.LBB2_5126:                             ;   in Loop: Header=BB2_4894 Depth=3
	s_or_b32 exec_lo, exec_lo, s72
	global_load_dwordx4 v[8:11], v[68:69], off slc
	v_or_b32_e32 v91, v62, v59
	s_mov_b32 s17, 0
	v_cmp_gt_i16_sdwa s72, v91, v97 src0_sel:BYTE_0 src1_sel:DWORD
	s_and_saveexec_b32 s73, s72
	s_xor_b32 s72, exec_lo, s73
	s_cbranch_execz .LBB2_5476
; %bb.5127:                             ;   in Loop: Header=BB2_4894 Depth=3
	v_cmp_eq_u16_sdwa s74, v91, v98 src0_sel:BYTE_0 src1_sel:DWORD
	s_mov_b32 s17, -1
	s_and_saveexec_b32 s73, s74
; %bb.5128:                             ;   in Loop: Header=BB2_4894 Depth=3
	s_xor_b32 s17, exec_lo, -1
; %bb.5129:                             ;   in Loop: Header=BB2_4894 Depth=3
	s_or_b32 exec_lo, exec_lo, s73
	s_and_b32 s17, s17, exec_lo
	s_or_saveexec_b32 s72, s72
	v_mov_b32_e32 v59, 0x7f800001
	s_xor_b32 exec_lo, exec_lo, s72
	s_cbranch_execnz .LBB2_5477
.LBB2_5130:                             ;   in Loop: Header=BB2_4894 Depth=3
	s_or_b32 exec_lo, exec_lo, s72
	s_and_saveexec_b32 s72, s17
	s_cbranch_execz .LBB2_5132
.LBB2_5131:                             ;   in Loop: Header=BB2_4894 Depth=3
	v_and_b32_e32 v59, 3, v91
	v_bfe_u32 v93, v91, 2, 5
	v_lshlrev_b32_e32 v94, 24, v91
	v_ffbh_u32_e32 v62, v59
	v_cmp_eq_u32_e32 vcc_lo, 0, v93
	v_min_u32_e32 v62, 32, v62
	v_subrev_nc_u32_e32 v92, 29, v62
	v_sub_nc_u32_e32 v62, 30, v62
	v_lshlrev_b32_e32 v92, v92, v91
	v_cndmask_b32_e32 v62, v93, v62, vcc_lo
	v_and_b32_e32 v92, 3, v92
	v_lshl_add_u32 v62, v62, 23, 0x37800000
	v_cndmask_b32_e32 v59, v59, v92, vcc_lo
	v_and_b32_e32 v92, 0x80000000, v94
	v_lshlrev_b32_e32 v59, 21, v59
	v_or3_b32 v59, v92, v62, v59
.LBB2_5132:                             ;   in Loop: Header=BB2_4894 Depth=3
	s_or_b32 exec_lo, exec_lo, s72
	s_waitcnt vmcnt(0)
	v_cmp_gt_i16_sdwa s72, v8, v97 src0_sel:BYTE_0 src1_sel:DWORD
	s_mov_b32 s17, 0
	s_and_saveexec_b32 s73, s72
	s_xor_b32 s72, exec_lo, s73
	s_cbranch_execz .LBB2_5478
; %bb.5133:                             ;   in Loop: Header=BB2_4894 Depth=3
	v_cmp_eq_u16_sdwa s74, v8, v98 src0_sel:BYTE_0 src1_sel:DWORD
	s_mov_b32 s17, -1
	s_and_saveexec_b32 s73, s74
; %bb.5134:                             ;   in Loop: Header=BB2_4894 Depth=3
	s_xor_b32 s17, exec_lo, -1
; %bb.5135:                             ;   in Loop: Header=BB2_4894 Depth=3
	s_or_b32 exec_lo, exec_lo, s73
	s_and_b32 s17, s17, exec_lo
	s_or_saveexec_b32 s72, s72
	v_mov_b32_e32 v62, 0x7f800001
	s_xor_b32 exec_lo, exec_lo, s72
	s_cbranch_execnz .LBB2_5479
.LBB2_5136:                             ;   in Loop: Header=BB2_4894 Depth=3
	s_or_b32 exec_lo, exec_lo, s72
	s_and_saveexec_b32 s72, s17
	s_cbranch_execz .LBB2_5138
.LBB2_5137:                             ;   in Loop: Header=BB2_4894 Depth=3
	v_and_b32_e32 v62, 3, v8
	v_bfe_u32 v94, v8, 2, 5
	v_lshlrev_b32_e32 v95, 24, v8
	v_ffbh_u32_e32 v92, v62
	v_cmp_eq_u32_e32 vcc_lo, 0, v94
	v_min_u32_e32 v92, 32, v92
	v_subrev_nc_u32_e32 v93, 29, v92
	v_sub_nc_u32_e32 v92, 30, v92
	v_lshlrev_b32_e32 v93, v93, v8
	v_cndmask_b32_e32 v92, v94, v92, vcc_lo
	v_and_b32_e32 v93, 3, v93
	v_lshl_add_u32 v92, v92, 23, 0x37800000
	v_cndmask_b32_e32 v62, v62, v93, vcc_lo
	v_and_b32_e32 v93, 0x80000000, v95
	v_lshlrev_b32_e32 v62, 21, v62
	v_or3_b32 v62, v93, v92, v62
.LBB2_5138:                             ;   in Loop: Header=BB2_4894 Depth=3
	s_or_b32 exec_lo, exec_lo, s72
	v_add_f32_e32 v62, v59, v62
	v_and_b32_e32 v59, 0x7f800000, v62
	v_cmp_ne_u32_e32 vcc_lo, 0x7f800000, v59
	v_mov_b32_e32 v59, 0x80
	s_and_saveexec_b32 s72, vcc_lo
	s_cbranch_execz .LBB2_5146
; %bb.5139:                             ;   in Loop: Header=BB2_4894 Depth=3
	v_mov_b32_e32 v59, 0
	s_mov_b32 s73, exec_lo
	v_cmpx_ne_u32_e32 0, v62
	s_cbranch_execz .LBB2_5145
; %bb.5140:                             ;   in Loop: Header=BB2_4894 Depth=3
	v_bfe_u32 v59, v62, 23, 8
	v_and_b32_e32 v92, 0x7fffff, v62
	v_sub_nc_u32_e32 v93, 0x70, v59
	v_cmp_gt_u32_e32 vcc_lo, 0x71, v59
	v_or_b32_e32 v94, 0x800000, v92
	v_cndmask_b32_e32 v93, 0, v93, vcc_lo
	v_cmp_eq_u32_e32 vcc_lo, 0, v59
	v_add_nc_u32_e32 v59, 0xffffff91, v59
	v_cndmask_b32_e64 v93, v93, 0x6f, vcc_lo
	v_cndmask_b32_e32 v92, v94, v92, vcc_lo
	v_cndmask_b32_e64 v59, v59, 0xffffff92, vcc_lo
	v_lshl_add_u32 v94, 0x200000, v93, -1
	v_lshrrev_b32_e32 v95, v93, v92
	v_lshlrev_b32_e64 v105, v93, 0x100000
	v_add_nc_u32_e32 v93, v93, v59
	v_and_b32_e32 v92, v94, v92
	v_bfe_u32 v104, v95, 21, 1
	v_cmp_eq_u32_e64 s17, v92, v105
	v_add_nc_u32_e32 v94, -1, v104
	v_cndmask_b32_e64 v92, 0, v94, s17
	v_lshrrev_b32_e32 v94, 23, v95
	s_mov_b32 s17, exec_lo
	v_add_nc_u32_e32 v92, v92, v95
	v_xor_b32_e32 v94, 1, v94
	v_and_b32_e32 v59, 0x1fffff, v92
	v_add_nc_u32_e32 v92, v59, v95
                                        ; implicit-def: $vgpr59
	v_cmpx_ne_u32_e64 v93, v94
	s_xor_b32 s17, exec_lo, s17
; %bb.5141:                             ;   in Loop: Header=BB2_4894 Depth=3
	v_cmp_lt_u32_e32 vcc_lo, 0xffffff, v92
	v_sub_nc_u32_e32 v59, v93, v94
	v_cndmask_b32_e64 v93, 0, 1, vcc_lo
	v_add_co_ci_u32_e64 v59, null, 0, v59, vcc_lo
	v_lshrrev_b32_e32 v92, v93, v92
; %bb.5142:                             ;   in Loop: Header=BB2_4894 Depth=3
	s_andn2_saveexec_b32 s17, s17
; %bb.5143:                             ;   in Loop: Header=BB2_4894 Depth=3
	v_bfe_u32 v59, v92, 23, 1
; %bb.5144:                             ;   in Loop: Header=BB2_4894 Depth=3
	s_or_b32 exec_lo, exec_lo, s17
	v_lshrrev_b32_e32 v92, 21, v92
	v_min_i32_e32 v93, 31, v59
	v_cmp_gt_i32_e32 vcc_lo, 32, v59
	v_and_b32_sdwa v62, v62, v98 dst_sel:DWORD dst_unused:UNUSED_PAD src0_sel:BYTE_3 src1_sel:DWORD
	v_lshlrev_b32_e32 v93, 2, v93
	v_cndmask_b32_e32 v92, 3, v92, vcc_lo
	v_and_b32_e32 v93, 0xfc, v93
	v_and_b32_e32 v94, 3, v92
	v_or_b32_e32 v59, v59, v92
	v_or3_b32 v62, v93, v62, v94
	v_cmp_ne_u32_e32 vcc_lo, 0, v59
	v_cndmask_b32_e32 v59, 0, v62, vcc_lo
.LBB2_5145:                             ;   in Loop: Header=BB2_4894 Depth=3
	s_or_b32 exec_lo, exec_lo, s73
.LBB2_5146:                             ;   in Loop: Header=BB2_4894 Depth=3
	s_or_b32 exec_lo, exec_lo, s72
	v_cmp_gt_i16_sdwa s72, v91, v97 src0_sel:BYTE_1 src1_sel:DWORD
	s_mov_b32 s17, 0
	s_and_saveexec_b32 s73, s72
	s_xor_b32 s72, exec_lo, s73
	s_cbranch_execz .LBB2_5480
; %bb.5147:                             ;   in Loop: Header=BB2_4894 Depth=3
	v_cmp_eq_u16_sdwa s74, v91, v98 src0_sel:BYTE_1 src1_sel:DWORD
	s_mov_b32 s17, -1
	s_and_saveexec_b32 s73, s74
; %bb.5148:                             ;   in Loop: Header=BB2_4894 Depth=3
	s_xor_b32 s17, exec_lo, -1
; %bb.5149:                             ;   in Loop: Header=BB2_4894 Depth=3
	s_or_b32 exec_lo, exec_lo, s73
	s_and_b32 s17, s17, exec_lo
	s_or_saveexec_b32 s72, s72
	v_mov_b32_e32 v62, 0x7f800001
	s_xor_b32 exec_lo, exec_lo, s72
	s_cbranch_execnz .LBB2_5481
.LBB2_5150:                             ;   in Loop: Header=BB2_4894 Depth=3
	s_or_b32 exec_lo, exec_lo, s72
	s_and_saveexec_b32 s72, s17
	s_cbranch_execz .LBB2_5152
.LBB2_5151:                             ;   in Loop: Header=BB2_4894 Depth=3
	v_and_b32_sdwa v62, v99, v91 dst_sel:DWORD dst_unused:UNUSED_PAD src0_sel:DWORD src1_sel:BYTE_1
	v_and_b32_e32 v92, 3, v62
	v_bfe_u32 v95, v62, 2, 5
	v_ffbh_u32_e32 v93, v92
	v_cmp_eq_u32_e32 vcc_lo, 0, v95
	v_min_u32_e32 v93, 32, v93
	v_subrev_nc_u32_e32 v94, 29, v93
	v_sub_nc_u32_e32 v93, 30, v93
	v_lshlrev_b32_e32 v62, v94, v62
	v_lshlrev_b32_sdwa v94, v100, v91 dst_sel:DWORD dst_unused:UNUSED_PAD src0_sel:DWORD src1_sel:BYTE_1
	v_cndmask_b32_e32 v93, v95, v93, vcc_lo
	v_and_b32_e32 v62, 3, v62
	v_lshl_add_u32 v93, v93, 23, 0x37800000
	v_cndmask_b32_e32 v62, v92, v62, vcc_lo
	v_and_b32_e32 v92, 0x80000000, v94
	v_lshlrev_b32_e32 v62, 21, v62
	v_or3_b32 v62, v92, v93, v62
.LBB2_5152:                             ;   in Loop: Header=BB2_4894 Depth=3
	s_or_b32 exec_lo, exec_lo, s72
	v_cmp_gt_i16_sdwa s72, v8, v97 src0_sel:BYTE_1 src1_sel:DWORD
	s_mov_b32 s17, 0
	s_and_saveexec_b32 s73, s72
	s_xor_b32 s72, exec_lo, s73
	s_cbranch_execz .LBB2_5482
; %bb.5153:                             ;   in Loop: Header=BB2_4894 Depth=3
	v_cmp_eq_u16_sdwa s74, v8, v98 src0_sel:BYTE_1 src1_sel:DWORD
	s_mov_b32 s17, -1
	s_and_saveexec_b32 s73, s74
; %bb.5154:                             ;   in Loop: Header=BB2_4894 Depth=3
	s_xor_b32 s17, exec_lo, -1
; %bb.5155:                             ;   in Loop: Header=BB2_4894 Depth=3
	s_or_b32 exec_lo, exec_lo, s73
	s_and_b32 s17, s17, exec_lo
	s_or_saveexec_b32 s72, s72
	v_mov_b32_e32 v92, 0x7f800001
	s_xor_b32 exec_lo, exec_lo, s72
	s_cbranch_execnz .LBB2_5483
.LBB2_5156:                             ;   in Loop: Header=BB2_4894 Depth=3
	s_or_b32 exec_lo, exec_lo, s72
	s_and_saveexec_b32 s72, s17
	s_cbranch_execz .LBB2_5158
.LBB2_5157:                             ;   in Loop: Header=BB2_4894 Depth=3
	v_and_b32_sdwa v92, v99, v8 dst_sel:DWORD dst_unused:UNUSED_PAD src0_sel:DWORD src1_sel:BYTE_1
	v_and_b32_e32 v93, 3, v92
	v_bfe_u32 v104, v92, 2, 5
	v_ffbh_u32_e32 v94, v93
	v_cmp_eq_u32_e32 vcc_lo, 0, v104
	v_min_u32_e32 v94, 32, v94
	v_subrev_nc_u32_e32 v95, 29, v94
	v_sub_nc_u32_e32 v94, 30, v94
	v_lshlrev_b32_e32 v92, v95, v92
	v_lshlrev_b32_sdwa v95, v100, v8 dst_sel:DWORD dst_unused:UNUSED_PAD src0_sel:DWORD src1_sel:BYTE_1
	v_cndmask_b32_e32 v94, v104, v94, vcc_lo
	v_and_b32_e32 v92, 3, v92
	v_lshl_add_u32 v94, v94, 23, 0x37800000
	v_cndmask_b32_e32 v92, v93, v92, vcc_lo
	v_and_b32_e32 v93, 0x80000000, v95
	v_lshlrev_b32_e32 v92, 21, v92
	v_or3_b32 v92, v93, v94, v92
.LBB2_5158:                             ;   in Loop: Header=BB2_4894 Depth=3
	s_or_b32 exec_lo, exec_lo, s72
	v_add_f32_e32 v92, v62, v92
	v_and_b32_e32 v62, 0x7f800000, v92
	v_cmp_ne_u32_e32 vcc_lo, 0x7f800000, v62
	v_mov_b32_e32 v62, 0x8000
	s_and_saveexec_b32 s72, vcc_lo
	s_cbranch_execz .LBB2_5166
; %bb.5159:                             ;   in Loop: Header=BB2_4894 Depth=3
	v_mov_b32_e32 v62, 0
	s_mov_b32 s73, exec_lo
	v_cmpx_ne_u32_e32 0, v92
	s_cbranch_execz .LBB2_5165
; %bb.5160:                             ;   in Loop: Header=BB2_4894 Depth=3
	v_bfe_u32 v62, v92, 23, 8
	v_and_b32_e32 v93, 0x7fffff, v92
	v_sub_nc_u32_e32 v94, 0x70, v62
	v_cmp_gt_u32_e32 vcc_lo, 0x71, v62
	v_or_b32_e32 v95, 0x800000, v93
	v_cndmask_b32_e32 v94, 0, v94, vcc_lo
	v_cmp_eq_u32_e32 vcc_lo, 0, v62
	v_add_nc_u32_e32 v62, 0xffffff91, v62
	v_cndmask_b32_e64 v94, v94, 0x6f, vcc_lo
	v_cndmask_b32_e32 v93, v95, v93, vcc_lo
	v_cndmask_b32_e64 v62, v62, 0xffffff92, vcc_lo
	v_lshl_add_u32 v95, 0x200000, v94, -1
	v_lshrrev_b32_e32 v104, v94, v93
	v_lshlrev_b32_e64 v106, v94, 0x100000
	v_add_nc_u32_e32 v94, v94, v62
	v_and_b32_e32 v93, v95, v93
	v_bfe_u32 v105, v104, 21, 1
	v_cmp_eq_u32_e64 s17, v93, v106
	v_add_nc_u32_e32 v95, -1, v105
	v_cndmask_b32_e64 v93, 0, v95, s17
	v_lshrrev_b32_e32 v95, 23, v104
	s_mov_b32 s17, exec_lo
	v_add_nc_u32_e32 v93, v93, v104
	v_xor_b32_e32 v95, 1, v95
	v_and_b32_e32 v62, 0x1fffff, v93
	v_add_nc_u32_e32 v93, v62, v104
                                        ; implicit-def: $vgpr62
	v_cmpx_ne_u32_e64 v94, v95
	s_xor_b32 s17, exec_lo, s17
; %bb.5161:                             ;   in Loop: Header=BB2_4894 Depth=3
	v_cmp_lt_u32_e32 vcc_lo, 0xffffff, v93
	v_sub_nc_u32_e32 v62, v94, v95
	v_cndmask_b32_e64 v94, 0, 1, vcc_lo
	v_add_co_ci_u32_e64 v62, null, 0, v62, vcc_lo
	v_lshrrev_b32_e32 v93, v94, v93
; %bb.5162:                             ;   in Loop: Header=BB2_4894 Depth=3
	s_andn2_saveexec_b32 s17, s17
; %bb.5163:                             ;   in Loop: Header=BB2_4894 Depth=3
	v_bfe_u32 v62, v93, 23, 1
; %bb.5164:                             ;   in Loop: Header=BB2_4894 Depth=3
	s_or_b32 exec_lo, exec_lo, s17
	v_lshrrev_b32_e32 v93, 21, v93
	v_min_i32_e32 v94, 31, v62
	v_cmp_gt_i32_e32 vcc_lo, 32, v62
	v_and_b32_sdwa v92, v92, v98 dst_sel:DWORD dst_unused:UNUSED_PAD src0_sel:BYTE_3 src1_sel:DWORD
	v_lshlrev_b32_e32 v94, 2, v94
	v_cndmask_b32_e32 v93, 3, v93, vcc_lo
	v_and_b32_e32 v94, 0xfc, v94
	v_and_b32_e32 v95, 3, v93
	v_or_b32_e32 v62, v62, v93
	v_or3_b32 v92, v92, v94, v95
	v_cmp_ne_u32_e32 vcc_lo, 0, v62
	v_lshlrev_b32_e32 v92, 8, v92
	v_cndmask_b32_e32 v62, 0, v92, vcc_lo
.LBB2_5165:                             ;   in Loop: Header=BB2_4894 Depth=3
	s_or_b32 exec_lo, exec_lo, s73
.LBB2_5166:                             ;   in Loop: Header=BB2_4894 Depth=3
	s_or_b32 exec_lo, exec_lo, s72
	v_or_b32_e32 v90, v90, v75
	s_mov_b32 s17, 0
	v_cmp_gt_i16_sdwa s72, v90, v97 src0_sel:BYTE_0 src1_sel:DWORD
	s_and_saveexec_b32 s73, s72
	s_xor_b32 s72, exec_lo, s73
	s_cbranch_execz .LBB2_5484
; %bb.5167:                             ;   in Loop: Header=BB2_4894 Depth=3
	v_cmp_eq_u16_sdwa s74, v90, v98 src0_sel:BYTE_0 src1_sel:DWORD
	s_mov_b32 s17, -1
	s_and_saveexec_b32 s73, s74
; %bb.5168:                             ;   in Loop: Header=BB2_4894 Depth=3
	s_xor_b32 s17, exec_lo, -1
; %bb.5169:                             ;   in Loop: Header=BB2_4894 Depth=3
	s_or_b32 exec_lo, exec_lo, s73
	s_and_b32 s17, s17, exec_lo
	s_or_saveexec_b32 s72, s72
	v_mov_b32_e32 v75, 0x7f800001
	s_xor_b32 exec_lo, exec_lo, s72
	s_cbranch_execnz .LBB2_5485
.LBB2_5170:                             ;   in Loop: Header=BB2_4894 Depth=3
	s_or_b32 exec_lo, exec_lo, s72
	v_lshl_or_b32 v90, v90, 16, v91
	s_and_saveexec_b32 s72, s17
	s_cbranch_execz .LBB2_5172
.LBB2_5171:                             ;   in Loop: Header=BB2_4894 Depth=3
	v_bfe_u32 v75, v90, 16, 2
	v_bfe_u32 v93, v90, 18, 5
	v_lshlrev_b32_e32 v94, 8, v90
	v_ffbh_u32_e32 v91, v75
	v_cmp_eq_u32_e32 vcc_lo, 0, v93
	v_min_u32_e32 v91, 32, v91
	v_subrev_nc_u32_e32 v92, 29, v91
	v_sub_nc_u32_e32 v91, 30, v91
	v_lshlrev_b32_sdwa v92, v92, v90 dst_sel:DWORD dst_unused:UNUSED_PAD src0_sel:DWORD src1_sel:WORD_1
	v_cndmask_b32_e32 v91, v93, v91, vcc_lo
	v_and_b32_e32 v92, 3, v92
	v_lshl_add_u32 v91, v91, 23, 0x37800000
	v_cndmask_b32_e32 v75, v75, v92, vcc_lo
	v_and_b32_e32 v92, 0x80000000, v94
	v_lshlrev_b32_e32 v75, 21, v75
	v_or3_b32 v75, v92, v91, v75
.LBB2_5172:                             ;   in Loop: Header=BB2_4894 Depth=3
	s_or_b32 exec_lo, exec_lo, s72
	v_and_b32_sdwa v92, v8, v101 dst_sel:DWORD dst_unused:UNUSED_PAD src0_sel:WORD_1 src1_sel:DWORD
	s_mov_b32 s17, 0
	s_mov_b32 s72, exec_lo
	v_cmpx_lt_i16_e32 0x7f, v92
	s_xor_b32 s72, exec_lo, s72
	s_cbranch_execz .LBB2_5486
; %bb.5173:                             ;   in Loop: Header=BB2_4894 Depth=3
	s_mov_b32 s17, -1
	s_mov_b32 s73, exec_lo
	v_cmpx_eq_u16_e32 0x80, v92
; %bb.5174:                             ;   in Loop: Header=BB2_4894 Depth=3
	s_xor_b32 s17, exec_lo, -1
; %bb.5175:                             ;   in Loop: Header=BB2_4894 Depth=3
	s_or_b32 exec_lo, exec_lo, s73
	s_and_b32 s17, s17, exec_lo
                                        ; implicit-def: $vgpr92
	s_or_saveexec_b32 s72, s72
	v_mov_b32_e32 v91, 0x7f800001
	s_xor_b32 exec_lo, exec_lo, s72
	s_cbranch_execnz .LBB2_5487
.LBB2_5176:                             ;   in Loop: Header=BB2_4894 Depth=3
	s_or_b32 exec_lo, exec_lo, s72
	s_and_saveexec_b32 s72, s17
	s_cbranch_execz .LBB2_5178
.LBB2_5177:                             ;   in Loop: Header=BB2_4894 Depth=3
	v_and_b32_sdwa v91, v8, v103 dst_sel:DWORD dst_unused:UNUSED_PAD src0_sel:WORD_1 src1_sel:DWORD
	v_bfe_u32 v94, v8, 18, 5
	v_lshlrev_b32_sdwa v95, v100, v8 dst_sel:DWORD dst_unused:UNUSED_PAD src0_sel:DWORD src1_sel:WORD_1
	v_ffbh_u32_e32 v92, v91
	v_cmp_eq_u32_e32 vcc_lo, 0, v94
	v_min_u32_e32 v92, 32, v92
	v_subrev_nc_u32_e32 v93, 29, v92
	v_sub_nc_u32_e32 v92, 30, v92
	v_lshlrev_b32_sdwa v93, v93, v8 dst_sel:DWORD dst_unused:UNUSED_PAD src0_sel:DWORD src1_sel:WORD_1
	v_cndmask_b32_e32 v92, v94, v92, vcc_lo
	v_and_b32_e32 v93, 3, v93
	v_lshl_add_u32 v92, v92, 23, 0x37800000
	v_cndmask_b32_e32 v91, v91, v93, vcc_lo
	v_and_b32_e32 v93, 0x80000000, v95
	v_lshlrev_b32_e32 v91, 21, v91
	v_or3_b32 v91, v93, v92, v91
.LBB2_5178:                             ;   in Loop: Header=BB2_4894 Depth=3
	s_or_b32 exec_lo, exec_lo, s72
	v_add_f32_e32 v91, v75, v91
	v_and_b32_e32 v75, 0x7f800000, v91
	v_cmp_ne_u32_e32 vcc_lo, 0x7f800000, v75
	v_mov_b32_e32 v75, 0x80
	s_and_saveexec_b32 s72, vcc_lo
	s_cbranch_execz .LBB2_5186
; %bb.5179:                             ;   in Loop: Header=BB2_4894 Depth=3
	v_mov_b32_e32 v75, 0
	s_mov_b32 s73, exec_lo
	v_cmpx_ne_u32_e32 0, v91
	s_cbranch_execz .LBB2_5185
; %bb.5180:                             ;   in Loop: Header=BB2_4894 Depth=3
	v_bfe_u32 v75, v91, 23, 8
	v_and_b32_e32 v92, 0x7fffff, v91
	v_sub_nc_u32_e32 v93, 0x70, v75
	v_cmp_gt_u32_e32 vcc_lo, 0x71, v75
	v_or_b32_e32 v94, 0x800000, v92
	v_cndmask_b32_e32 v93, 0, v93, vcc_lo
	v_cmp_eq_u32_e32 vcc_lo, 0, v75
	v_add_nc_u32_e32 v75, 0xffffff91, v75
	v_cndmask_b32_e64 v93, v93, 0x6f, vcc_lo
	v_cndmask_b32_e32 v92, v94, v92, vcc_lo
	v_cndmask_b32_e64 v75, v75, 0xffffff92, vcc_lo
	v_lshl_add_u32 v94, 0x200000, v93, -1
	v_lshrrev_b32_e32 v95, v93, v92
	v_lshlrev_b32_e64 v105, v93, 0x100000
	v_add_nc_u32_e32 v93, v93, v75
	v_and_b32_e32 v92, v94, v92
	v_bfe_u32 v104, v95, 21, 1
	v_cmp_eq_u32_e64 s17, v92, v105
	v_add_nc_u32_e32 v94, -1, v104
	v_cndmask_b32_e64 v92, 0, v94, s17
	v_lshrrev_b32_e32 v94, 23, v95
	s_mov_b32 s17, exec_lo
	v_add_nc_u32_e32 v92, v92, v95
	v_xor_b32_e32 v94, 1, v94
	v_and_b32_e32 v75, 0x1fffff, v92
	v_add_nc_u32_e32 v92, v75, v95
                                        ; implicit-def: $vgpr75
	v_cmpx_ne_u32_e64 v93, v94
	s_xor_b32 s17, exec_lo, s17
; %bb.5181:                             ;   in Loop: Header=BB2_4894 Depth=3
	v_cmp_lt_u32_e32 vcc_lo, 0xffffff, v92
	v_sub_nc_u32_e32 v75, v93, v94
	v_cndmask_b32_e64 v93, 0, 1, vcc_lo
	v_add_co_ci_u32_e64 v75, null, 0, v75, vcc_lo
	v_lshrrev_b32_e32 v92, v93, v92
; %bb.5182:                             ;   in Loop: Header=BB2_4894 Depth=3
	s_andn2_saveexec_b32 s17, s17
; %bb.5183:                             ;   in Loop: Header=BB2_4894 Depth=3
	v_bfe_u32 v75, v92, 23, 1
; %bb.5184:                             ;   in Loop: Header=BB2_4894 Depth=3
	s_or_b32 exec_lo, exec_lo, s17
	v_lshrrev_b32_e32 v92, 21, v92
	v_min_i32_e32 v93, 31, v75
	v_cmp_gt_i32_e32 vcc_lo, 32, v75
	v_and_b32_sdwa v91, v91, v98 dst_sel:DWORD dst_unused:UNUSED_PAD src0_sel:BYTE_3 src1_sel:DWORD
	v_lshlrev_b32_e32 v93, 2, v93
	v_cndmask_b32_e32 v92, 3, v92, vcc_lo
	v_and_b32_e32 v93, 0xfc, v93
	v_and_b32_e32 v94, 3, v92
	v_or_b32_e32 v75, v75, v92
	v_or3_b32 v91, v93, v91, v94
	v_cmp_ne_u32_e32 vcc_lo, 0, v75
	v_cndmask_b32_e32 v75, 0, v91, vcc_lo
.LBB2_5185:                             ;   in Loop: Header=BB2_4894 Depth=3
	s_or_b32 exec_lo, exec_lo, s73
.LBB2_5186:                             ;   in Loop: Header=BB2_4894 Depth=3
	s_or_b32 exec_lo, exec_lo, s72
	v_cmp_gt_i16_sdwa s72, v90, v97 src0_sel:BYTE_3 src1_sel:DWORD
	s_mov_b32 s17, 0
	s_and_saveexec_b32 s73, s72
	s_xor_b32 s72, exec_lo, s73
	s_cbranch_execz .LBB2_5488
; %bb.5187:                             ;   in Loop: Header=BB2_4894 Depth=3
	v_cmp_eq_u16_sdwa s74, v90, v98 src0_sel:BYTE_3 src1_sel:DWORD
	s_mov_b32 s17, -1
	s_and_saveexec_b32 s73, s74
; %bb.5188:                             ;   in Loop: Header=BB2_4894 Depth=3
	s_xor_b32 s17, exec_lo, -1
; %bb.5189:                             ;   in Loop: Header=BB2_4894 Depth=3
	s_or_b32 exec_lo, exec_lo, s73
	s_and_b32 s17, s17, exec_lo
	s_or_saveexec_b32 s72, s72
	v_mov_b32_e32 v91, 0x7f800001
	s_xor_b32 exec_lo, exec_lo, s72
	s_cbranch_execnz .LBB2_5489
.LBB2_5190:                             ;   in Loop: Header=BB2_4894 Depth=3
	s_or_b32 exec_lo, exec_lo, s72
	s_and_saveexec_b32 s72, s17
	s_cbranch_execz .LBB2_5192
.LBB2_5191:                             ;   in Loop: Header=BB2_4894 Depth=3
	v_bfe_u32 v91, v90, 24, 2
	v_bfe_u32 v94, v90, 26, 5
	v_ffbh_u32_e32 v92, v91
	v_cmp_eq_u32_e32 vcc_lo, 0, v94
	v_min_u32_e32 v92, 32, v92
	v_subrev_nc_u32_e32 v93, 29, v92
	v_sub_nc_u32_e32 v92, 30, v92
	v_lshlrev_b32_sdwa v93, v93, v90 dst_sel:DWORD dst_unused:UNUSED_PAD src0_sel:DWORD src1_sel:BYTE_3
	v_cndmask_b32_e32 v92, v94, v92, vcc_lo
	v_and_b32_e32 v90, 0x80000000, v90
	v_and_b32_e32 v93, 3, v93
	v_lshl_add_u32 v92, v92, 23, 0x37800000
	v_cndmask_b32_e32 v91, v91, v93, vcc_lo
	v_lshlrev_b32_e32 v91, 21, v91
	v_or3_b32 v91, v90, v92, v91
.LBB2_5192:                             ;   in Loop: Header=BB2_4894 Depth=3
	s_or_b32 exec_lo, exec_lo, s72
	v_cmp_gt_i16_sdwa s72, v8, v97 src0_sel:BYTE_3 src1_sel:DWORD
	s_mov_b32 s17, 0
	s_and_saveexec_b32 s73, s72
	s_xor_b32 s72, exec_lo, s73
	s_cbranch_execz .LBB2_5490
; %bb.5193:                             ;   in Loop: Header=BB2_4894 Depth=3
	v_cmp_eq_u16_sdwa s74, v8, v98 src0_sel:BYTE_3 src1_sel:DWORD
	s_mov_b32 s17, -1
	s_and_saveexec_b32 s73, s74
; %bb.5194:                             ;   in Loop: Header=BB2_4894 Depth=3
	s_xor_b32 s17, exec_lo, -1
; %bb.5195:                             ;   in Loop: Header=BB2_4894 Depth=3
	s_or_b32 exec_lo, exec_lo, s73
	s_and_b32 s17, s17, exec_lo
	s_or_saveexec_b32 s72, s72
	v_mov_b32_e32 v90, 0x7f800001
	s_xor_b32 exec_lo, exec_lo, s72
	s_cbranch_execnz .LBB2_5491
.LBB2_5196:                             ;   in Loop: Header=BB2_4894 Depth=3
	s_or_b32 exec_lo, exec_lo, s72
	s_and_saveexec_b32 s72, s17
	s_cbranch_execz .LBB2_5198
.LBB2_5197:                             ;   in Loop: Header=BB2_4894 Depth=3
	v_and_b32_sdwa v90, v8, v103 dst_sel:DWORD dst_unused:UNUSED_PAD src0_sel:BYTE_3 src1_sel:DWORD
	v_bfe_u32 v94, v8, 26, 5
	v_ffbh_u32_e32 v92, v90
	v_cmp_eq_u32_e32 vcc_lo, 0, v94
	v_min_u32_e32 v92, 32, v92
	v_subrev_nc_u32_e32 v93, 29, v92
	v_sub_nc_u32_e32 v92, 30, v92
	v_lshlrev_b32_sdwa v93, v93, v8 dst_sel:DWORD dst_unused:UNUSED_PAD src0_sel:DWORD src1_sel:BYTE_3
	v_cndmask_b32_e32 v92, v94, v92, vcc_lo
	v_and_b32_e32 v8, 0x80000000, v8
	v_and_b32_e32 v93, 3, v93
	v_lshl_add_u32 v92, v92, 23, 0x37800000
	v_cndmask_b32_e32 v90, v90, v93, vcc_lo
	v_lshlrev_b32_e32 v90, 21, v90
	v_or3_b32 v90, v8, v92, v90
.LBB2_5198:                             ;   in Loop: Header=BB2_4894 Depth=3
	s_or_b32 exec_lo, exec_lo, s72
	v_add_f32_e32 v90, v91, v90
	v_and_b32_e32 v8, 0x7f800000, v90
	v_cmp_ne_u32_e32 vcc_lo, 0x7f800000, v8
	v_mov_b32_e32 v8, 0x8000
	s_and_saveexec_b32 s72, vcc_lo
	s_cbranch_execz .LBB2_5206
; %bb.5199:                             ;   in Loop: Header=BB2_4894 Depth=3
	v_mov_b32_e32 v8, 0
	s_mov_b32 s73, exec_lo
	v_cmpx_ne_u32_e32 0, v90
	s_cbranch_execz .LBB2_5205
; %bb.5200:                             ;   in Loop: Header=BB2_4894 Depth=3
	v_bfe_u32 v8, v90, 23, 8
	v_and_b32_e32 v91, 0x7fffff, v90
	v_sub_nc_u32_e32 v92, 0x70, v8
	v_cmp_gt_u32_e32 vcc_lo, 0x71, v8
	v_or_b32_e32 v93, 0x800000, v91
	v_cndmask_b32_e32 v92, 0, v92, vcc_lo
	v_cmp_eq_u32_e32 vcc_lo, 0, v8
	v_add_nc_u32_e32 v8, 0xffffff91, v8
	v_cndmask_b32_e64 v92, v92, 0x6f, vcc_lo
	v_cndmask_b32_e32 v91, v93, v91, vcc_lo
	v_cndmask_b32_e64 v8, v8, 0xffffff92, vcc_lo
	v_lshl_add_u32 v93, 0x200000, v92, -1
	v_lshrrev_b32_e32 v94, v92, v91
	v_lshlrev_b32_e64 v104, v92, 0x100000
	v_add_nc_u32_e32 v92, v92, v8
	v_and_b32_e32 v91, v93, v91
	v_bfe_u32 v95, v94, 21, 1
	v_cmp_eq_u32_e64 s17, v91, v104
	v_add_nc_u32_e32 v93, -1, v95
	v_cndmask_b32_e64 v91, 0, v93, s17
	v_lshrrev_b32_e32 v93, 23, v94
	s_mov_b32 s17, exec_lo
	v_add_nc_u32_e32 v91, v91, v94
	v_xor_b32_e32 v93, 1, v93
	v_and_b32_e32 v8, 0x1fffff, v91
	v_add_nc_u32_e32 v91, v8, v94
                                        ; implicit-def: $vgpr8
	v_cmpx_ne_u32_e64 v92, v93
	s_xor_b32 s17, exec_lo, s17
; %bb.5201:                             ;   in Loop: Header=BB2_4894 Depth=3
	v_cmp_lt_u32_e32 vcc_lo, 0xffffff, v91
	v_sub_nc_u32_e32 v8, v92, v93
	v_cndmask_b32_e64 v92, 0, 1, vcc_lo
	v_add_co_ci_u32_e64 v8, null, 0, v8, vcc_lo
	v_lshrrev_b32_e32 v91, v92, v91
; %bb.5202:                             ;   in Loop: Header=BB2_4894 Depth=3
	s_andn2_saveexec_b32 s17, s17
; %bb.5203:                             ;   in Loop: Header=BB2_4894 Depth=3
	v_bfe_u32 v8, v91, 23, 1
; %bb.5204:                             ;   in Loop: Header=BB2_4894 Depth=3
	s_or_b32 exec_lo, exec_lo, s17
	v_lshrrev_b32_e32 v91, 21, v91
	v_min_i32_e32 v92, 31, v8
	v_cmp_gt_i32_e32 vcc_lo, 32, v8
	v_and_b32_sdwa v90, v90, v98 dst_sel:DWORD dst_unused:UNUSED_PAD src0_sel:BYTE_3 src1_sel:DWORD
	v_lshlrev_b32_e32 v92, 2, v92
	v_cndmask_b32_e32 v91, 3, v91, vcc_lo
	v_and_b32_e32 v92, 0xfc, v92
	v_and_b32_e32 v93, 3, v91
	v_or_b32_e32 v8, v8, v91
	v_or3_b32 v90, v90, v92, v93
	v_cmp_ne_u32_e32 vcc_lo, 0, v8
	v_lshlrev_b32_e32 v90, 8, v90
	v_cndmask_b32_e32 v8, 0, v90, vcc_lo
.LBB2_5205:                             ;   in Loop: Header=BB2_4894 Depth=3
	s_or_b32 exec_lo, exec_lo, s73
.LBB2_5206:                             ;   in Loop: Header=BB2_4894 Depth=3
	s_or_b32 exec_lo, exec_lo, s72
	v_or_b32_e32 v90, v89, v79
	s_mov_b32 s17, 0
	v_cmp_gt_i16_sdwa s72, v90, v97 src0_sel:BYTE_0 src1_sel:DWORD
	s_and_saveexec_b32 s73, s72
	s_xor_b32 s72, exec_lo, s73
	s_cbranch_execz .LBB2_5492
; %bb.5207:                             ;   in Loop: Header=BB2_4894 Depth=3
	v_cmp_eq_u16_sdwa s74, v90, v98 src0_sel:BYTE_0 src1_sel:DWORD
	s_mov_b32 s17, -1
	s_and_saveexec_b32 s73, s74
; %bb.5208:                             ;   in Loop: Header=BB2_4894 Depth=3
	s_xor_b32 s17, exec_lo, -1
; %bb.5209:                             ;   in Loop: Header=BB2_4894 Depth=3
	s_or_b32 exec_lo, exec_lo, s73
	s_and_b32 s17, s17, exec_lo
	s_or_saveexec_b32 s72, s72
	v_mov_b32_e32 v79, 0x7f800001
	s_xor_b32 exec_lo, exec_lo, s72
	s_cbranch_execnz .LBB2_5493
.LBB2_5210:                             ;   in Loop: Header=BB2_4894 Depth=3
	s_or_b32 exec_lo, exec_lo, s72
	s_and_saveexec_b32 s72, s17
	s_cbranch_execz .LBB2_5212
.LBB2_5211:                             ;   in Loop: Header=BB2_4894 Depth=3
	v_and_b32_e32 v79, 3, v90
	v_bfe_u32 v92, v90, 2, 5
	v_lshlrev_b32_e32 v93, 24, v90
	v_ffbh_u32_e32 v89, v79
	v_cmp_eq_u32_e32 vcc_lo, 0, v92
	v_min_u32_e32 v89, 32, v89
	v_subrev_nc_u32_e32 v91, 29, v89
	v_sub_nc_u32_e32 v89, 30, v89
	v_lshlrev_b32_e32 v91, v91, v90
	v_cndmask_b32_e32 v89, v92, v89, vcc_lo
	v_and_b32_e32 v91, 3, v91
	v_lshl_add_u32 v89, v89, 23, 0x37800000
	v_cndmask_b32_e32 v79, v79, v91, vcc_lo
	v_and_b32_e32 v91, 0x80000000, v93
	v_lshlrev_b32_e32 v79, 21, v79
	v_or3_b32 v79, v91, v89, v79
.LBB2_5212:                             ;   in Loop: Header=BB2_4894 Depth=3
	s_or_b32 exec_lo, exec_lo, s72
	v_cmp_gt_i16_sdwa s72, v9, v97 src0_sel:BYTE_0 src1_sel:DWORD
	s_mov_b32 s17, 0
	s_and_saveexec_b32 s73, s72
	s_xor_b32 s72, exec_lo, s73
	s_cbranch_execz .LBB2_5494
; %bb.5213:                             ;   in Loop: Header=BB2_4894 Depth=3
	v_cmp_eq_u16_sdwa s74, v9, v98 src0_sel:BYTE_0 src1_sel:DWORD
	s_mov_b32 s17, -1
	s_and_saveexec_b32 s73, s74
; %bb.5214:                             ;   in Loop: Header=BB2_4894 Depth=3
	s_xor_b32 s17, exec_lo, -1
; %bb.5215:                             ;   in Loop: Header=BB2_4894 Depth=3
	s_or_b32 exec_lo, exec_lo, s73
	s_and_b32 s17, s17, exec_lo
	s_or_saveexec_b32 s72, s72
	v_mov_b32_e32 v89, 0x7f800001
	s_xor_b32 exec_lo, exec_lo, s72
	s_cbranch_execnz .LBB2_5495
.LBB2_5216:                             ;   in Loop: Header=BB2_4894 Depth=3
	s_or_b32 exec_lo, exec_lo, s72
	s_and_saveexec_b32 s72, s17
	s_cbranch_execz .LBB2_5218
.LBB2_5217:                             ;   in Loop: Header=BB2_4894 Depth=3
	v_and_b32_e32 v89, 3, v9
	v_bfe_u32 v93, v9, 2, 5
	v_lshlrev_b32_e32 v94, 24, v9
	v_ffbh_u32_e32 v91, v89
	v_cmp_eq_u32_e32 vcc_lo, 0, v93
	v_min_u32_e32 v91, 32, v91
	v_subrev_nc_u32_e32 v92, 29, v91
	v_sub_nc_u32_e32 v91, 30, v91
	v_lshlrev_b32_e32 v92, v92, v9
	v_cndmask_b32_e32 v91, v93, v91, vcc_lo
	v_and_b32_e32 v92, 3, v92
	v_lshl_add_u32 v91, v91, 23, 0x37800000
	v_cndmask_b32_e32 v89, v89, v92, vcc_lo
	v_and_b32_e32 v92, 0x80000000, v94
	v_lshlrev_b32_e32 v89, 21, v89
	v_or3_b32 v89, v92, v91, v89
.LBB2_5218:                             ;   in Loop: Header=BB2_4894 Depth=3
	s_or_b32 exec_lo, exec_lo, s72
	v_add_f32_e32 v89, v79, v89
	v_and_b32_e32 v79, 0x7f800000, v89
	v_cmp_ne_u32_e32 vcc_lo, 0x7f800000, v79
	v_mov_b32_e32 v79, 0x80
	s_and_saveexec_b32 s72, vcc_lo
	s_cbranch_execz .LBB2_5226
; %bb.5219:                             ;   in Loop: Header=BB2_4894 Depth=3
	v_mov_b32_e32 v79, 0
	s_mov_b32 s73, exec_lo
	v_cmpx_ne_u32_e32 0, v89
	s_cbranch_execz .LBB2_5225
; %bb.5220:                             ;   in Loop: Header=BB2_4894 Depth=3
	v_bfe_u32 v79, v89, 23, 8
	v_and_b32_e32 v91, 0x7fffff, v89
	v_sub_nc_u32_e32 v92, 0x70, v79
	v_cmp_gt_u32_e32 vcc_lo, 0x71, v79
	v_or_b32_e32 v93, 0x800000, v91
	v_cndmask_b32_e32 v92, 0, v92, vcc_lo
	v_cmp_eq_u32_e32 vcc_lo, 0, v79
	v_add_nc_u32_e32 v79, 0xffffff91, v79
	v_cndmask_b32_e64 v92, v92, 0x6f, vcc_lo
	v_cndmask_b32_e32 v91, v93, v91, vcc_lo
	v_cndmask_b32_e64 v79, v79, 0xffffff92, vcc_lo
	v_lshl_add_u32 v93, 0x200000, v92, -1
	v_lshrrev_b32_e32 v94, v92, v91
	v_lshlrev_b32_e64 v104, v92, 0x100000
	v_add_nc_u32_e32 v92, v92, v79
	v_and_b32_e32 v91, v93, v91
	v_bfe_u32 v95, v94, 21, 1
	v_cmp_eq_u32_e64 s17, v91, v104
	v_add_nc_u32_e32 v93, -1, v95
	v_cndmask_b32_e64 v91, 0, v93, s17
	v_lshrrev_b32_e32 v93, 23, v94
	s_mov_b32 s17, exec_lo
	v_add_nc_u32_e32 v91, v91, v94
	v_xor_b32_e32 v93, 1, v93
	v_and_b32_e32 v79, 0x1fffff, v91
	v_add_nc_u32_e32 v91, v79, v94
                                        ; implicit-def: $vgpr79
	v_cmpx_ne_u32_e64 v92, v93
	s_xor_b32 s17, exec_lo, s17
; %bb.5221:                             ;   in Loop: Header=BB2_4894 Depth=3
	v_cmp_lt_u32_e32 vcc_lo, 0xffffff, v91
	v_sub_nc_u32_e32 v79, v92, v93
	v_cndmask_b32_e64 v92, 0, 1, vcc_lo
	v_add_co_ci_u32_e64 v79, null, 0, v79, vcc_lo
	v_lshrrev_b32_e32 v91, v92, v91
; %bb.5222:                             ;   in Loop: Header=BB2_4894 Depth=3
	s_andn2_saveexec_b32 s17, s17
; %bb.5223:                             ;   in Loop: Header=BB2_4894 Depth=3
	v_bfe_u32 v79, v91, 23, 1
; %bb.5224:                             ;   in Loop: Header=BB2_4894 Depth=3
	s_or_b32 exec_lo, exec_lo, s17
	v_lshrrev_b32_e32 v91, 21, v91
	v_min_i32_e32 v92, 31, v79
	v_cmp_gt_i32_e32 vcc_lo, 32, v79
	v_and_b32_sdwa v89, v89, v98 dst_sel:DWORD dst_unused:UNUSED_PAD src0_sel:BYTE_3 src1_sel:DWORD
	v_lshlrev_b32_e32 v92, 2, v92
	v_cndmask_b32_e32 v91, 3, v91, vcc_lo
	v_and_b32_e32 v92, 0xfc, v92
	v_and_b32_e32 v93, 3, v91
	v_or_b32_e32 v79, v79, v91
	v_or3_b32 v89, v92, v89, v93
	v_cmp_ne_u32_e32 vcc_lo, 0, v79
	v_cndmask_b32_e32 v79, 0, v89, vcc_lo
.LBB2_5225:                             ;   in Loop: Header=BB2_4894 Depth=3
	s_or_b32 exec_lo, exec_lo, s73
.LBB2_5226:                             ;   in Loop: Header=BB2_4894 Depth=3
	s_or_b32 exec_lo, exec_lo, s72
	v_cmp_gt_i16_sdwa s72, v90, v97 src0_sel:BYTE_1 src1_sel:DWORD
	s_mov_b32 s17, 0
	s_and_saveexec_b32 s73, s72
	s_xor_b32 s72, exec_lo, s73
	s_cbranch_execz .LBB2_5496
; %bb.5227:                             ;   in Loop: Header=BB2_4894 Depth=3
	v_cmp_eq_u16_sdwa s74, v90, v98 src0_sel:BYTE_1 src1_sel:DWORD
	s_mov_b32 s17, -1
	s_and_saveexec_b32 s73, s74
; %bb.5228:                             ;   in Loop: Header=BB2_4894 Depth=3
	s_xor_b32 s17, exec_lo, -1
; %bb.5229:                             ;   in Loop: Header=BB2_4894 Depth=3
	s_or_b32 exec_lo, exec_lo, s73
	s_and_b32 s17, s17, exec_lo
	s_or_saveexec_b32 s72, s72
	v_mov_b32_e32 v89, 0x7f800001
	s_xor_b32 exec_lo, exec_lo, s72
	s_cbranch_execnz .LBB2_5497
.LBB2_5230:                             ;   in Loop: Header=BB2_4894 Depth=3
	s_or_b32 exec_lo, exec_lo, s72
	s_and_saveexec_b32 s72, s17
	s_cbranch_execz .LBB2_5232
.LBB2_5231:                             ;   in Loop: Header=BB2_4894 Depth=3
	v_and_b32_sdwa v89, v99, v90 dst_sel:DWORD dst_unused:UNUSED_PAD src0_sel:DWORD src1_sel:BYTE_1
	v_and_b32_e32 v91, 3, v89
	v_bfe_u32 v94, v89, 2, 5
	v_ffbh_u32_e32 v92, v91
	v_cmp_eq_u32_e32 vcc_lo, 0, v94
	v_min_u32_e32 v92, 32, v92
	v_subrev_nc_u32_e32 v93, 29, v92
	v_sub_nc_u32_e32 v92, 30, v92
	v_lshlrev_b32_e32 v89, v93, v89
	v_lshlrev_b32_sdwa v93, v100, v90 dst_sel:DWORD dst_unused:UNUSED_PAD src0_sel:DWORD src1_sel:BYTE_1
	v_cndmask_b32_e32 v92, v94, v92, vcc_lo
	v_and_b32_e32 v89, 3, v89
	v_lshl_add_u32 v92, v92, 23, 0x37800000
	v_cndmask_b32_e32 v89, v91, v89, vcc_lo
	v_and_b32_e32 v91, 0x80000000, v93
	v_lshlrev_b32_e32 v89, 21, v89
	v_or3_b32 v89, v91, v92, v89
.LBB2_5232:                             ;   in Loop: Header=BB2_4894 Depth=3
	s_or_b32 exec_lo, exec_lo, s72
	v_cmp_gt_i16_sdwa s72, v9, v97 src0_sel:BYTE_1 src1_sel:DWORD
	s_mov_b32 s17, 0
	s_and_saveexec_b32 s73, s72
	s_xor_b32 s72, exec_lo, s73
	s_cbranch_execz .LBB2_5498
; %bb.5233:                             ;   in Loop: Header=BB2_4894 Depth=3
	v_cmp_eq_u16_sdwa s74, v9, v98 src0_sel:BYTE_1 src1_sel:DWORD
	s_mov_b32 s17, -1
	s_and_saveexec_b32 s73, s74
; %bb.5234:                             ;   in Loop: Header=BB2_4894 Depth=3
	s_xor_b32 s17, exec_lo, -1
; %bb.5235:                             ;   in Loop: Header=BB2_4894 Depth=3
	s_or_b32 exec_lo, exec_lo, s73
	s_and_b32 s17, s17, exec_lo
	s_or_saveexec_b32 s72, s72
	v_mov_b32_e32 v91, 0x7f800001
	s_xor_b32 exec_lo, exec_lo, s72
	s_cbranch_execnz .LBB2_5499
.LBB2_5236:                             ;   in Loop: Header=BB2_4894 Depth=3
	s_or_b32 exec_lo, exec_lo, s72
	s_and_saveexec_b32 s72, s17
	s_cbranch_execz .LBB2_5238
.LBB2_5237:                             ;   in Loop: Header=BB2_4894 Depth=3
	v_and_b32_sdwa v91, v99, v9 dst_sel:DWORD dst_unused:UNUSED_PAD src0_sel:DWORD src1_sel:BYTE_1
	v_and_b32_e32 v92, 3, v91
	v_bfe_u32 v95, v91, 2, 5
	v_ffbh_u32_e32 v93, v92
	v_cmp_eq_u32_e32 vcc_lo, 0, v95
	v_min_u32_e32 v93, 32, v93
	v_subrev_nc_u32_e32 v94, 29, v93
	v_sub_nc_u32_e32 v93, 30, v93
	v_lshlrev_b32_e32 v91, v94, v91
	v_lshlrev_b32_sdwa v94, v100, v9 dst_sel:DWORD dst_unused:UNUSED_PAD src0_sel:DWORD src1_sel:BYTE_1
	v_cndmask_b32_e32 v93, v95, v93, vcc_lo
	v_and_b32_e32 v91, 3, v91
	v_lshl_add_u32 v93, v93, 23, 0x37800000
	v_cndmask_b32_e32 v91, v92, v91, vcc_lo
	v_and_b32_e32 v92, 0x80000000, v94
	v_lshlrev_b32_e32 v91, 21, v91
	v_or3_b32 v91, v92, v93, v91
.LBB2_5238:                             ;   in Loop: Header=BB2_4894 Depth=3
	s_or_b32 exec_lo, exec_lo, s72
	v_add_f32_e32 v91, v89, v91
	v_and_b32_e32 v89, 0x7f800000, v91
	v_cmp_ne_u32_e32 vcc_lo, 0x7f800000, v89
	v_mov_b32_e32 v89, 0x8000
	s_and_saveexec_b32 s72, vcc_lo
	s_cbranch_execz .LBB2_5246
; %bb.5239:                             ;   in Loop: Header=BB2_4894 Depth=3
	v_mov_b32_e32 v89, 0
	s_mov_b32 s73, exec_lo
	v_cmpx_ne_u32_e32 0, v91
	s_cbranch_execz .LBB2_5245
; %bb.5240:                             ;   in Loop: Header=BB2_4894 Depth=3
	v_bfe_u32 v89, v91, 23, 8
	v_and_b32_e32 v92, 0x7fffff, v91
	v_sub_nc_u32_e32 v93, 0x70, v89
	v_cmp_gt_u32_e32 vcc_lo, 0x71, v89
	v_or_b32_e32 v94, 0x800000, v92
	v_cndmask_b32_e32 v93, 0, v93, vcc_lo
	v_cmp_eq_u32_e32 vcc_lo, 0, v89
	v_add_nc_u32_e32 v89, 0xffffff91, v89
	v_cndmask_b32_e64 v93, v93, 0x6f, vcc_lo
	v_cndmask_b32_e32 v92, v94, v92, vcc_lo
	v_cndmask_b32_e64 v89, v89, 0xffffff92, vcc_lo
	v_lshl_add_u32 v94, 0x200000, v93, -1
	v_lshrrev_b32_e32 v95, v93, v92
	v_lshlrev_b32_e64 v105, v93, 0x100000
	v_add_nc_u32_e32 v93, v93, v89
	v_and_b32_e32 v92, v94, v92
	v_bfe_u32 v104, v95, 21, 1
	v_cmp_eq_u32_e64 s17, v92, v105
	v_add_nc_u32_e32 v94, -1, v104
	v_cndmask_b32_e64 v92, 0, v94, s17
	v_lshrrev_b32_e32 v94, 23, v95
	s_mov_b32 s17, exec_lo
	v_add_nc_u32_e32 v92, v92, v95
	v_xor_b32_e32 v94, 1, v94
	v_and_b32_e32 v89, 0x1fffff, v92
	v_add_nc_u32_e32 v92, v89, v95
                                        ; implicit-def: $vgpr89
	v_cmpx_ne_u32_e64 v93, v94
	s_xor_b32 s17, exec_lo, s17
; %bb.5241:                             ;   in Loop: Header=BB2_4894 Depth=3
	v_cmp_lt_u32_e32 vcc_lo, 0xffffff, v92
	v_sub_nc_u32_e32 v89, v93, v94
	v_cndmask_b32_e64 v93, 0, 1, vcc_lo
	v_add_co_ci_u32_e64 v89, null, 0, v89, vcc_lo
	v_lshrrev_b32_e32 v92, v93, v92
; %bb.5242:                             ;   in Loop: Header=BB2_4894 Depth=3
	s_andn2_saveexec_b32 s17, s17
; %bb.5243:                             ;   in Loop: Header=BB2_4894 Depth=3
	v_bfe_u32 v89, v92, 23, 1
; %bb.5244:                             ;   in Loop: Header=BB2_4894 Depth=3
	s_or_b32 exec_lo, exec_lo, s17
	v_lshrrev_b32_e32 v92, 21, v92
	v_min_i32_e32 v93, 31, v89
	v_cmp_gt_i32_e32 vcc_lo, 32, v89
	v_and_b32_sdwa v91, v91, v98 dst_sel:DWORD dst_unused:UNUSED_PAD src0_sel:BYTE_3 src1_sel:DWORD
	v_lshlrev_b32_e32 v93, 2, v93
	v_cndmask_b32_e32 v92, 3, v92, vcc_lo
	v_and_b32_e32 v93, 0xfc, v93
	v_and_b32_e32 v94, 3, v92
	v_or_b32_e32 v89, v89, v92
	v_or3_b32 v91, v91, v93, v94
	v_cmp_ne_u32_e32 vcc_lo, 0, v89
	v_lshlrev_b32_e32 v91, 8, v91
	v_cndmask_b32_e32 v89, 0, v91, vcc_lo
.LBB2_5245:                             ;   in Loop: Header=BB2_4894 Depth=3
	s_or_b32 exec_lo, exec_lo, s73
.LBB2_5246:                             ;   in Loop: Header=BB2_4894 Depth=3
	s_or_b32 exec_lo, exec_lo, s72
	v_or_b32_e32 v88, v88, v77
	s_mov_b32 s17, 0
	v_cmp_gt_i16_sdwa s72, v88, v97 src0_sel:BYTE_0 src1_sel:DWORD
	s_and_saveexec_b32 s73, s72
	s_xor_b32 s72, exec_lo, s73
	s_cbranch_execz .LBB2_5500
; %bb.5247:                             ;   in Loop: Header=BB2_4894 Depth=3
	v_cmp_eq_u16_sdwa s74, v88, v98 src0_sel:BYTE_0 src1_sel:DWORD
	s_mov_b32 s17, -1
	s_and_saveexec_b32 s73, s74
; %bb.5248:                             ;   in Loop: Header=BB2_4894 Depth=3
	s_xor_b32 s17, exec_lo, -1
; %bb.5249:                             ;   in Loop: Header=BB2_4894 Depth=3
	s_or_b32 exec_lo, exec_lo, s73
	s_and_b32 s17, s17, exec_lo
	s_or_saveexec_b32 s72, s72
	v_mov_b32_e32 v77, 0x7f800001
	s_xor_b32 exec_lo, exec_lo, s72
	s_cbranch_execnz .LBB2_5501
.LBB2_5250:                             ;   in Loop: Header=BB2_4894 Depth=3
	s_or_b32 exec_lo, exec_lo, s72
	v_lshl_or_b32 v88, v88, 16, v90
	s_and_saveexec_b32 s72, s17
	s_cbranch_execz .LBB2_5252
.LBB2_5251:                             ;   in Loop: Header=BB2_4894 Depth=3
	v_bfe_u32 v77, v88, 16, 2
	v_bfe_u32 v92, v88, 18, 5
	v_lshlrev_b32_e32 v93, 8, v88
	v_ffbh_u32_e32 v90, v77
	v_cmp_eq_u32_e32 vcc_lo, 0, v92
	v_min_u32_e32 v90, 32, v90
	v_subrev_nc_u32_e32 v91, 29, v90
	v_sub_nc_u32_e32 v90, 30, v90
	v_lshlrev_b32_sdwa v91, v91, v88 dst_sel:DWORD dst_unused:UNUSED_PAD src0_sel:DWORD src1_sel:WORD_1
	v_cndmask_b32_e32 v90, v92, v90, vcc_lo
	v_and_b32_e32 v91, 3, v91
	v_lshl_add_u32 v90, v90, 23, 0x37800000
	v_cndmask_b32_e32 v77, v77, v91, vcc_lo
	v_and_b32_e32 v91, 0x80000000, v93
	v_lshlrev_b32_e32 v77, 21, v77
	v_or3_b32 v77, v91, v90, v77
.LBB2_5252:                             ;   in Loop: Header=BB2_4894 Depth=3
	s_or_b32 exec_lo, exec_lo, s72
	v_and_b32_sdwa v91, v9, v101 dst_sel:DWORD dst_unused:UNUSED_PAD src0_sel:WORD_1 src1_sel:DWORD
	s_mov_b32 s17, 0
	s_mov_b32 s72, exec_lo
	v_cmpx_lt_i16_e32 0x7f, v91
	s_xor_b32 s72, exec_lo, s72
	s_cbranch_execz .LBB2_5502
; %bb.5253:                             ;   in Loop: Header=BB2_4894 Depth=3
	s_mov_b32 s17, -1
	s_mov_b32 s73, exec_lo
	v_cmpx_eq_u16_e32 0x80, v91
; %bb.5254:                             ;   in Loop: Header=BB2_4894 Depth=3
	s_xor_b32 s17, exec_lo, -1
; %bb.5255:                             ;   in Loop: Header=BB2_4894 Depth=3
	s_or_b32 exec_lo, exec_lo, s73
	s_and_b32 s17, s17, exec_lo
                                        ; implicit-def: $vgpr91
	s_or_saveexec_b32 s72, s72
	v_mov_b32_e32 v90, 0x7f800001
	s_xor_b32 exec_lo, exec_lo, s72
	s_cbranch_execnz .LBB2_5503
.LBB2_5256:                             ;   in Loop: Header=BB2_4894 Depth=3
	s_or_b32 exec_lo, exec_lo, s72
	s_and_saveexec_b32 s72, s17
	s_cbranch_execz .LBB2_5258
.LBB2_5257:                             ;   in Loop: Header=BB2_4894 Depth=3
	v_and_b32_sdwa v90, v9, v103 dst_sel:DWORD dst_unused:UNUSED_PAD src0_sel:WORD_1 src1_sel:DWORD
	v_bfe_u32 v93, v9, 18, 5
	v_lshlrev_b32_sdwa v94, v100, v9 dst_sel:DWORD dst_unused:UNUSED_PAD src0_sel:DWORD src1_sel:WORD_1
	v_ffbh_u32_e32 v91, v90
	v_cmp_eq_u32_e32 vcc_lo, 0, v93
	v_min_u32_e32 v91, 32, v91
	v_subrev_nc_u32_e32 v92, 29, v91
	v_sub_nc_u32_e32 v91, 30, v91
	v_lshlrev_b32_sdwa v92, v92, v9 dst_sel:DWORD dst_unused:UNUSED_PAD src0_sel:DWORD src1_sel:WORD_1
	v_cndmask_b32_e32 v91, v93, v91, vcc_lo
	v_and_b32_e32 v92, 3, v92
	v_lshl_add_u32 v91, v91, 23, 0x37800000
	v_cndmask_b32_e32 v90, v90, v92, vcc_lo
	v_and_b32_e32 v92, 0x80000000, v94
	v_lshlrev_b32_e32 v90, 21, v90
	v_or3_b32 v90, v92, v91, v90
.LBB2_5258:                             ;   in Loop: Header=BB2_4894 Depth=3
	s_or_b32 exec_lo, exec_lo, s72
	v_add_f32_e32 v90, v77, v90
	v_and_b32_e32 v77, 0x7f800000, v90
	v_cmp_ne_u32_e32 vcc_lo, 0x7f800000, v77
	v_mov_b32_e32 v77, 0x80
	s_and_saveexec_b32 s72, vcc_lo
	s_cbranch_execz .LBB2_5266
; %bb.5259:                             ;   in Loop: Header=BB2_4894 Depth=3
	v_mov_b32_e32 v77, 0
	s_mov_b32 s73, exec_lo
	v_cmpx_ne_u32_e32 0, v90
	s_cbranch_execz .LBB2_5265
; %bb.5260:                             ;   in Loop: Header=BB2_4894 Depth=3
	v_bfe_u32 v77, v90, 23, 8
	v_and_b32_e32 v91, 0x7fffff, v90
	v_sub_nc_u32_e32 v92, 0x70, v77
	v_cmp_gt_u32_e32 vcc_lo, 0x71, v77
	v_or_b32_e32 v93, 0x800000, v91
	v_cndmask_b32_e32 v92, 0, v92, vcc_lo
	v_cmp_eq_u32_e32 vcc_lo, 0, v77
	v_add_nc_u32_e32 v77, 0xffffff91, v77
	v_cndmask_b32_e64 v92, v92, 0x6f, vcc_lo
	v_cndmask_b32_e32 v91, v93, v91, vcc_lo
	v_cndmask_b32_e64 v77, v77, 0xffffff92, vcc_lo
	v_lshl_add_u32 v93, 0x200000, v92, -1
	v_lshrrev_b32_e32 v94, v92, v91
	v_lshlrev_b32_e64 v104, v92, 0x100000
	v_add_nc_u32_e32 v92, v92, v77
	v_and_b32_e32 v91, v93, v91
	v_bfe_u32 v95, v94, 21, 1
	v_cmp_eq_u32_e64 s17, v91, v104
	v_add_nc_u32_e32 v93, -1, v95
	v_cndmask_b32_e64 v91, 0, v93, s17
	v_lshrrev_b32_e32 v93, 23, v94
	s_mov_b32 s17, exec_lo
	v_add_nc_u32_e32 v91, v91, v94
	v_xor_b32_e32 v93, 1, v93
	v_and_b32_e32 v77, 0x1fffff, v91
	v_add_nc_u32_e32 v91, v77, v94
                                        ; implicit-def: $vgpr77
	v_cmpx_ne_u32_e64 v92, v93
	s_xor_b32 s17, exec_lo, s17
; %bb.5261:                             ;   in Loop: Header=BB2_4894 Depth=3
	v_cmp_lt_u32_e32 vcc_lo, 0xffffff, v91
	v_sub_nc_u32_e32 v77, v92, v93
	v_cndmask_b32_e64 v92, 0, 1, vcc_lo
	v_add_co_ci_u32_e64 v77, null, 0, v77, vcc_lo
	v_lshrrev_b32_e32 v91, v92, v91
; %bb.5262:                             ;   in Loop: Header=BB2_4894 Depth=3
	s_andn2_saveexec_b32 s17, s17
; %bb.5263:                             ;   in Loop: Header=BB2_4894 Depth=3
	v_bfe_u32 v77, v91, 23, 1
; %bb.5264:                             ;   in Loop: Header=BB2_4894 Depth=3
	s_or_b32 exec_lo, exec_lo, s17
	v_lshrrev_b32_e32 v91, 21, v91
	v_min_i32_e32 v92, 31, v77
	v_cmp_gt_i32_e32 vcc_lo, 32, v77
	v_and_b32_sdwa v90, v90, v98 dst_sel:DWORD dst_unused:UNUSED_PAD src0_sel:BYTE_3 src1_sel:DWORD
	v_lshlrev_b32_e32 v92, 2, v92
	v_cndmask_b32_e32 v91, 3, v91, vcc_lo
	v_and_b32_e32 v92, 0xfc, v92
	v_and_b32_e32 v93, 3, v91
	v_or_b32_e32 v77, v77, v91
	v_or3_b32 v90, v92, v90, v93
	v_cmp_ne_u32_e32 vcc_lo, 0, v77
	v_cndmask_b32_e32 v77, 0, v90, vcc_lo
.LBB2_5265:                             ;   in Loop: Header=BB2_4894 Depth=3
	s_or_b32 exec_lo, exec_lo, s73
.LBB2_5266:                             ;   in Loop: Header=BB2_4894 Depth=3
	s_or_b32 exec_lo, exec_lo, s72
	v_cmp_gt_i16_sdwa s72, v88, v97 src0_sel:BYTE_3 src1_sel:DWORD
	s_mov_b32 s17, 0
	s_and_saveexec_b32 s73, s72
	s_xor_b32 s72, exec_lo, s73
	s_cbranch_execz .LBB2_5504
; %bb.5267:                             ;   in Loop: Header=BB2_4894 Depth=3
	v_cmp_eq_u16_sdwa s74, v88, v98 src0_sel:BYTE_3 src1_sel:DWORD
	s_mov_b32 s17, -1
	s_and_saveexec_b32 s73, s74
; %bb.5268:                             ;   in Loop: Header=BB2_4894 Depth=3
	s_xor_b32 s17, exec_lo, -1
; %bb.5269:                             ;   in Loop: Header=BB2_4894 Depth=3
	s_or_b32 exec_lo, exec_lo, s73
	s_and_b32 s17, s17, exec_lo
	s_or_saveexec_b32 s72, s72
	v_mov_b32_e32 v90, 0x7f800001
	s_xor_b32 exec_lo, exec_lo, s72
	s_cbranch_execnz .LBB2_5505
.LBB2_5270:                             ;   in Loop: Header=BB2_4894 Depth=3
	s_or_b32 exec_lo, exec_lo, s72
	s_and_saveexec_b32 s72, s17
	s_cbranch_execz .LBB2_5272
.LBB2_5271:                             ;   in Loop: Header=BB2_4894 Depth=3
	v_bfe_u32 v90, v88, 24, 2
	v_bfe_u32 v93, v88, 26, 5
	v_ffbh_u32_e32 v91, v90
	v_cmp_eq_u32_e32 vcc_lo, 0, v93
	v_min_u32_e32 v91, 32, v91
	v_subrev_nc_u32_e32 v92, 29, v91
	v_sub_nc_u32_e32 v91, 30, v91
	v_lshlrev_b32_sdwa v92, v92, v88 dst_sel:DWORD dst_unused:UNUSED_PAD src0_sel:DWORD src1_sel:BYTE_3
	v_cndmask_b32_e32 v91, v93, v91, vcc_lo
	v_and_b32_e32 v88, 0x80000000, v88
	v_and_b32_e32 v92, 3, v92
	v_lshl_add_u32 v91, v91, 23, 0x37800000
	v_cndmask_b32_e32 v90, v90, v92, vcc_lo
	v_lshlrev_b32_e32 v90, 21, v90
	v_or3_b32 v90, v88, v91, v90
.LBB2_5272:                             ;   in Loop: Header=BB2_4894 Depth=3
	s_or_b32 exec_lo, exec_lo, s72
	v_cmp_gt_i16_sdwa s72, v9, v97 src0_sel:BYTE_3 src1_sel:DWORD
	s_mov_b32 s17, 0
	s_and_saveexec_b32 s73, s72
	s_xor_b32 s72, exec_lo, s73
	s_cbranch_execz .LBB2_5506
; %bb.5273:                             ;   in Loop: Header=BB2_4894 Depth=3
	v_cmp_eq_u16_sdwa s74, v9, v98 src0_sel:BYTE_3 src1_sel:DWORD
	s_mov_b32 s17, -1
	s_and_saveexec_b32 s73, s74
; %bb.5274:                             ;   in Loop: Header=BB2_4894 Depth=3
	s_xor_b32 s17, exec_lo, -1
; %bb.5275:                             ;   in Loop: Header=BB2_4894 Depth=3
	s_or_b32 exec_lo, exec_lo, s73
	s_and_b32 s17, s17, exec_lo
	s_or_saveexec_b32 s72, s72
	v_mov_b32_e32 v88, 0x7f800001
	s_xor_b32 exec_lo, exec_lo, s72
	s_cbranch_execnz .LBB2_5507
.LBB2_5276:                             ;   in Loop: Header=BB2_4894 Depth=3
	s_or_b32 exec_lo, exec_lo, s72
	s_and_saveexec_b32 s72, s17
	s_cbranch_execz .LBB2_5278
.LBB2_5277:                             ;   in Loop: Header=BB2_4894 Depth=3
	v_and_b32_sdwa v88, v9, v103 dst_sel:DWORD dst_unused:UNUSED_PAD src0_sel:BYTE_3 src1_sel:DWORD
	v_bfe_u32 v93, v9, 26, 5
	v_ffbh_u32_e32 v91, v88
	v_cmp_eq_u32_e32 vcc_lo, 0, v93
	v_min_u32_e32 v91, 32, v91
	v_subrev_nc_u32_e32 v92, 29, v91
	v_sub_nc_u32_e32 v91, 30, v91
	v_lshlrev_b32_sdwa v92, v92, v9 dst_sel:DWORD dst_unused:UNUSED_PAD src0_sel:DWORD src1_sel:BYTE_3
	v_cndmask_b32_e32 v91, v93, v91, vcc_lo
	v_and_b32_e32 v9, 0x80000000, v9
	v_and_b32_e32 v92, 3, v92
	v_lshl_add_u32 v91, v91, 23, 0x37800000
	v_cndmask_b32_e32 v88, v88, v92, vcc_lo
	v_lshlrev_b32_e32 v88, 21, v88
	v_or3_b32 v88, v9, v91, v88
.LBB2_5278:                             ;   in Loop: Header=BB2_4894 Depth=3
	s_or_b32 exec_lo, exec_lo, s72
	v_add_f32_e32 v88, v90, v88
	v_and_b32_e32 v9, 0x7f800000, v88
	v_cmp_ne_u32_e32 vcc_lo, 0x7f800000, v9
	v_mov_b32_e32 v9, 0x8000
	s_and_saveexec_b32 s72, vcc_lo
	s_cbranch_execz .LBB2_5286
; %bb.5279:                             ;   in Loop: Header=BB2_4894 Depth=3
	v_mov_b32_e32 v9, 0
	s_mov_b32 s73, exec_lo
	v_cmpx_ne_u32_e32 0, v88
	s_cbranch_execz .LBB2_5285
; %bb.5280:                             ;   in Loop: Header=BB2_4894 Depth=3
	v_bfe_u32 v9, v88, 23, 8
	v_and_b32_e32 v90, 0x7fffff, v88
	v_sub_nc_u32_e32 v91, 0x70, v9
	v_cmp_gt_u32_e32 vcc_lo, 0x71, v9
	v_or_b32_e32 v92, 0x800000, v90
	v_cndmask_b32_e32 v91, 0, v91, vcc_lo
	v_cmp_eq_u32_e32 vcc_lo, 0, v9
	v_add_nc_u32_e32 v9, 0xffffff91, v9
	v_cndmask_b32_e64 v91, v91, 0x6f, vcc_lo
	v_cndmask_b32_e32 v90, v92, v90, vcc_lo
	v_cndmask_b32_e64 v9, v9, 0xffffff92, vcc_lo
	v_lshl_add_u32 v92, 0x200000, v91, -1
	v_lshrrev_b32_e32 v93, v91, v90
	v_lshlrev_b32_e64 v95, v91, 0x100000
	v_add_nc_u32_e32 v91, v91, v9
	v_and_b32_e32 v90, v92, v90
	v_bfe_u32 v94, v93, 21, 1
	v_cmp_eq_u32_e64 s17, v90, v95
	v_add_nc_u32_e32 v92, -1, v94
	v_cndmask_b32_e64 v90, 0, v92, s17
	v_lshrrev_b32_e32 v92, 23, v93
	s_mov_b32 s17, exec_lo
	v_add_nc_u32_e32 v90, v90, v93
	v_xor_b32_e32 v92, 1, v92
	v_and_b32_e32 v9, 0x1fffff, v90
	v_add_nc_u32_e32 v90, v9, v93
                                        ; implicit-def: $vgpr9
	v_cmpx_ne_u32_e64 v91, v92
	s_xor_b32 s17, exec_lo, s17
; %bb.5281:                             ;   in Loop: Header=BB2_4894 Depth=3
	v_cmp_lt_u32_e32 vcc_lo, 0xffffff, v90
	v_sub_nc_u32_e32 v9, v91, v92
	v_cndmask_b32_e64 v91, 0, 1, vcc_lo
	v_add_co_ci_u32_e64 v9, null, 0, v9, vcc_lo
	v_lshrrev_b32_e32 v90, v91, v90
; %bb.5282:                             ;   in Loop: Header=BB2_4894 Depth=3
	s_andn2_saveexec_b32 s17, s17
; %bb.5283:                             ;   in Loop: Header=BB2_4894 Depth=3
	v_bfe_u32 v9, v90, 23, 1
; %bb.5284:                             ;   in Loop: Header=BB2_4894 Depth=3
	s_or_b32 exec_lo, exec_lo, s17
	v_lshrrev_b32_e32 v90, 21, v90
	v_min_i32_e32 v91, 31, v9
	v_cmp_gt_i32_e32 vcc_lo, 32, v9
	v_and_b32_sdwa v88, v88, v98 dst_sel:DWORD dst_unused:UNUSED_PAD src0_sel:BYTE_3 src1_sel:DWORD
	v_lshlrev_b32_e32 v91, 2, v91
	v_cndmask_b32_e32 v90, 3, v90, vcc_lo
	v_and_b32_e32 v91, 0xfc, v91
	v_and_b32_e32 v92, 3, v90
	v_or_b32_e32 v9, v9, v90
	v_or3_b32 v88, v88, v91, v92
	v_cmp_ne_u32_e32 vcc_lo, 0, v9
	v_lshlrev_b32_e32 v88, 8, v88
	v_cndmask_b32_e32 v9, 0, v88, vcc_lo
.LBB2_5285:                             ;   in Loop: Header=BB2_4894 Depth=3
	s_or_b32 exec_lo, exec_lo, s73
.LBB2_5286:                             ;   in Loop: Header=BB2_4894 Depth=3
	s_or_b32 exec_lo, exec_lo, s72
	v_or_b32_e32 v88, v78, v74
	s_mov_b32 s17, 0
	v_cmp_gt_i16_sdwa s72, v88, v97 src0_sel:BYTE_0 src1_sel:DWORD
	s_and_saveexec_b32 s73, s72
	s_xor_b32 s72, exec_lo, s73
	s_cbranch_execz .LBB2_5508
; %bb.5287:                             ;   in Loop: Header=BB2_4894 Depth=3
	v_cmp_eq_u16_sdwa s74, v88, v98 src0_sel:BYTE_0 src1_sel:DWORD
	s_mov_b32 s17, -1
	s_and_saveexec_b32 s73, s74
; %bb.5288:                             ;   in Loop: Header=BB2_4894 Depth=3
	s_xor_b32 s17, exec_lo, -1
; %bb.5289:                             ;   in Loop: Header=BB2_4894 Depth=3
	s_or_b32 exec_lo, exec_lo, s73
	s_and_b32 s17, s17, exec_lo
	s_or_saveexec_b32 s72, s72
	v_mov_b32_e32 v74, 0x7f800001
	s_xor_b32 exec_lo, exec_lo, s72
	s_cbranch_execnz .LBB2_5509
.LBB2_5290:                             ;   in Loop: Header=BB2_4894 Depth=3
	s_or_b32 exec_lo, exec_lo, s72
	s_and_saveexec_b32 s72, s17
	s_cbranch_execz .LBB2_5292
.LBB2_5291:                             ;   in Loop: Header=BB2_4894 Depth=3
	v_and_b32_e32 v74, 3, v88
	v_bfe_u32 v91, v88, 2, 5
	v_lshlrev_b32_e32 v92, 24, v88
	v_ffbh_u32_e32 v78, v74
	v_cmp_eq_u32_e32 vcc_lo, 0, v91
	v_min_u32_e32 v78, 32, v78
	v_subrev_nc_u32_e32 v90, 29, v78
	v_sub_nc_u32_e32 v78, 30, v78
	v_lshlrev_b32_e32 v90, v90, v88
	v_cndmask_b32_e32 v78, v91, v78, vcc_lo
	v_and_b32_e32 v90, 3, v90
	v_lshl_add_u32 v78, v78, 23, 0x37800000
	v_cndmask_b32_e32 v74, v74, v90, vcc_lo
	v_and_b32_e32 v90, 0x80000000, v92
	v_lshlrev_b32_e32 v74, 21, v74
	v_or3_b32 v74, v90, v78, v74
.LBB2_5292:                             ;   in Loop: Header=BB2_4894 Depth=3
	s_or_b32 exec_lo, exec_lo, s72
	v_cmp_gt_i16_sdwa s72, v10, v97 src0_sel:BYTE_0 src1_sel:DWORD
	s_mov_b32 s17, 0
	s_and_saveexec_b32 s73, s72
	s_xor_b32 s72, exec_lo, s73
	s_cbranch_execz .LBB2_5510
; %bb.5293:                             ;   in Loop: Header=BB2_4894 Depth=3
	v_cmp_eq_u16_sdwa s74, v10, v98 src0_sel:BYTE_0 src1_sel:DWORD
	s_mov_b32 s17, -1
	s_and_saveexec_b32 s73, s74
; %bb.5294:                             ;   in Loop: Header=BB2_4894 Depth=3
	s_xor_b32 s17, exec_lo, -1
; %bb.5295:                             ;   in Loop: Header=BB2_4894 Depth=3
	s_or_b32 exec_lo, exec_lo, s73
	s_and_b32 s17, s17, exec_lo
	s_or_saveexec_b32 s72, s72
	v_mov_b32_e32 v78, 0x7f800001
	s_xor_b32 exec_lo, exec_lo, s72
	s_cbranch_execnz .LBB2_5511
.LBB2_5296:                             ;   in Loop: Header=BB2_4894 Depth=3
	s_or_b32 exec_lo, exec_lo, s72
	s_and_saveexec_b32 s72, s17
	s_cbranch_execz .LBB2_5298
.LBB2_5297:                             ;   in Loop: Header=BB2_4894 Depth=3
	v_and_b32_e32 v78, 3, v10
	v_bfe_u32 v92, v10, 2, 5
	v_lshlrev_b32_e32 v93, 24, v10
	v_ffbh_u32_e32 v90, v78
	v_cmp_eq_u32_e32 vcc_lo, 0, v92
	v_min_u32_e32 v90, 32, v90
	v_subrev_nc_u32_e32 v91, 29, v90
	v_sub_nc_u32_e32 v90, 30, v90
	v_lshlrev_b32_e32 v91, v91, v10
	v_cndmask_b32_e32 v90, v92, v90, vcc_lo
	v_and_b32_e32 v91, 3, v91
	v_lshl_add_u32 v90, v90, 23, 0x37800000
	v_cndmask_b32_e32 v78, v78, v91, vcc_lo
	v_and_b32_e32 v91, 0x80000000, v93
	v_lshlrev_b32_e32 v78, 21, v78
	v_or3_b32 v78, v91, v90, v78
.LBB2_5298:                             ;   in Loop: Header=BB2_4894 Depth=3
	s_or_b32 exec_lo, exec_lo, s72
	v_add_f32_e32 v78, v74, v78
	v_and_b32_e32 v74, 0x7f800000, v78
	v_cmp_ne_u32_e32 vcc_lo, 0x7f800000, v74
	v_mov_b32_e32 v74, 0x80
	s_and_saveexec_b32 s72, vcc_lo
	s_cbranch_execz .LBB2_5306
; %bb.5299:                             ;   in Loop: Header=BB2_4894 Depth=3
	v_mov_b32_e32 v74, 0
	s_mov_b32 s73, exec_lo
	v_cmpx_ne_u32_e32 0, v78
	s_cbranch_execz .LBB2_5305
; %bb.5300:                             ;   in Loop: Header=BB2_4894 Depth=3
	v_bfe_u32 v74, v78, 23, 8
	v_and_b32_e32 v90, 0x7fffff, v78
	v_sub_nc_u32_e32 v91, 0x70, v74
	v_cmp_gt_u32_e32 vcc_lo, 0x71, v74
	v_or_b32_e32 v92, 0x800000, v90
	v_cndmask_b32_e32 v91, 0, v91, vcc_lo
	v_cmp_eq_u32_e32 vcc_lo, 0, v74
	v_add_nc_u32_e32 v74, 0xffffff91, v74
	v_cndmask_b32_e64 v91, v91, 0x6f, vcc_lo
	v_cndmask_b32_e32 v90, v92, v90, vcc_lo
	v_cndmask_b32_e64 v74, v74, 0xffffff92, vcc_lo
	v_lshl_add_u32 v92, 0x200000, v91, -1
	v_lshrrev_b32_e32 v93, v91, v90
	v_lshlrev_b32_e64 v95, v91, 0x100000
	v_add_nc_u32_e32 v91, v91, v74
	v_and_b32_e32 v90, v92, v90
	v_bfe_u32 v94, v93, 21, 1
	v_cmp_eq_u32_e64 s17, v90, v95
	v_add_nc_u32_e32 v92, -1, v94
	v_cndmask_b32_e64 v90, 0, v92, s17
	v_lshrrev_b32_e32 v92, 23, v93
	s_mov_b32 s17, exec_lo
	v_add_nc_u32_e32 v90, v90, v93
	v_xor_b32_e32 v92, 1, v92
	v_and_b32_e32 v74, 0x1fffff, v90
	v_add_nc_u32_e32 v90, v74, v93
                                        ; implicit-def: $vgpr74
	v_cmpx_ne_u32_e64 v91, v92
	s_xor_b32 s17, exec_lo, s17
; %bb.5301:                             ;   in Loop: Header=BB2_4894 Depth=3
	v_cmp_lt_u32_e32 vcc_lo, 0xffffff, v90
	v_sub_nc_u32_e32 v74, v91, v92
	v_cndmask_b32_e64 v91, 0, 1, vcc_lo
	v_add_co_ci_u32_e64 v74, null, 0, v74, vcc_lo
	v_lshrrev_b32_e32 v90, v91, v90
; %bb.5302:                             ;   in Loop: Header=BB2_4894 Depth=3
	s_andn2_saveexec_b32 s17, s17
; %bb.5303:                             ;   in Loop: Header=BB2_4894 Depth=3
	v_bfe_u32 v74, v90, 23, 1
; %bb.5304:                             ;   in Loop: Header=BB2_4894 Depth=3
	s_or_b32 exec_lo, exec_lo, s17
	v_lshrrev_b32_e32 v90, 21, v90
	v_min_i32_e32 v91, 31, v74
	v_cmp_gt_i32_e32 vcc_lo, 32, v74
	v_and_b32_sdwa v78, v78, v98 dst_sel:DWORD dst_unused:UNUSED_PAD src0_sel:BYTE_3 src1_sel:DWORD
	v_lshlrev_b32_e32 v91, 2, v91
	v_cndmask_b32_e32 v90, 3, v90, vcc_lo
	v_and_b32_e32 v91, 0xfc, v91
	v_and_b32_e32 v92, 3, v90
	v_or_b32_e32 v74, v74, v90
	v_or3_b32 v78, v91, v78, v92
	v_cmp_ne_u32_e32 vcc_lo, 0, v74
	v_cndmask_b32_e32 v74, 0, v78, vcc_lo
.LBB2_5305:                             ;   in Loop: Header=BB2_4894 Depth=3
	s_or_b32 exec_lo, exec_lo, s73
.LBB2_5306:                             ;   in Loop: Header=BB2_4894 Depth=3
	s_or_b32 exec_lo, exec_lo, s72
	v_cmp_gt_i16_sdwa s72, v88, v97 src0_sel:BYTE_1 src1_sel:DWORD
	s_mov_b32 s17, 0
	s_and_saveexec_b32 s73, s72
	s_xor_b32 s72, exec_lo, s73
	s_cbranch_execz .LBB2_5512
; %bb.5307:                             ;   in Loop: Header=BB2_4894 Depth=3
	v_cmp_eq_u16_sdwa s74, v88, v98 src0_sel:BYTE_1 src1_sel:DWORD
	s_mov_b32 s17, -1
	s_and_saveexec_b32 s73, s74
; %bb.5308:                             ;   in Loop: Header=BB2_4894 Depth=3
	s_xor_b32 s17, exec_lo, -1
; %bb.5309:                             ;   in Loop: Header=BB2_4894 Depth=3
	s_or_b32 exec_lo, exec_lo, s73
	s_and_b32 s17, s17, exec_lo
	s_or_saveexec_b32 s72, s72
	v_mov_b32_e32 v78, 0x7f800001
	s_xor_b32 exec_lo, exec_lo, s72
	s_cbranch_execnz .LBB2_5513
.LBB2_5310:                             ;   in Loop: Header=BB2_4894 Depth=3
	s_or_b32 exec_lo, exec_lo, s72
	s_and_saveexec_b32 s72, s17
	s_cbranch_execz .LBB2_5312
.LBB2_5311:                             ;   in Loop: Header=BB2_4894 Depth=3
	v_and_b32_sdwa v78, v99, v88 dst_sel:DWORD dst_unused:UNUSED_PAD src0_sel:DWORD src1_sel:BYTE_1
	v_and_b32_e32 v90, 3, v78
	v_bfe_u32 v93, v78, 2, 5
	v_ffbh_u32_e32 v91, v90
	v_cmp_eq_u32_e32 vcc_lo, 0, v93
	v_min_u32_e32 v91, 32, v91
	v_subrev_nc_u32_e32 v92, 29, v91
	v_sub_nc_u32_e32 v91, 30, v91
	v_lshlrev_b32_e32 v78, v92, v78
	v_lshlrev_b32_sdwa v92, v100, v88 dst_sel:DWORD dst_unused:UNUSED_PAD src0_sel:DWORD src1_sel:BYTE_1
	v_cndmask_b32_e32 v91, v93, v91, vcc_lo
	v_and_b32_e32 v78, 3, v78
	v_lshl_add_u32 v91, v91, 23, 0x37800000
	v_cndmask_b32_e32 v78, v90, v78, vcc_lo
	v_and_b32_e32 v90, 0x80000000, v92
	v_lshlrev_b32_e32 v78, 21, v78
	v_or3_b32 v78, v90, v91, v78
.LBB2_5312:                             ;   in Loop: Header=BB2_4894 Depth=3
	s_or_b32 exec_lo, exec_lo, s72
	v_cmp_gt_i16_sdwa s72, v10, v97 src0_sel:BYTE_1 src1_sel:DWORD
	s_mov_b32 s17, 0
	s_and_saveexec_b32 s73, s72
	s_xor_b32 s72, exec_lo, s73
	s_cbranch_execz .LBB2_5514
; %bb.5313:                             ;   in Loop: Header=BB2_4894 Depth=3
	v_cmp_eq_u16_sdwa s74, v10, v98 src0_sel:BYTE_1 src1_sel:DWORD
	s_mov_b32 s17, -1
	s_and_saveexec_b32 s73, s74
; %bb.5314:                             ;   in Loop: Header=BB2_4894 Depth=3
	s_xor_b32 s17, exec_lo, -1
; %bb.5315:                             ;   in Loop: Header=BB2_4894 Depth=3
	s_or_b32 exec_lo, exec_lo, s73
	s_and_b32 s17, s17, exec_lo
	s_or_saveexec_b32 s72, s72
	v_mov_b32_e32 v90, 0x7f800001
	s_xor_b32 exec_lo, exec_lo, s72
	s_cbranch_execnz .LBB2_5515
.LBB2_5316:                             ;   in Loop: Header=BB2_4894 Depth=3
	s_or_b32 exec_lo, exec_lo, s72
	s_and_saveexec_b32 s72, s17
	s_cbranch_execz .LBB2_5318
.LBB2_5317:                             ;   in Loop: Header=BB2_4894 Depth=3
	v_and_b32_sdwa v90, v99, v10 dst_sel:DWORD dst_unused:UNUSED_PAD src0_sel:DWORD src1_sel:BYTE_1
	v_and_b32_e32 v91, 3, v90
	v_bfe_u32 v94, v90, 2, 5
	v_ffbh_u32_e32 v92, v91
	v_cmp_eq_u32_e32 vcc_lo, 0, v94
	v_min_u32_e32 v92, 32, v92
	v_subrev_nc_u32_e32 v93, 29, v92
	v_sub_nc_u32_e32 v92, 30, v92
	v_lshlrev_b32_e32 v90, v93, v90
	v_lshlrev_b32_sdwa v93, v100, v10 dst_sel:DWORD dst_unused:UNUSED_PAD src0_sel:DWORD src1_sel:BYTE_1
	v_cndmask_b32_e32 v92, v94, v92, vcc_lo
	v_and_b32_e32 v90, 3, v90
	v_lshl_add_u32 v92, v92, 23, 0x37800000
	v_cndmask_b32_e32 v90, v91, v90, vcc_lo
	v_and_b32_e32 v91, 0x80000000, v93
	v_lshlrev_b32_e32 v90, 21, v90
	v_or3_b32 v90, v91, v92, v90
.LBB2_5318:                             ;   in Loop: Header=BB2_4894 Depth=3
	s_or_b32 exec_lo, exec_lo, s72
	v_add_f32_e32 v90, v78, v90
	v_and_b32_e32 v78, 0x7f800000, v90
	v_cmp_ne_u32_e32 vcc_lo, 0x7f800000, v78
	v_mov_b32_e32 v78, 0x8000
	s_and_saveexec_b32 s72, vcc_lo
	s_cbranch_execz .LBB2_5326
; %bb.5319:                             ;   in Loop: Header=BB2_4894 Depth=3
	v_mov_b32_e32 v78, 0
	s_mov_b32 s73, exec_lo
	v_cmpx_ne_u32_e32 0, v90
	s_cbranch_execz .LBB2_5325
; %bb.5320:                             ;   in Loop: Header=BB2_4894 Depth=3
	v_bfe_u32 v78, v90, 23, 8
	v_and_b32_e32 v91, 0x7fffff, v90
	v_sub_nc_u32_e32 v92, 0x70, v78
	v_cmp_gt_u32_e32 vcc_lo, 0x71, v78
	v_or_b32_e32 v93, 0x800000, v91
	v_cndmask_b32_e32 v92, 0, v92, vcc_lo
	v_cmp_eq_u32_e32 vcc_lo, 0, v78
	v_add_nc_u32_e32 v78, 0xffffff91, v78
	v_cndmask_b32_e64 v92, v92, 0x6f, vcc_lo
	v_cndmask_b32_e32 v91, v93, v91, vcc_lo
	v_cndmask_b32_e64 v78, v78, 0xffffff92, vcc_lo
	v_lshl_add_u32 v93, 0x200000, v92, -1
	v_lshrrev_b32_e32 v94, v92, v91
	v_lshlrev_b32_e64 v104, v92, 0x100000
	v_add_nc_u32_e32 v92, v92, v78
	v_and_b32_e32 v91, v93, v91
	v_bfe_u32 v95, v94, 21, 1
	v_cmp_eq_u32_e64 s17, v91, v104
	v_add_nc_u32_e32 v93, -1, v95
	v_cndmask_b32_e64 v91, 0, v93, s17
	v_lshrrev_b32_e32 v93, 23, v94
	s_mov_b32 s17, exec_lo
	v_add_nc_u32_e32 v91, v91, v94
	v_xor_b32_e32 v93, 1, v93
	v_and_b32_e32 v78, 0x1fffff, v91
	v_add_nc_u32_e32 v91, v78, v94
                                        ; implicit-def: $vgpr78
	v_cmpx_ne_u32_e64 v92, v93
	s_xor_b32 s17, exec_lo, s17
; %bb.5321:                             ;   in Loop: Header=BB2_4894 Depth=3
	v_cmp_lt_u32_e32 vcc_lo, 0xffffff, v91
	v_sub_nc_u32_e32 v78, v92, v93
	v_cndmask_b32_e64 v92, 0, 1, vcc_lo
	v_add_co_ci_u32_e64 v78, null, 0, v78, vcc_lo
	v_lshrrev_b32_e32 v91, v92, v91
; %bb.5322:                             ;   in Loop: Header=BB2_4894 Depth=3
	s_andn2_saveexec_b32 s17, s17
; %bb.5323:                             ;   in Loop: Header=BB2_4894 Depth=3
	v_bfe_u32 v78, v91, 23, 1
; %bb.5324:                             ;   in Loop: Header=BB2_4894 Depth=3
	s_or_b32 exec_lo, exec_lo, s17
	v_lshrrev_b32_e32 v91, 21, v91
	v_min_i32_e32 v92, 31, v78
	v_cmp_gt_i32_e32 vcc_lo, 32, v78
	v_and_b32_sdwa v90, v90, v98 dst_sel:DWORD dst_unused:UNUSED_PAD src0_sel:BYTE_3 src1_sel:DWORD
	v_lshlrev_b32_e32 v92, 2, v92
	v_cndmask_b32_e32 v91, 3, v91, vcc_lo
	v_and_b32_e32 v92, 0xfc, v92
	v_and_b32_e32 v93, 3, v91
	v_or_b32_e32 v78, v78, v91
	v_or3_b32 v90, v90, v92, v93
	v_cmp_ne_u32_e32 vcc_lo, 0, v78
	v_lshlrev_b32_e32 v90, 8, v90
	v_cndmask_b32_e32 v78, 0, v90, vcc_lo
.LBB2_5325:                             ;   in Loop: Header=BB2_4894 Depth=3
	s_or_b32 exec_lo, exec_lo, s73
.LBB2_5326:                             ;   in Loop: Header=BB2_4894 Depth=3
	s_or_b32 exec_lo, exec_lo, s72
	v_or_b32_e32 v76, v76, v72
	s_mov_b32 s17, 0
	v_cmp_gt_i16_sdwa s72, v76, v97 src0_sel:BYTE_0 src1_sel:DWORD
	s_and_saveexec_b32 s73, s72
	s_xor_b32 s72, exec_lo, s73
	s_cbranch_execz .LBB2_5516
; %bb.5327:                             ;   in Loop: Header=BB2_4894 Depth=3
	v_cmp_eq_u16_sdwa s74, v76, v98 src0_sel:BYTE_0 src1_sel:DWORD
	s_mov_b32 s17, -1
	s_and_saveexec_b32 s73, s74
; %bb.5328:                             ;   in Loop: Header=BB2_4894 Depth=3
	s_xor_b32 s17, exec_lo, -1
; %bb.5329:                             ;   in Loop: Header=BB2_4894 Depth=3
	s_or_b32 exec_lo, exec_lo, s73
	s_and_b32 s17, s17, exec_lo
	s_or_saveexec_b32 s72, s72
	v_mov_b32_e32 v72, 0x7f800001
	s_xor_b32 exec_lo, exec_lo, s72
	s_cbranch_execnz .LBB2_5517
.LBB2_5330:                             ;   in Loop: Header=BB2_4894 Depth=3
	s_or_b32 exec_lo, exec_lo, s72
	v_lshl_or_b32 v76, v76, 16, v88
	s_and_saveexec_b32 s72, s17
	s_cbranch_execz .LBB2_5332
.LBB2_5331:                             ;   in Loop: Header=BB2_4894 Depth=3
	v_bfe_u32 v72, v76, 16, 2
	v_bfe_u32 v91, v76, 18, 5
	v_lshlrev_b32_e32 v92, 8, v76
	v_ffbh_u32_e32 v88, v72
	v_cmp_eq_u32_e32 vcc_lo, 0, v91
	v_min_u32_e32 v88, 32, v88
	v_subrev_nc_u32_e32 v90, 29, v88
	v_sub_nc_u32_e32 v88, 30, v88
	v_lshlrev_b32_sdwa v90, v90, v76 dst_sel:DWORD dst_unused:UNUSED_PAD src0_sel:DWORD src1_sel:WORD_1
	v_cndmask_b32_e32 v88, v91, v88, vcc_lo
	v_and_b32_e32 v90, 3, v90
	v_lshl_add_u32 v88, v88, 23, 0x37800000
	v_cndmask_b32_e32 v72, v72, v90, vcc_lo
	v_and_b32_e32 v90, 0x80000000, v92
	v_lshlrev_b32_e32 v72, 21, v72
	v_or3_b32 v72, v90, v88, v72
.LBB2_5332:                             ;   in Loop: Header=BB2_4894 Depth=3
	s_or_b32 exec_lo, exec_lo, s72
	v_and_b32_sdwa v90, v10, v101 dst_sel:DWORD dst_unused:UNUSED_PAD src0_sel:WORD_1 src1_sel:DWORD
	s_mov_b32 s17, 0
	s_mov_b32 s72, exec_lo
	v_cmpx_lt_i16_e32 0x7f, v90
	s_xor_b32 s72, exec_lo, s72
	s_cbranch_execz .LBB2_5518
; %bb.5333:                             ;   in Loop: Header=BB2_4894 Depth=3
	s_mov_b32 s17, -1
	s_mov_b32 s73, exec_lo
	v_cmpx_eq_u16_e32 0x80, v90
; %bb.5334:                             ;   in Loop: Header=BB2_4894 Depth=3
	s_xor_b32 s17, exec_lo, -1
; %bb.5335:                             ;   in Loop: Header=BB2_4894 Depth=3
	s_or_b32 exec_lo, exec_lo, s73
	s_and_b32 s17, s17, exec_lo
                                        ; implicit-def: $vgpr90
	s_or_saveexec_b32 s72, s72
	v_mov_b32_e32 v88, 0x7f800001
	s_xor_b32 exec_lo, exec_lo, s72
	s_cbranch_execnz .LBB2_5519
.LBB2_5336:                             ;   in Loop: Header=BB2_4894 Depth=3
	s_or_b32 exec_lo, exec_lo, s72
	s_and_saveexec_b32 s72, s17
	s_cbranch_execz .LBB2_5338
.LBB2_5337:                             ;   in Loop: Header=BB2_4894 Depth=3
	v_and_b32_sdwa v88, v10, v103 dst_sel:DWORD dst_unused:UNUSED_PAD src0_sel:WORD_1 src1_sel:DWORD
	v_bfe_u32 v92, v10, 18, 5
	v_lshlrev_b32_sdwa v93, v100, v10 dst_sel:DWORD dst_unused:UNUSED_PAD src0_sel:DWORD src1_sel:WORD_1
	v_ffbh_u32_e32 v90, v88
	v_cmp_eq_u32_e32 vcc_lo, 0, v92
	v_min_u32_e32 v90, 32, v90
	v_subrev_nc_u32_e32 v91, 29, v90
	v_sub_nc_u32_e32 v90, 30, v90
	v_lshlrev_b32_sdwa v91, v91, v10 dst_sel:DWORD dst_unused:UNUSED_PAD src0_sel:DWORD src1_sel:WORD_1
	v_cndmask_b32_e32 v90, v92, v90, vcc_lo
	v_and_b32_e32 v91, 3, v91
	v_lshl_add_u32 v90, v90, 23, 0x37800000
	v_cndmask_b32_e32 v88, v88, v91, vcc_lo
	v_and_b32_e32 v91, 0x80000000, v93
	v_lshlrev_b32_e32 v88, 21, v88
	v_or3_b32 v88, v91, v90, v88
.LBB2_5338:                             ;   in Loop: Header=BB2_4894 Depth=3
	s_or_b32 exec_lo, exec_lo, s72
	v_add_f32_e32 v88, v72, v88
	v_and_b32_e32 v72, 0x7f800000, v88
	v_cmp_ne_u32_e32 vcc_lo, 0x7f800000, v72
	v_mov_b32_e32 v72, 0x80
	s_and_saveexec_b32 s72, vcc_lo
	s_cbranch_execz .LBB2_5346
; %bb.5339:                             ;   in Loop: Header=BB2_4894 Depth=3
	v_mov_b32_e32 v72, 0
	s_mov_b32 s73, exec_lo
	v_cmpx_ne_u32_e32 0, v88
	s_cbranch_execz .LBB2_5345
; %bb.5340:                             ;   in Loop: Header=BB2_4894 Depth=3
	v_bfe_u32 v72, v88, 23, 8
	v_and_b32_e32 v90, 0x7fffff, v88
	v_sub_nc_u32_e32 v91, 0x70, v72
	v_cmp_gt_u32_e32 vcc_lo, 0x71, v72
	v_or_b32_e32 v92, 0x800000, v90
	v_cndmask_b32_e32 v91, 0, v91, vcc_lo
	v_cmp_eq_u32_e32 vcc_lo, 0, v72
	v_add_nc_u32_e32 v72, 0xffffff91, v72
	v_cndmask_b32_e64 v91, v91, 0x6f, vcc_lo
	v_cndmask_b32_e32 v90, v92, v90, vcc_lo
	v_cndmask_b32_e64 v72, v72, 0xffffff92, vcc_lo
	v_lshl_add_u32 v92, 0x200000, v91, -1
	v_lshrrev_b32_e32 v93, v91, v90
	v_lshlrev_b32_e64 v95, v91, 0x100000
	v_add_nc_u32_e32 v91, v91, v72
	v_and_b32_e32 v90, v92, v90
	v_bfe_u32 v94, v93, 21, 1
	v_cmp_eq_u32_e64 s17, v90, v95
	v_add_nc_u32_e32 v92, -1, v94
	v_cndmask_b32_e64 v90, 0, v92, s17
	v_lshrrev_b32_e32 v92, 23, v93
	s_mov_b32 s17, exec_lo
	v_add_nc_u32_e32 v90, v90, v93
	v_xor_b32_e32 v92, 1, v92
	v_and_b32_e32 v72, 0x1fffff, v90
	v_add_nc_u32_e32 v90, v72, v93
                                        ; implicit-def: $vgpr72
	v_cmpx_ne_u32_e64 v91, v92
	s_xor_b32 s17, exec_lo, s17
; %bb.5341:                             ;   in Loop: Header=BB2_4894 Depth=3
	v_cmp_lt_u32_e32 vcc_lo, 0xffffff, v90
	v_sub_nc_u32_e32 v72, v91, v92
	v_cndmask_b32_e64 v91, 0, 1, vcc_lo
	v_add_co_ci_u32_e64 v72, null, 0, v72, vcc_lo
	v_lshrrev_b32_e32 v90, v91, v90
; %bb.5342:                             ;   in Loop: Header=BB2_4894 Depth=3
	s_andn2_saveexec_b32 s17, s17
; %bb.5343:                             ;   in Loop: Header=BB2_4894 Depth=3
	v_bfe_u32 v72, v90, 23, 1
; %bb.5344:                             ;   in Loop: Header=BB2_4894 Depth=3
	s_or_b32 exec_lo, exec_lo, s17
	v_lshrrev_b32_e32 v90, 21, v90
	v_min_i32_e32 v91, 31, v72
	v_cmp_gt_i32_e32 vcc_lo, 32, v72
	v_and_b32_sdwa v88, v88, v98 dst_sel:DWORD dst_unused:UNUSED_PAD src0_sel:BYTE_3 src1_sel:DWORD
	v_lshlrev_b32_e32 v91, 2, v91
	v_cndmask_b32_e32 v90, 3, v90, vcc_lo
	v_and_b32_e32 v91, 0xfc, v91
	v_and_b32_e32 v92, 3, v90
	v_or_b32_e32 v72, v72, v90
	v_or3_b32 v88, v91, v88, v92
	v_cmp_ne_u32_e32 vcc_lo, 0, v72
	v_cndmask_b32_e32 v72, 0, v88, vcc_lo
.LBB2_5345:                             ;   in Loop: Header=BB2_4894 Depth=3
	s_or_b32 exec_lo, exec_lo, s73
.LBB2_5346:                             ;   in Loop: Header=BB2_4894 Depth=3
	s_or_b32 exec_lo, exec_lo, s72
	v_cmp_gt_i16_sdwa s72, v76, v97 src0_sel:BYTE_3 src1_sel:DWORD
	s_mov_b32 s17, 0
	s_and_saveexec_b32 s73, s72
	s_xor_b32 s72, exec_lo, s73
	s_cbranch_execz .LBB2_5520
; %bb.5347:                             ;   in Loop: Header=BB2_4894 Depth=3
	v_cmp_eq_u16_sdwa s74, v76, v98 src0_sel:BYTE_3 src1_sel:DWORD
	s_mov_b32 s17, -1
	s_and_saveexec_b32 s73, s74
; %bb.5348:                             ;   in Loop: Header=BB2_4894 Depth=3
	s_xor_b32 s17, exec_lo, -1
; %bb.5349:                             ;   in Loop: Header=BB2_4894 Depth=3
	s_or_b32 exec_lo, exec_lo, s73
	s_and_b32 s17, s17, exec_lo
	s_or_saveexec_b32 s72, s72
	v_mov_b32_e32 v88, 0x7f800001
	s_xor_b32 exec_lo, exec_lo, s72
	s_cbranch_execnz .LBB2_5521
.LBB2_5350:                             ;   in Loop: Header=BB2_4894 Depth=3
	s_or_b32 exec_lo, exec_lo, s72
	s_and_saveexec_b32 s72, s17
	s_cbranch_execz .LBB2_5352
.LBB2_5351:                             ;   in Loop: Header=BB2_4894 Depth=3
	v_bfe_u32 v88, v76, 24, 2
	v_bfe_u32 v92, v76, 26, 5
	v_ffbh_u32_e32 v90, v88
	v_cmp_eq_u32_e32 vcc_lo, 0, v92
	v_min_u32_e32 v90, 32, v90
	v_subrev_nc_u32_e32 v91, 29, v90
	v_sub_nc_u32_e32 v90, 30, v90
	v_lshlrev_b32_sdwa v91, v91, v76 dst_sel:DWORD dst_unused:UNUSED_PAD src0_sel:DWORD src1_sel:BYTE_3
	v_cndmask_b32_e32 v90, v92, v90, vcc_lo
	v_and_b32_e32 v76, 0x80000000, v76
	v_and_b32_e32 v91, 3, v91
	v_lshl_add_u32 v90, v90, 23, 0x37800000
	v_cndmask_b32_e32 v88, v88, v91, vcc_lo
	v_lshlrev_b32_e32 v88, 21, v88
	v_or3_b32 v88, v76, v90, v88
.LBB2_5352:                             ;   in Loop: Header=BB2_4894 Depth=3
	s_or_b32 exec_lo, exec_lo, s72
	v_cmp_gt_i16_sdwa s72, v10, v97 src0_sel:BYTE_3 src1_sel:DWORD
	s_mov_b32 s17, 0
	s_and_saveexec_b32 s73, s72
	s_xor_b32 s72, exec_lo, s73
	s_cbranch_execz .LBB2_5522
; %bb.5353:                             ;   in Loop: Header=BB2_4894 Depth=3
	v_cmp_eq_u16_sdwa s74, v10, v98 src0_sel:BYTE_3 src1_sel:DWORD
	s_mov_b32 s17, -1
	s_and_saveexec_b32 s73, s74
; %bb.5354:                             ;   in Loop: Header=BB2_4894 Depth=3
	s_xor_b32 s17, exec_lo, -1
; %bb.5355:                             ;   in Loop: Header=BB2_4894 Depth=3
	s_or_b32 exec_lo, exec_lo, s73
	s_and_b32 s17, s17, exec_lo
	s_or_saveexec_b32 s72, s72
	v_mov_b32_e32 v76, 0x7f800001
	s_xor_b32 exec_lo, exec_lo, s72
	s_cbranch_execnz .LBB2_5523
.LBB2_5356:                             ;   in Loop: Header=BB2_4894 Depth=3
	s_or_b32 exec_lo, exec_lo, s72
	s_and_saveexec_b32 s72, s17
	s_cbranch_execz .LBB2_5358
.LBB2_5357:                             ;   in Loop: Header=BB2_4894 Depth=3
	v_and_b32_sdwa v76, v10, v103 dst_sel:DWORD dst_unused:UNUSED_PAD src0_sel:BYTE_3 src1_sel:DWORD
	v_bfe_u32 v92, v10, 26, 5
	v_ffbh_u32_e32 v90, v76
	v_cmp_eq_u32_e32 vcc_lo, 0, v92
	v_min_u32_e32 v90, 32, v90
	v_subrev_nc_u32_e32 v91, 29, v90
	v_sub_nc_u32_e32 v90, 30, v90
	v_lshlrev_b32_sdwa v91, v91, v10 dst_sel:DWORD dst_unused:UNUSED_PAD src0_sel:DWORD src1_sel:BYTE_3
	v_cndmask_b32_e32 v90, v92, v90, vcc_lo
	v_and_b32_e32 v10, 0x80000000, v10
	v_and_b32_e32 v91, 3, v91
	v_lshl_add_u32 v90, v90, 23, 0x37800000
	v_cndmask_b32_e32 v76, v76, v91, vcc_lo
	v_lshlrev_b32_e32 v76, 21, v76
	v_or3_b32 v76, v10, v90, v76
.LBB2_5358:                             ;   in Loop: Header=BB2_4894 Depth=3
	s_or_b32 exec_lo, exec_lo, s72
	v_add_f32_e32 v76, v88, v76
	v_and_b32_e32 v10, 0x7f800000, v76
	v_cmp_ne_u32_e32 vcc_lo, 0x7f800000, v10
	v_mov_b32_e32 v10, 0x8000
	s_and_saveexec_b32 s72, vcc_lo
	s_cbranch_execz .LBB2_5366
; %bb.5359:                             ;   in Loop: Header=BB2_4894 Depth=3
	v_mov_b32_e32 v10, 0
	s_mov_b32 s73, exec_lo
	v_cmpx_ne_u32_e32 0, v76
	s_cbranch_execz .LBB2_5365
; %bb.5360:                             ;   in Loop: Header=BB2_4894 Depth=3
	v_bfe_u32 v10, v76, 23, 8
	v_and_b32_e32 v88, 0x7fffff, v76
	v_sub_nc_u32_e32 v90, 0x70, v10
	v_cmp_gt_u32_e32 vcc_lo, 0x71, v10
	v_or_b32_e32 v91, 0x800000, v88
	v_cndmask_b32_e32 v90, 0, v90, vcc_lo
	v_cmp_eq_u32_e32 vcc_lo, 0, v10
	v_add_nc_u32_e32 v10, 0xffffff91, v10
	v_cndmask_b32_e64 v90, v90, 0x6f, vcc_lo
	v_cndmask_b32_e32 v88, v91, v88, vcc_lo
	v_cndmask_b32_e64 v10, v10, 0xffffff92, vcc_lo
	v_lshl_add_u32 v91, 0x200000, v90, -1
	v_lshrrev_b32_e32 v92, v90, v88
	v_lshlrev_b32_e64 v94, v90, 0x100000
	v_add_nc_u32_e32 v90, v90, v10
	v_and_b32_e32 v88, v91, v88
	v_bfe_u32 v93, v92, 21, 1
	v_cmp_eq_u32_e64 s17, v88, v94
	v_add_nc_u32_e32 v91, -1, v93
	v_cndmask_b32_e64 v88, 0, v91, s17
	v_lshrrev_b32_e32 v91, 23, v92
	s_mov_b32 s17, exec_lo
	v_add_nc_u32_e32 v88, v88, v92
	v_xor_b32_e32 v91, 1, v91
	v_and_b32_e32 v10, 0x1fffff, v88
	v_add_nc_u32_e32 v88, v10, v92
                                        ; implicit-def: $vgpr10
	v_cmpx_ne_u32_e64 v90, v91
	s_xor_b32 s17, exec_lo, s17
; %bb.5361:                             ;   in Loop: Header=BB2_4894 Depth=3
	v_cmp_lt_u32_e32 vcc_lo, 0xffffff, v88
	v_sub_nc_u32_e32 v10, v90, v91
	v_cndmask_b32_e64 v90, 0, 1, vcc_lo
	v_add_co_ci_u32_e64 v10, null, 0, v10, vcc_lo
	v_lshrrev_b32_e32 v88, v90, v88
; %bb.5362:                             ;   in Loop: Header=BB2_4894 Depth=3
	s_andn2_saveexec_b32 s17, s17
; %bb.5363:                             ;   in Loop: Header=BB2_4894 Depth=3
	v_bfe_u32 v10, v88, 23, 1
; %bb.5364:                             ;   in Loop: Header=BB2_4894 Depth=3
	s_or_b32 exec_lo, exec_lo, s17
	v_lshrrev_b32_e32 v88, 21, v88
	v_min_i32_e32 v90, 31, v10
	v_cmp_gt_i32_e32 vcc_lo, 32, v10
	v_and_b32_sdwa v76, v76, v98 dst_sel:DWORD dst_unused:UNUSED_PAD src0_sel:BYTE_3 src1_sel:DWORD
	v_lshlrev_b32_e32 v90, 2, v90
	v_cndmask_b32_e32 v88, 3, v88, vcc_lo
	v_and_b32_e32 v90, 0xfc, v90
	v_and_b32_e32 v91, 3, v88
	v_or_b32_e32 v10, v10, v88
	v_or3_b32 v76, v76, v90, v91
	v_cmp_ne_u32_e32 vcc_lo, 0, v10
	v_lshlrev_b32_e32 v76, 8, v76
	v_cndmask_b32_e32 v10, 0, v76, vcc_lo
.LBB2_5365:                             ;   in Loop: Header=BB2_4894 Depth=3
	s_or_b32 exec_lo, exec_lo, s73
.LBB2_5366:                             ;   in Loop: Header=BB2_4894 Depth=3
	s_or_b32 exec_lo, exec_lo, s72
	v_or_b32_e32 v73, v73, v61
	s_mov_b32 s17, 0
	v_cmp_gt_i16_sdwa s72, v73, v97 src0_sel:BYTE_0 src1_sel:DWORD
	s_and_saveexec_b32 s73, s72
	s_xor_b32 s72, exec_lo, s73
	s_cbranch_execz .LBB2_5524
; %bb.5367:                             ;   in Loop: Header=BB2_4894 Depth=3
	v_cmp_eq_u16_sdwa s74, v73, v98 src0_sel:BYTE_0 src1_sel:DWORD
	s_mov_b32 s17, -1
	s_and_saveexec_b32 s73, s74
; %bb.5368:                             ;   in Loop: Header=BB2_4894 Depth=3
	s_xor_b32 s17, exec_lo, -1
; %bb.5369:                             ;   in Loop: Header=BB2_4894 Depth=3
	s_or_b32 exec_lo, exec_lo, s73
	s_and_b32 s17, s17, exec_lo
	s_or_saveexec_b32 s72, s72
	v_mov_b32_e32 v61, 0x7f800001
	s_xor_b32 exec_lo, exec_lo, s72
	s_cbranch_execnz .LBB2_5525
.LBB2_5370:                             ;   in Loop: Header=BB2_4894 Depth=3
	s_or_b32 exec_lo, exec_lo, s72
	s_and_saveexec_b32 s72, s17
	s_cbranch_execz .LBB2_5372
.LBB2_5371:                             ;   in Loop: Header=BB2_4894 Depth=3
	v_and_b32_e32 v61, 3, v73
	v_bfe_u32 v90, v73, 2, 5
	v_lshlrev_b32_e32 v91, 24, v73
	v_ffbh_u32_e32 v76, v61
	v_cmp_eq_u32_e32 vcc_lo, 0, v90
	v_min_u32_e32 v76, 32, v76
	v_subrev_nc_u32_e32 v88, 29, v76
	v_sub_nc_u32_e32 v76, 30, v76
	v_lshlrev_b32_e32 v88, v88, v73
	v_cndmask_b32_e32 v76, v90, v76, vcc_lo
	v_and_b32_e32 v88, 3, v88
	v_lshl_add_u32 v76, v76, 23, 0x37800000
	v_cndmask_b32_e32 v61, v61, v88, vcc_lo
	v_and_b32_e32 v88, 0x80000000, v91
	v_lshlrev_b32_e32 v61, 21, v61
	v_or3_b32 v61, v88, v76, v61
.LBB2_5372:                             ;   in Loop: Header=BB2_4894 Depth=3
	s_or_b32 exec_lo, exec_lo, s72
	v_cmp_gt_i16_sdwa s72, v11, v97 src0_sel:BYTE_0 src1_sel:DWORD
	s_mov_b32 s17, 0
	s_and_saveexec_b32 s73, s72
	s_xor_b32 s72, exec_lo, s73
	s_cbranch_execz .LBB2_5526
; %bb.5373:                             ;   in Loop: Header=BB2_4894 Depth=3
	v_cmp_eq_u16_sdwa s74, v11, v98 src0_sel:BYTE_0 src1_sel:DWORD
	s_mov_b32 s17, -1
	s_and_saveexec_b32 s73, s74
; %bb.5374:                             ;   in Loop: Header=BB2_4894 Depth=3
	s_xor_b32 s17, exec_lo, -1
; %bb.5375:                             ;   in Loop: Header=BB2_4894 Depth=3
	s_or_b32 exec_lo, exec_lo, s73
	s_and_b32 s17, s17, exec_lo
	s_or_saveexec_b32 s72, s72
	v_mov_b32_e32 v76, 0x7f800001
	s_xor_b32 exec_lo, exec_lo, s72
	s_cbranch_execnz .LBB2_5527
.LBB2_5376:                             ;   in Loop: Header=BB2_4894 Depth=3
	s_or_b32 exec_lo, exec_lo, s72
	s_and_saveexec_b32 s72, s17
	s_cbranch_execz .LBB2_5378
.LBB2_5377:                             ;   in Loop: Header=BB2_4894 Depth=3
	v_and_b32_e32 v76, 3, v11
	v_bfe_u32 v91, v11, 2, 5
	v_lshlrev_b32_e32 v92, 24, v11
	v_ffbh_u32_e32 v88, v76
	v_cmp_eq_u32_e32 vcc_lo, 0, v91
	v_min_u32_e32 v88, 32, v88
	v_subrev_nc_u32_e32 v90, 29, v88
	v_sub_nc_u32_e32 v88, 30, v88
	v_lshlrev_b32_e32 v90, v90, v11
	v_cndmask_b32_e32 v88, v91, v88, vcc_lo
	v_and_b32_e32 v90, 3, v90
	v_lshl_add_u32 v88, v88, 23, 0x37800000
	v_cndmask_b32_e32 v76, v76, v90, vcc_lo
	v_and_b32_e32 v90, 0x80000000, v92
	v_lshlrev_b32_e32 v76, 21, v76
	v_or3_b32 v76, v90, v88, v76
.LBB2_5378:                             ;   in Loop: Header=BB2_4894 Depth=3
	s_or_b32 exec_lo, exec_lo, s72
	v_add_f32_e32 v76, v61, v76
	v_and_b32_e32 v61, 0x7f800000, v76
	v_cmp_ne_u32_e32 vcc_lo, 0x7f800000, v61
	v_mov_b32_e32 v61, 0x80
	s_and_saveexec_b32 s72, vcc_lo
	s_cbranch_execz .LBB2_5386
; %bb.5379:                             ;   in Loop: Header=BB2_4894 Depth=3
	v_mov_b32_e32 v61, 0
	s_mov_b32 s73, exec_lo
	v_cmpx_ne_u32_e32 0, v76
	s_cbranch_execz .LBB2_5385
; %bb.5380:                             ;   in Loop: Header=BB2_4894 Depth=3
	v_bfe_u32 v61, v76, 23, 8
	v_and_b32_e32 v88, 0x7fffff, v76
	v_sub_nc_u32_e32 v90, 0x70, v61
	v_cmp_gt_u32_e32 vcc_lo, 0x71, v61
	v_or_b32_e32 v91, 0x800000, v88
	v_cndmask_b32_e32 v90, 0, v90, vcc_lo
	v_cmp_eq_u32_e32 vcc_lo, 0, v61
	v_add_nc_u32_e32 v61, 0xffffff91, v61
	v_cndmask_b32_e64 v90, v90, 0x6f, vcc_lo
	v_cndmask_b32_e32 v88, v91, v88, vcc_lo
	v_cndmask_b32_e64 v61, v61, 0xffffff92, vcc_lo
	v_lshl_add_u32 v91, 0x200000, v90, -1
	v_lshrrev_b32_e32 v92, v90, v88
	v_lshlrev_b32_e64 v94, v90, 0x100000
	v_add_nc_u32_e32 v90, v90, v61
	v_and_b32_e32 v88, v91, v88
	v_bfe_u32 v93, v92, 21, 1
	v_cmp_eq_u32_e64 s17, v88, v94
	v_add_nc_u32_e32 v91, -1, v93
	v_cndmask_b32_e64 v88, 0, v91, s17
	v_lshrrev_b32_e32 v91, 23, v92
	s_mov_b32 s17, exec_lo
	v_add_nc_u32_e32 v88, v88, v92
	v_xor_b32_e32 v91, 1, v91
	v_and_b32_e32 v61, 0x1fffff, v88
	v_add_nc_u32_e32 v88, v61, v92
                                        ; implicit-def: $vgpr61
	v_cmpx_ne_u32_e64 v90, v91
	s_xor_b32 s17, exec_lo, s17
; %bb.5381:                             ;   in Loop: Header=BB2_4894 Depth=3
	v_cmp_lt_u32_e32 vcc_lo, 0xffffff, v88
	v_sub_nc_u32_e32 v61, v90, v91
	v_cndmask_b32_e64 v90, 0, 1, vcc_lo
	v_add_co_ci_u32_e64 v61, null, 0, v61, vcc_lo
	v_lshrrev_b32_e32 v88, v90, v88
; %bb.5382:                             ;   in Loop: Header=BB2_4894 Depth=3
	s_andn2_saveexec_b32 s17, s17
; %bb.5383:                             ;   in Loop: Header=BB2_4894 Depth=3
	v_bfe_u32 v61, v88, 23, 1
; %bb.5384:                             ;   in Loop: Header=BB2_4894 Depth=3
	s_or_b32 exec_lo, exec_lo, s17
	v_lshrrev_b32_e32 v88, 21, v88
	v_min_i32_e32 v90, 31, v61
	v_cmp_gt_i32_e32 vcc_lo, 32, v61
	v_and_b32_sdwa v76, v76, v98 dst_sel:DWORD dst_unused:UNUSED_PAD src0_sel:BYTE_3 src1_sel:DWORD
	v_lshlrev_b32_e32 v90, 2, v90
	v_cndmask_b32_e32 v88, 3, v88, vcc_lo
	v_and_b32_e32 v90, 0xfc, v90
	v_and_b32_e32 v91, 3, v88
	v_or_b32_e32 v61, v61, v88
	v_or3_b32 v76, v90, v76, v91
	v_cmp_ne_u32_e32 vcc_lo, 0, v61
	v_cndmask_b32_e32 v61, 0, v76, vcc_lo
.LBB2_5385:                             ;   in Loop: Header=BB2_4894 Depth=3
	s_or_b32 exec_lo, exec_lo, s73
.LBB2_5386:                             ;   in Loop: Header=BB2_4894 Depth=3
	s_or_b32 exec_lo, exec_lo, s72
	v_cmp_gt_i16_sdwa s72, v73, v97 src0_sel:BYTE_1 src1_sel:DWORD
	s_mov_b32 s17, 0
	s_and_saveexec_b32 s73, s72
	s_xor_b32 s72, exec_lo, s73
	s_cbranch_execz .LBB2_5528
; %bb.5387:                             ;   in Loop: Header=BB2_4894 Depth=3
	v_cmp_eq_u16_sdwa s74, v73, v98 src0_sel:BYTE_1 src1_sel:DWORD
	s_mov_b32 s17, -1
	s_and_saveexec_b32 s73, s74
; %bb.5388:                             ;   in Loop: Header=BB2_4894 Depth=3
	s_xor_b32 s17, exec_lo, -1
; %bb.5389:                             ;   in Loop: Header=BB2_4894 Depth=3
	s_or_b32 exec_lo, exec_lo, s73
	s_and_b32 s17, s17, exec_lo
	s_or_saveexec_b32 s72, s72
	v_mov_b32_e32 v76, 0x7f800001
	s_xor_b32 exec_lo, exec_lo, s72
	s_cbranch_execnz .LBB2_5529
.LBB2_5390:                             ;   in Loop: Header=BB2_4894 Depth=3
	s_or_b32 exec_lo, exec_lo, s72
	s_and_saveexec_b32 s72, s17
	s_cbranch_execz .LBB2_5392
.LBB2_5391:                             ;   in Loop: Header=BB2_4894 Depth=3
	v_and_b32_sdwa v76, v99, v73 dst_sel:DWORD dst_unused:UNUSED_PAD src0_sel:DWORD src1_sel:BYTE_1
	v_and_b32_e32 v88, 3, v76
	v_bfe_u32 v92, v76, 2, 5
	v_ffbh_u32_e32 v90, v88
	v_cmp_eq_u32_e32 vcc_lo, 0, v92
	v_min_u32_e32 v90, 32, v90
	v_subrev_nc_u32_e32 v91, 29, v90
	v_sub_nc_u32_e32 v90, 30, v90
	v_lshlrev_b32_e32 v76, v91, v76
	v_lshlrev_b32_sdwa v91, v100, v73 dst_sel:DWORD dst_unused:UNUSED_PAD src0_sel:DWORD src1_sel:BYTE_1
	v_cndmask_b32_e32 v90, v92, v90, vcc_lo
	v_and_b32_e32 v76, 3, v76
	v_lshl_add_u32 v90, v90, 23, 0x37800000
	v_cndmask_b32_e32 v76, v88, v76, vcc_lo
	v_and_b32_e32 v88, 0x80000000, v91
	v_lshlrev_b32_e32 v76, 21, v76
	v_or3_b32 v76, v88, v90, v76
.LBB2_5392:                             ;   in Loop: Header=BB2_4894 Depth=3
	s_or_b32 exec_lo, exec_lo, s72
	v_cmp_gt_i16_sdwa s72, v11, v97 src0_sel:BYTE_1 src1_sel:DWORD
	s_mov_b32 s17, 0
	s_and_saveexec_b32 s73, s72
	s_xor_b32 s72, exec_lo, s73
	s_cbranch_execz .LBB2_5530
; %bb.5393:                             ;   in Loop: Header=BB2_4894 Depth=3
	v_cmp_eq_u16_sdwa s74, v11, v98 src0_sel:BYTE_1 src1_sel:DWORD
	s_mov_b32 s17, -1
	s_and_saveexec_b32 s73, s74
; %bb.5394:                             ;   in Loop: Header=BB2_4894 Depth=3
	s_xor_b32 s17, exec_lo, -1
; %bb.5395:                             ;   in Loop: Header=BB2_4894 Depth=3
	s_or_b32 exec_lo, exec_lo, s73
	s_and_b32 s17, s17, exec_lo
	s_or_saveexec_b32 s72, s72
	v_mov_b32_e32 v88, 0x7f800001
	s_xor_b32 exec_lo, exec_lo, s72
	s_cbranch_execnz .LBB2_5531
.LBB2_5396:                             ;   in Loop: Header=BB2_4894 Depth=3
	s_or_b32 exec_lo, exec_lo, s72
	s_and_saveexec_b32 s72, s17
	s_cbranch_execz .LBB2_5398
.LBB2_5397:                             ;   in Loop: Header=BB2_4894 Depth=3
	v_and_b32_sdwa v88, v99, v11 dst_sel:DWORD dst_unused:UNUSED_PAD src0_sel:DWORD src1_sel:BYTE_1
	v_and_b32_e32 v90, 3, v88
	v_bfe_u32 v93, v88, 2, 5
	v_ffbh_u32_e32 v91, v90
	v_cmp_eq_u32_e32 vcc_lo, 0, v93
	v_min_u32_e32 v91, 32, v91
	v_subrev_nc_u32_e32 v92, 29, v91
	v_sub_nc_u32_e32 v91, 30, v91
	v_lshlrev_b32_e32 v88, v92, v88
	v_lshlrev_b32_sdwa v92, v100, v11 dst_sel:DWORD dst_unused:UNUSED_PAD src0_sel:DWORD src1_sel:BYTE_1
	v_cndmask_b32_e32 v91, v93, v91, vcc_lo
	v_and_b32_e32 v88, 3, v88
	v_lshl_add_u32 v91, v91, 23, 0x37800000
	v_cndmask_b32_e32 v88, v90, v88, vcc_lo
	v_and_b32_e32 v90, 0x80000000, v92
	v_lshlrev_b32_e32 v88, 21, v88
	v_or3_b32 v88, v90, v91, v88
.LBB2_5398:                             ;   in Loop: Header=BB2_4894 Depth=3
	s_or_b32 exec_lo, exec_lo, s72
	v_add_f32_e32 v88, v76, v88
	v_and_b32_e32 v76, 0x7f800000, v88
	v_cmp_ne_u32_e32 vcc_lo, 0x7f800000, v76
	v_mov_b32_e32 v76, 0x8000
	s_and_saveexec_b32 s72, vcc_lo
	s_cbranch_execz .LBB2_5406
; %bb.5399:                             ;   in Loop: Header=BB2_4894 Depth=3
	v_mov_b32_e32 v76, 0
	s_mov_b32 s73, exec_lo
	v_cmpx_ne_u32_e32 0, v88
	s_cbranch_execz .LBB2_5405
; %bb.5400:                             ;   in Loop: Header=BB2_4894 Depth=3
	v_bfe_u32 v76, v88, 23, 8
	v_and_b32_e32 v90, 0x7fffff, v88
	v_sub_nc_u32_e32 v91, 0x70, v76
	v_cmp_gt_u32_e32 vcc_lo, 0x71, v76
	v_or_b32_e32 v92, 0x800000, v90
	v_cndmask_b32_e32 v91, 0, v91, vcc_lo
	v_cmp_eq_u32_e32 vcc_lo, 0, v76
	v_add_nc_u32_e32 v76, 0xffffff91, v76
	v_cndmask_b32_e64 v91, v91, 0x6f, vcc_lo
	v_cndmask_b32_e32 v90, v92, v90, vcc_lo
	v_cndmask_b32_e64 v76, v76, 0xffffff92, vcc_lo
	v_lshl_add_u32 v92, 0x200000, v91, -1
	v_lshrrev_b32_e32 v93, v91, v90
	v_lshlrev_b32_e64 v95, v91, 0x100000
	v_add_nc_u32_e32 v91, v91, v76
	v_and_b32_e32 v90, v92, v90
	v_bfe_u32 v94, v93, 21, 1
	v_cmp_eq_u32_e64 s17, v90, v95
	v_add_nc_u32_e32 v92, -1, v94
	v_cndmask_b32_e64 v90, 0, v92, s17
	v_lshrrev_b32_e32 v92, 23, v93
	s_mov_b32 s17, exec_lo
	v_add_nc_u32_e32 v90, v90, v93
	v_xor_b32_e32 v92, 1, v92
	v_and_b32_e32 v76, 0x1fffff, v90
	v_add_nc_u32_e32 v90, v76, v93
                                        ; implicit-def: $vgpr76
	v_cmpx_ne_u32_e64 v91, v92
	s_xor_b32 s17, exec_lo, s17
; %bb.5401:                             ;   in Loop: Header=BB2_4894 Depth=3
	v_cmp_lt_u32_e32 vcc_lo, 0xffffff, v90
	v_sub_nc_u32_e32 v76, v91, v92
	v_cndmask_b32_e64 v91, 0, 1, vcc_lo
	v_add_co_ci_u32_e64 v76, null, 0, v76, vcc_lo
	v_lshrrev_b32_e32 v90, v91, v90
; %bb.5402:                             ;   in Loop: Header=BB2_4894 Depth=3
	s_andn2_saveexec_b32 s17, s17
; %bb.5403:                             ;   in Loop: Header=BB2_4894 Depth=3
	v_bfe_u32 v76, v90, 23, 1
; %bb.5404:                             ;   in Loop: Header=BB2_4894 Depth=3
	s_or_b32 exec_lo, exec_lo, s17
	v_lshrrev_b32_e32 v90, 21, v90
	v_min_i32_e32 v91, 31, v76
	v_cmp_gt_i32_e32 vcc_lo, 32, v76
	v_and_b32_sdwa v88, v88, v98 dst_sel:DWORD dst_unused:UNUSED_PAD src0_sel:BYTE_3 src1_sel:DWORD
	v_lshlrev_b32_e32 v91, 2, v91
	v_cndmask_b32_e32 v90, 3, v90, vcc_lo
	v_and_b32_e32 v91, 0xfc, v91
	v_and_b32_e32 v92, 3, v90
	v_or_b32_e32 v76, v76, v90
	v_or3_b32 v88, v88, v91, v92
	v_cmp_ne_u32_e32 vcc_lo, 0, v76
	v_lshlrev_b32_e32 v88, 8, v88
	v_cndmask_b32_e32 v76, 0, v88, vcc_lo
.LBB2_5405:                             ;   in Loop: Header=BB2_4894 Depth=3
	s_or_b32 exec_lo, exec_lo, s73
.LBB2_5406:                             ;   in Loop: Header=BB2_4894 Depth=3
	s_or_b32 exec_lo, exec_lo, s72
	v_or_b32_e32 v63, v63, v60
	s_mov_b32 s17, 0
	v_cmp_gt_i16_sdwa s72, v63, v97 src0_sel:BYTE_0 src1_sel:DWORD
	s_and_saveexec_b32 s73, s72
	s_xor_b32 s72, exec_lo, s73
	s_cbranch_execz .LBB2_5532
; %bb.5407:                             ;   in Loop: Header=BB2_4894 Depth=3
	v_cmp_eq_u16_sdwa s74, v63, v98 src0_sel:BYTE_0 src1_sel:DWORD
	s_mov_b32 s17, -1
	s_and_saveexec_b32 s73, s74
; %bb.5408:                             ;   in Loop: Header=BB2_4894 Depth=3
	s_xor_b32 s17, exec_lo, -1
; %bb.5409:                             ;   in Loop: Header=BB2_4894 Depth=3
	s_or_b32 exec_lo, exec_lo, s73
	s_and_b32 s17, s17, exec_lo
	s_or_saveexec_b32 s72, s72
	v_mov_b32_e32 v60, 0x7f800001
	s_xor_b32 exec_lo, exec_lo, s72
	s_cbranch_execnz .LBB2_5533
.LBB2_5410:                             ;   in Loop: Header=BB2_4894 Depth=3
	s_or_b32 exec_lo, exec_lo, s72
	v_lshl_or_b32 v63, v63, 16, v73
	s_and_saveexec_b32 s72, s17
	s_cbranch_execz .LBB2_5412
.LBB2_5411:                             ;   in Loop: Header=BB2_4894 Depth=3
	v_bfe_u32 v60, v63, 16, 2
	v_bfe_u32 v90, v63, 18, 5
	v_lshlrev_b32_e32 v91, 8, v63
	v_ffbh_u32_e32 v73, v60
	v_cmp_eq_u32_e32 vcc_lo, 0, v90
	v_min_u32_e32 v73, 32, v73
	v_subrev_nc_u32_e32 v88, 29, v73
	v_sub_nc_u32_e32 v73, 30, v73
	v_lshlrev_b32_sdwa v88, v88, v63 dst_sel:DWORD dst_unused:UNUSED_PAD src0_sel:DWORD src1_sel:WORD_1
	v_cndmask_b32_e32 v73, v90, v73, vcc_lo
	v_and_b32_e32 v88, 3, v88
	v_lshl_add_u32 v73, v73, 23, 0x37800000
	v_cndmask_b32_e32 v60, v60, v88, vcc_lo
	v_and_b32_e32 v88, 0x80000000, v91
	v_lshlrev_b32_e32 v60, 21, v60
	v_or3_b32 v60, v88, v73, v60
.LBB2_5412:                             ;   in Loop: Header=BB2_4894 Depth=3
	s_or_b32 exec_lo, exec_lo, s72
	v_and_b32_sdwa v88, v11, v101 dst_sel:DWORD dst_unused:UNUSED_PAD src0_sel:WORD_1 src1_sel:DWORD
	s_mov_b32 s17, 0
	s_mov_b32 s72, exec_lo
	v_cmpx_lt_i16_e32 0x7f, v88
	s_xor_b32 s72, exec_lo, s72
	s_cbranch_execz .LBB2_5534
; %bb.5413:                             ;   in Loop: Header=BB2_4894 Depth=3
	s_mov_b32 s17, -1
	s_mov_b32 s73, exec_lo
	v_cmpx_eq_u16_e32 0x80, v88
; %bb.5414:                             ;   in Loop: Header=BB2_4894 Depth=3
	s_xor_b32 s17, exec_lo, -1
; %bb.5415:                             ;   in Loop: Header=BB2_4894 Depth=3
	s_or_b32 exec_lo, exec_lo, s73
	s_and_b32 s17, s17, exec_lo
                                        ; implicit-def: $vgpr88
	s_or_saveexec_b32 s72, s72
	v_mov_b32_e32 v73, 0x7f800001
	s_xor_b32 exec_lo, exec_lo, s72
	s_cbranch_execnz .LBB2_5535
.LBB2_5416:                             ;   in Loop: Header=BB2_4894 Depth=3
	s_or_b32 exec_lo, exec_lo, s72
	s_and_saveexec_b32 s72, s17
	s_cbranch_execz .LBB2_5418
.LBB2_5417:                             ;   in Loop: Header=BB2_4894 Depth=3
	v_and_b32_sdwa v73, v11, v103 dst_sel:DWORD dst_unused:UNUSED_PAD src0_sel:WORD_1 src1_sel:DWORD
	v_bfe_u32 v91, v11, 18, 5
	v_lshlrev_b32_sdwa v92, v100, v11 dst_sel:DWORD dst_unused:UNUSED_PAD src0_sel:DWORD src1_sel:WORD_1
	v_ffbh_u32_e32 v88, v73
	v_cmp_eq_u32_e32 vcc_lo, 0, v91
	v_min_u32_e32 v88, 32, v88
	v_subrev_nc_u32_e32 v90, 29, v88
	v_sub_nc_u32_e32 v88, 30, v88
	v_lshlrev_b32_sdwa v90, v90, v11 dst_sel:DWORD dst_unused:UNUSED_PAD src0_sel:DWORD src1_sel:WORD_1
	v_cndmask_b32_e32 v88, v91, v88, vcc_lo
	v_and_b32_e32 v90, 3, v90
	v_lshl_add_u32 v88, v88, 23, 0x37800000
	v_cndmask_b32_e32 v73, v73, v90, vcc_lo
	v_and_b32_e32 v90, 0x80000000, v92
	v_lshlrev_b32_e32 v73, 21, v73
	v_or3_b32 v73, v90, v88, v73
.LBB2_5418:                             ;   in Loop: Header=BB2_4894 Depth=3
	s_or_b32 exec_lo, exec_lo, s72
	v_add_f32_e32 v73, v60, v73
	v_and_b32_e32 v60, 0x7f800000, v73
	v_cmp_ne_u32_e32 vcc_lo, 0x7f800000, v60
	v_mov_b32_e32 v60, 0x80
	s_and_saveexec_b32 s72, vcc_lo
	s_cbranch_execz .LBB2_5426
; %bb.5419:                             ;   in Loop: Header=BB2_4894 Depth=3
	v_mov_b32_e32 v60, 0
	s_mov_b32 s73, exec_lo
	v_cmpx_ne_u32_e32 0, v73
	s_cbranch_execz .LBB2_5425
; %bb.5420:                             ;   in Loop: Header=BB2_4894 Depth=3
	v_bfe_u32 v60, v73, 23, 8
	v_and_b32_e32 v88, 0x7fffff, v73
	v_sub_nc_u32_e32 v90, 0x70, v60
	v_cmp_gt_u32_e32 vcc_lo, 0x71, v60
	v_or_b32_e32 v91, 0x800000, v88
	v_cndmask_b32_e32 v90, 0, v90, vcc_lo
	v_cmp_eq_u32_e32 vcc_lo, 0, v60
	v_add_nc_u32_e32 v60, 0xffffff91, v60
	v_cndmask_b32_e64 v90, v90, 0x6f, vcc_lo
	v_cndmask_b32_e32 v88, v91, v88, vcc_lo
	v_cndmask_b32_e64 v60, v60, 0xffffff92, vcc_lo
	v_lshl_add_u32 v91, 0x200000, v90, -1
	v_lshrrev_b32_e32 v92, v90, v88
	v_lshlrev_b32_e64 v94, v90, 0x100000
	v_add_nc_u32_e32 v90, v90, v60
	v_and_b32_e32 v88, v91, v88
	v_bfe_u32 v93, v92, 21, 1
	v_cmp_eq_u32_e64 s17, v88, v94
	v_add_nc_u32_e32 v91, -1, v93
	v_cndmask_b32_e64 v88, 0, v91, s17
	v_lshrrev_b32_e32 v91, 23, v92
	s_mov_b32 s17, exec_lo
	v_add_nc_u32_e32 v88, v88, v92
	v_xor_b32_e32 v91, 1, v91
	v_and_b32_e32 v60, 0x1fffff, v88
	v_add_nc_u32_e32 v88, v60, v92
                                        ; implicit-def: $vgpr60
	v_cmpx_ne_u32_e64 v90, v91
	s_xor_b32 s17, exec_lo, s17
; %bb.5421:                             ;   in Loop: Header=BB2_4894 Depth=3
	v_cmp_lt_u32_e32 vcc_lo, 0xffffff, v88
	v_sub_nc_u32_e32 v60, v90, v91
	v_cndmask_b32_e64 v90, 0, 1, vcc_lo
	v_add_co_ci_u32_e64 v60, null, 0, v60, vcc_lo
	v_lshrrev_b32_e32 v88, v90, v88
; %bb.5422:                             ;   in Loop: Header=BB2_4894 Depth=3
	s_andn2_saveexec_b32 s17, s17
; %bb.5423:                             ;   in Loop: Header=BB2_4894 Depth=3
	v_bfe_u32 v60, v88, 23, 1
; %bb.5424:                             ;   in Loop: Header=BB2_4894 Depth=3
	s_or_b32 exec_lo, exec_lo, s17
	v_lshrrev_b32_e32 v88, 21, v88
	v_min_i32_e32 v90, 31, v60
	v_cmp_gt_i32_e32 vcc_lo, 32, v60
	v_and_b32_sdwa v73, v73, v98 dst_sel:DWORD dst_unused:UNUSED_PAD src0_sel:BYTE_3 src1_sel:DWORD
	v_lshlrev_b32_e32 v90, 2, v90
	v_cndmask_b32_e32 v88, 3, v88, vcc_lo
	v_and_b32_e32 v90, 0xfc, v90
	v_and_b32_e32 v91, 3, v88
	v_or_b32_e32 v60, v60, v88
	v_or3_b32 v73, v90, v73, v91
	v_cmp_ne_u32_e32 vcc_lo, 0, v60
	v_cndmask_b32_e32 v60, 0, v73, vcc_lo
.LBB2_5425:                             ;   in Loop: Header=BB2_4894 Depth=3
	s_or_b32 exec_lo, exec_lo, s73
.LBB2_5426:                             ;   in Loop: Header=BB2_4894 Depth=3
	s_or_b32 exec_lo, exec_lo, s72
	v_cmp_gt_i16_sdwa s72, v63, v97 src0_sel:BYTE_3 src1_sel:DWORD
	s_mov_b32 s17, 0
	s_and_saveexec_b32 s73, s72
	s_xor_b32 s72, exec_lo, s73
	s_cbranch_execz .LBB2_5536
; %bb.5427:                             ;   in Loop: Header=BB2_4894 Depth=3
	v_cmp_eq_u16_sdwa s74, v63, v98 src0_sel:BYTE_3 src1_sel:DWORD
	s_mov_b32 s17, -1
	s_and_saveexec_b32 s73, s74
; %bb.5428:                             ;   in Loop: Header=BB2_4894 Depth=3
	s_xor_b32 s17, exec_lo, -1
; %bb.5429:                             ;   in Loop: Header=BB2_4894 Depth=3
	s_or_b32 exec_lo, exec_lo, s73
	s_and_b32 s17, s17, exec_lo
	s_or_saveexec_b32 s72, s72
	v_mov_b32_e32 v73, 0x7f800001
	s_xor_b32 exec_lo, exec_lo, s72
	s_cbranch_execnz .LBB2_5537
.LBB2_5430:                             ;   in Loop: Header=BB2_4894 Depth=3
	s_or_b32 exec_lo, exec_lo, s72
	s_and_saveexec_b32 s72, s17
	s_cbranch_execz .LBB2_5432
.LBB2_5431:                             ;   in Loop: Header=BB2_4894 Depth=3
	v_bfe_u32 v73, v63, 24, 2
	v_bfe_u32 v91, v63, 26, 5
	v_ffbh_u32_e32 v88, v73
	v_cmp_eq_u32_e32 vcc_lo, 0, v91
	v_min_u32_e32 v88, 32, v88
	v_subrev_nc_u32_e32 v90, 29, v88
	v_sub_nc_u32_e32 v88, 30, v88
	v_lshlrev_b32_sdwa v90, v90, v63 dst_sel:DWORD dst_unused:UNUSED_PAD src0_sel:DWORD src1_sel:BYTE_3
	v_cndmask_b32_e32 v88, v91, v88, vcc_lo
	v_and_b32_e32 v63, 0x80000000, v63
	v_and_b32_e32 v90, 3, v90
	v_lshl_add_u32 v88, v88, 23, 0x37800000
	v_cndmask_b32_e32 v73, v73, v90, vcc_lo
	v_lshlrev_b32_e32 v73, 21, v73
	v_or3_b32 v73, v63, v88, v73
.LBB2_5432:                             ;   in Loop: Header=BB2_4894 Depth=3
	s_or_b32 exec_lo, exec_lo, s72
	v_cmp_gt_i16_sdwa s72, v11, v97 src0_sel:BYTE_3 src1_sel:DWORD
	s_mov_b32 s17, 0
	s_and_saveexec_b32 s73, s72
	s_xor_b32 s72, exec_lo, s73
	s_cbranch_execz .LBB2_5538
; %bb.5433:                             ;   in Loop: Header=BB2_4894 Depth=3
	v_cmp_eq_u16_sdwa s74, v11, v98 src0_sel:BYTE_3 src1_sel:DWORD
	s_mov_b32 s17, -1
	s_and_saveexec_b32 s73, s74
; %bb.5434:                             ;   in Loop: Header=BB2_4894 Depth=3
	s_xor_b32 s17, exec_lo, -1
; %bb.5435:                             ;   in Loop: Header=BB2_4894 Depth=3
	s_or_b32 exec_lo, exec_lo, s73
	s_and_b32 s17, s17, exec_lo
	s_or_saveexec_b32 s72, s72
	v_mov_b32_e32 v63, 0x7f800001
	s_xor_b32 exec_lo, exec_lo, s72
	s_cbranch_execnz .LBB2_5539
.LBB2_5436:                             ;   in Loop: Header=BB2_4894 Depth=3
	s_or_b32 exec_lo, exec_lo, s72
	s_and_saveexec_b32 s72, s17
	s_cbranch_execz .LBB2_5438
.LBB2_5437:                             ;   in Loop: Header=BB2_4894 Depth=3
	v_and_b32_sdwa v63, v11, v103 dst_sel:DWORD dst_unused:UNUSED_PAD src0_sel:BYTE_3 src1_sel:DWORD
	v_bfe_u32 v91, v11, 26, 5
	v_ffbh_u32_e32 v88, v63
	v_cmp_eq_u32_e32 vcc_lo, 0, v91
	v_min_u32_e32 v88, 32, v88
	v_subrev_nc_u32_e32 v90, 29, v88
	v_sub_nc_u32_e32 v88, 30, v88
	v_lshlrev_b32_sdwa v90, v90, v11 dst_sel:DWORD dst_unused:UNUSED_PAD src0_sel:DWORD src1_sel:BYTE_3
	v_cndmask_b32_e32 v88, v91, v88, vcc_lo
	v_and_b32_e32 v11, 0x80000000, v11
	v_and_b32_e32 v90, 3, v90
	v_lshl_add_u32 v88, v88, 23, 0x37800000
	v_cndmask_b32_e32 v63, v63, v90, vcc_lo
	v_lshlrev_b32_e32 v63, 21, v63
	v_or3_b32 v63, v11, v88, v63
.LBB2_5438:                             ;   in Loop: Header=BB2_4894 Depth=3
	s_or_b32 exec_lo, exec_lo, s72
	v_add_f32_e32 v11, v73, v63
	v_and_b32_e32 v63, 0x7f800000, v11
	v_cmp_ne_u32_e32 vcc_lo, 0x7f800000, v63
	v_mov_b32_e32 v63, 0x8000
	s_and_saveexec_b32 s72, vcc_lo
	s_cbranch_execz .LBB2_4893
; %bb.5439:                             ;   in Loop: Header=BB2_4894 Depth=3
	v_mov_b32_e32 v63, 0
	s_mov_b32 s73, exec_lo
	v_cmpx_ne_u32_e32 0, v11
	s_cbranch_execz .LBB2_4892
; %bb.5440:                             ;   in Loop: Header=BB2_4894 Depth=3
	v_bfe_u32 v63, v11, 23, 8
	v_and_b32_e32 v73, 0x7fffff, v11
	v_sub_nc_u32_e32 v88, 0x70, v63
	v_cmp_gt_u32_e32 vcc_lo, 0x71, v63
	v_or_b32_e32 v90, 0x800000, v73
	v_cndmask_b32_e32 v88, 0, v88, vcc_lo
	v_cmp_eq_u32_e32 vcc_lo, 0, v63
	v_add_nc_u32_e32 v63, 0xffffff91, v63
	v_cndmask_b32_e64 v88, v88, 0x6f, vcc_lo
	v_cndmask_b32_e32 v73, v90, v73, vcc_lo
	v_cndmask_b32_e64 v63, v63, 0xffffff92, vcc_lo
	v_lshl_add_u32 v90, 0x200000, v88, -1
	v_lshrrev_b32_e32 v91, v88, v73
	v_lshlrev_b32_e64 v93, v88, 0x100000
	v_add_nc_u32_e32 v88, v88, v63
	v_and_b32_e32 v73, v90, v73
	v_bfe_u32 v92, v91, 21, 1
	v_cmp_eq_u32_e64 s17, v73, v93
	v_add_nc_u32_e32 v90, -1, v92
	v_cndmask_b32_e64 v73, 0, v90, s17
	v_lshrrev_b32_e32 v90, 23, v91
	s_mov_b32 s17, exec_lo
	v_add_nc_u32_e32 v73, v73, v91
	v_xor_b32_e32 v90, 1, v90
	v_and_b32_e32 v63, 0x1fffff, v73
	v_add_nc_u32_e32 v73, v63, v91
                                        ; implicit-def: $vgpr63
	v_cmpx_ne_u32_e64 v88, v90
	s_xor_b32 s17, exec_lo, s17
; %bb.5441:                             ;   in Loop: Header=BB2_4894 Depth=3
	v_cmp_lt_u32_e32 vcc_lo, 0xffffff, v73
	v_sub_nc_u32_e32 v63, v88, v90
	v_cndmask_b32_e64 v88, 0, 1, vcc_lo
	v_add_co_ci_u32_e64 v63, null, 0, v63, vcc_lo
	v_lshrrev_b32_e32 v73, v88, v73
; %bb.5442:                             ;   in Loop: Header=BB2_4894 Depth=3
	s_andn2_saveexec_b32 s17, s17
	s_cbranch_execz .LBB2_4891
; %bb.5443:                             ;   in Loop: Header=BB2_4894 Depth=3
	v_bfe_u32 v63, v73, 23, 1
	s_branch .LBB2_4891
.LBB2_5444:                             ;   in Loop: Header=BB2_4894 Depth=3
	s_or_saveexec_b32 s73, s73
	v_mov_b32_e32 v59, 0x7f800001
	s_xor_b32 exec_lo, exec_lo, s73
	s_cbranch_execz .LBB2_4906
.LBB2_5445:                             ;   in Loop: Header=BB2_4894 Depth=3
	v_cmp_ne_u16_sdwa s74, v8, v2 src0_sel:BYTE_0 src1_sel:DWORD
	v_mov_b32_e32 v59, 0
	s_andn2_b32 s17, s17, exec_lo
	s_and_b32 s74, s74, exec_lo
	s_or_b32 s17, s17, s74
	s_or_b32 exec_lo, exec_lo, s73
	s_and_saveexec_b32 s73, s17
	s_cbranch_execnz .LBB2_4907
	s_branch .LBB2_4908
.LBB2_5446:                             ;   in Loop: Header=BB2_4894 Depth=3
	s_or_saveexec_b32 s73, s73
	v_mov_b32_e32 v60, 0x7f800001
	s_xor_b32 exec_lo, exec_lo, s73
	s_cbranch_execz .LBB2_4920
.LBB2_5447:                             ;   in Loop: Header=BB2_4894 Depth=3
	v_cmp_ne_u16_sdwa s74, v8, v2 src0_sel:BYTE_1 src1_sel:DWORD
	v_mov_b32_e32 v60, 0
	s_andn2_b32 s17, s17, exec_lo
	s_and_b32 s74, s74, exec_lo
	s_or_b32 s17, s17, s74
	s_or_b32 exec_lo, exec_lo, s73
	s_and_saveexec_b32 s73, s17
	s_cbranch_execnz .LBB2_4921
	s_branch .LBB2_4922
.LBB2_5448:                             ;   in Loop: Header=BB2_4894 Depth=3
	s_or_saveexec_b32 s73, s73
	v_mov_b32_e32 v60, 0x7f800001
	s_xor_b32 exec_lo, exec_lo, s73
	s_cbranch_execz .LBB2_4934
.LBB2_5449:                             ;   in Loop: Header=BB2_4894 Depth=3
	v_cmp_ne_u16_e32 vcc_lo, 0, v61
	v_mov_b32_e32 v60, 0
	s_andn2_b32 s17, s17, exec_lo
	s_and_b32 s74, vcc_lo, exec_lo
	s_or_b32 s17, s17, s74
	s_or_b32 exec_lo, exec_lo, s73
	s_and_saveexec_b32 s73, s17
	s_cbranch_execnz .LBB2_4935
	s_branch .LBB2_4936
.LBB2_5450:                             ;   in Loop: Header=BB2_4894 Depth=3
	s_or_saveexec_b32 s73, s73
	v_mov_b32_e32 v60, 0x7f800001
	s_xor_b32 exec_lo, exec_lo, s73
	s_cbranch_execz .LBB2_4948
.LBB2_5451:                             ;   in Loop: Header=BB2_4894 Depth=3
	v_cmp_ne_u16_sdwa s74, v8, v2 src0_sel:BYTE_3 src1_sel:DWORD
	v_mov_b32_e32 v60, 0
	s_andn2_b32 s17, s17, exec_lo
	s_and_b32 s74, s74, exec_lo
	s_or_b32 s17, s17, s74
	s_or_b32 exec_lo, exec_lo, s73
	s_and_saveexec_b32 s73, s17
	s_cbranch_execnz .LBB2_4949
	s_branch .LBB2_4950
.LBB2_5452:                             ;   in Loop: Header=BB2_4894 Depth=3
	s_or_saveexec_b32 s73, s73
	v_mov_b32_e32 v8, 0x7f800001
	s_xor_b32 exec_lo, exec_lo, s73
	s_cbranch_execz .LBB2_4962
.LBB2_5453:                             ;   in Loop: Header=BB2_4894 Depth=3
	v_cmp_ne_u16_sdwa s74, v9, v2 src0_sel:BYTE_0 src1_sel:DWORD
	v_mov_b32_e32 v8, 0
	s_andn2_b32 s17, s17, exec_lo
	s_and_b32 s74, s74, exec_lo
	s_or_b32 s17, s17, s74
	s_or_b32 exec_lo, exec_lo, s73
	s_and_saveexec_b32 s73, s17
	s_cbranch_execnz .LBB2_4963
	s_branch .LBB2_4964
.LBB2_5454:                             ;   in Loop: Header=BB2_4894 Depth=3
	s_or_saveexec_b32 s73, s73
	v_mov_b32_e32 v8, 0x7f800001
	s_xor_b32 exec_lo, exec_lo, s73
	s_cbranch_execz .LBB2_4976
.LBB2_5455:                             ;   in Loop: Header=BB2_4894 Depth=3
	v_cmp_ne_u16_sdwa s74, v9, v2 src0_sel:BYTE_1 src1_sel:DWORD
	v_mov_b32_e32 v8, 0
	s_andn2_b32 s17, s17, exec_lo
	s_and_b32 s74, s74, exec_lo
	s_or_b32 s17, s17, s74
	s_or_b32 exec_lo, exec_lo, s73
	s_and_saveexec_b32 s73, s17
	s_cbranch_execnz .LBB2_4977
	s_branch .LBB2_4978
.LBB2_5456:                             ;   in Loop: Header=BB2_4894 Depth=3
	s_or_saveexec_b32 s73, s73
	v_mov_b32_e32 v8, 0x7f800001
	s_xor_b32 exec_lo, exec_lo, s73
	s_cbranch_execz .LBB2_4990
.LBB2_5457:                             ;   in Loop: Header=BB2_4894 Depth=3
	v_cmp_ne_u16_e32 vcc_lo, 0, v60
	v_mov_b32_e32 v8, 0
	s_andn2_b32 s17, s17, exec_lo
	s_and_b32 s74, vcc_lo, exec_lo
	s_or_b32 s17, s17, s74
	s_or_b32 exec_lo, exec_lo, s73
	s_and_saveexec_b32 s73, s17
	s_cbranch_execnz .LBB2_4991
	s_branch .LBB2_4992
.LBB2_5458:                             ;   in Loop: Header=BB2_4894 Depth=3
	s_or_saveexec_b32 s73, s73
	v_mov_b32_e32 v8, 0x7f800001
	s_xor_b32 exec_lo, exec_lo, s73
	s_cbranch_execz .LBB2_5004
.LBB2_5459:                             ;   in Loop: Header=BB2_4894 Depth=3
	v_cmp_ne_u16_sdwa s74, v9, v2 src0_sel:BYTE_3 src1_sel:DWORD
	v_mov_b32_e32 v8, 0
	s_andn2_b32 s17, s17, exec_lo
	s_and_b32 s74, s74, exec_lo
	s_or_b32 s17, s17, s74
	s_or_b32 exec_lo, exec_lo, s73
	s_and_saveexec_b32 s73, s17
	s_cbranch_execnz .LBB2_5005
	s_branch .LBB2_5006
.LBB2_5460:                             ;   in Loop: Header=BB2_4894 Depth=3
	s_or_saveexec_b32 s73, s73
	v_mov_b32_e32 v8, 0x7f800001
	s_xor_b32 exec_lo, exec_lo, s73
	s_cbranch_execz .LBB2_5018
.LBB2_5461:                             ;   in Loop: Header=BB2_4894 Depth=3
	v_cmp_ne_u16_sdwa s74, v10, v2 src0_sel:BYTE_0 src1_sel:DWORD
	v_mov_b32_e32 v8, 0
	s_andn2_b32 s17, s17, exec_lo
	s_and_b32 s74, s74, exec_lo
	s_or_b32 s17, s17, s74
	s_or_b32 exec_lo, exec_lo, s73
	s_and_saveexec_b32 s73, s17
	s_cbranch_execnz .LBB2_5019
	s_branch .LBB2_5020
.LBB2_5462:                             ;   in Loop: Header=BB2_4894 Depth=3
	s_or_saveexec_b32 s73, s73
	v_mov_b32_e32 v8, 0x7f800001
	s_xor_b32 exec_lo, exec_lo, s73
	s_cbranch_execz .LBB2_5032
.LBB2_5463:                             ;   in Loop: Header=BB2_4894 Depth=3
	v_cmp_ne_u16_sdwa s74, v10, v2 src0_sel:BYTE_1 src1_sel:DWORD
	v_mov_b32_e32 v8, 0
	s_andn2_b32 s17, s17, exec_lo
	s_and_b32 s74, s74, exec_lo
	s_or_b32 s17, s17, s74
	s_or_b32 exec_lo, exec_lo, s73
	s_and_saveexec_b32 s73, s17
	s_cbranch_execnz .LBB2_5033
	s_branch .LBB2_5034
.LBB2_5464:                             ;   in Loop: Header=BB2_4894 Depth=3
	s_or_saveexec_b32 s73, s73
	v_mov_b32_e32 v8, 0x7f800001
	s_xor_b32 exec_lo, exec_lo, s73
	s_cbranch_execz .LBB2_5046
.LBB2_5465:                             ;   in Loop: Header=BB2_4894 Depth=3
	v_cmp_ne_u16_e32 vcc_lo, 0, v9
	v_mov_b32_e32 v8, 0
	s_andn2_b32 s17, s17, exec_lo
	s_and_b32 s74, vcc_lo, exec_lo
	s_or_b32 s17, s17, s74
	s_or_b32 exec_lo, exec_lo, s73
	s_and_saveexec_b32 s73, s17
	s_cbranch_execnz .LBB2_5047
	s_branch .LBB2_5048
.LBB2_5466:                             ;   in Loop: Header=BB2_4894 Depth=3
	s_or_saveexec_b32 s73, s73
	v_mov_b32_e32 v8, 0x7f800001
	s_xor_b32 exec_lo, exec_lo, s73
	s_cbranch_execz .LBB2_5060
.LBB2_5467:                             ;   in Loop: Header=BB2_4894 Depth=3
	v_cmp_ne_u16_sdwa s74, v10, v2 src0_sel:BYTE_3 src1_sel:DWORD
	v_mov_b32_e32 v8, 0
	s_andn2_b32 s17, s17, exec_lo
	s_and_b32 s74, s74, exec_lo
	s_or_b32 s17, s17, s74
	s_or_b32 exec_lo, exec_lo, s73
	s_and_saveexec_b32 s73, s17
	s_cbranch_execnz .LBB2_5061
	s_branch .LBB2_5062
.LBB2_5468:                             ;   in Loop: Header=BB2_4894 Depth=3
	s_or_saveexec_b32 s73, s73
	v_mov_b32_e32 v8, 0x7f800001
	s_xor_b32 exec_lo, exec_lo, s73
	s_cbranch_execz .LBB2_5074
.LBB2_5469:                             ;   in Loop: Header=BB2_4894 Depth=3
	v_cmp_ne_u16_sdwa s74, v11, v2 src0_sel:BYTE_0 src1_sel:DWORD
	v_mov_b32_e32 v8, 0
	s_andn2_b32 s17, s17, exec_lo
	s_and_b32 s74, s74, exec_lo
	s_or_b32 s17, s17, s74
	s_or_b32 exec_lo, exec_lo, s73
	s_and_saveexec_b32 s73, s17
	s_cbranch_execnz .LBB2_5075
	s_branch .LBB2_5076
.LBB2_5470:                             ;   in Loop: Header=BB2_4894 Depth=3
	s_or_saveexec_b32 s73, s73
	v_mov_b32_e32 v8, 0x7f800001
	s_xor_b32 exec_lo, exec_lo, s73
	s_cbranch_execz .LBB2_5088
.LBB2_5471:                             ;   in Loop: Header=BB2_4894 Depth=3
	v_cmp_ne_u16_sdwa s74, v11, v2 src0_sel:BYTE_1 src1_sel:DWORD
	v_mov_b32_e32 v8, 0
	s_andn2_b32 s17, s17, exec_lo
	s_and_b32 s74, s74, exec_lo
	s_or_b32 s17, s17, s74
	s_or_b32 exec_lo, exec_lo, s73
	s_and_saveexec_b32 s73, s17
	s_cbranch_execnz .LBB2_5089
	s_branch .LBB2_5090
.LBB2_5472:                             ;   in Loop: Header=BB2_4894 Depth=3
	s_or_saveexec_b32 s73, s73
	v_mov_b32_e32 v8, 0x7f800001
	s_xor_b32 exec_lo, exec_lo, s73
	s_cbranch_execz .LBB2_5102
.LBB2_5473:                             ;   in Loop: Header=BB2_4894 Depth=3
	v_cmp_ne_u16_e32 vcc_lo, 0, v9
	v_mov_b32_e32 v8, 0
	s_andn2_b32 s17, s17, exec_lo
	s_and_b32 s74, vcc_lo, exec_lo
	s_or_b32 s17, s17, s74
	s_or_b32 exec_lo, exec_lo, s73
	s_and_saveexec_b32 s73, s17
	s_cbranch_execnz .LBB2_5103
	s_branch .LBB2_5104
.LBB2_5474:                             ;   in Loop: Header=BB2_4894 Depth=3
	s_or_saveexec_b32 s73, s73
	v_mov_b32_e32 v8, 0x7f800001
	s_xor_b32 exec_lo, exec_lo, s73
	s_cbranch_execz .LBB2_5116
.LBB2_5475:                             ;   in Loop: Header=BB2_4894 Depth=3
	v_cmp_ne_u16_sdwa s74, v11, v2 src0_sel:BYTE_3 src1_sel:DWORD
	v_mov_b32_e32 v8, 0
	s_andn2_b32 s17, s17, exec_lo
	s_and_b32 s74, s74, exec_lo
	s_or_b32 s17, s17, s74
	s_or_b32 exec_lo, exec_lo, s73
	s_and_saveexec_b32 s73, s17
	s_cbranch_execnz .LBB2_5117
	s_branch .LBB2_5118
.LBB2_5476:                             ;   in Loop: Header=BB2_4894 Depth=3
	s_or_saveexec_b32 s72, s72
	v_mov_b32_e32 v59, 0x7f800001
	s_xor_b32 exec_lo, exec_lo, s72
	s_cbranch_execz .LBB2_5130
.LBB2_5477:                             ;   in Loop: Header=BB2_4894 Depth=3
	v_cmp_ne_u16_sdwa s73, v91, v2 src0_sel:BYTE_0 src1_sel:DWORD
	v_mov_b32_e32 v59, 0
	s_andn2_b32 s17, s17, exec_lo
	s_and_b32 s73, s73, exec_lo
	s_or_b32 s17, s17, s73
	s_or_b32 exec_lo, exec_lo, s72
	s_and_saveexec_b32 s72, s17
	s_cbranch_execnz .LBB2_5131
	s_branch .LBB2_5132
.LBB2_5478:                             ;   in Loop: Header=BB2_4894 Depth=3
	s_or_saveexec_b32 s72, s72
	v_mov_b32_e32 v62, 0x7f800001
	s_xor_b32 exec_lo, exec_lo, s72
	s_cbranch_execz .LBB2_5136
.LBB2_5479:                             ;   in Loop: Header=BB2_4894 Depth=3
	v_cmp_ne_u16_sdwa s73, v8, v2 src0_sel:BYTE_0 src1_sel:DWORD
	v_mov_b32_e32 v62, 0
	s_andn2_b32 s17, s17, exec_lo
	s_and_b32 s73, s73, exec_lo
	s_or_b32 s17, s17, s73
	s_or_b32 exec_lo, exec_lo, s72
	s_and_saveexec_b32 s72, s17
	s_cbranch_execnz .LBB2_5137
	s_branch .LBB2_5138
.LBB2_5480:                             ;   in Loop: Header=BB2_4894 Depth=3
	s_or_saveexec_b32 s72, s72
	v_mov_b32_e32 v62, 0x7f800001
	s_xor_b32 exec_lo, exec_lo, s72
	s_cbranch_execz .LBB2_5150
.LBB2_5481:                             ;   in Loop: Header=BB2_4894 Depth=3
	v_cmp_ne_u16_sdwa s73, v91, v2 src0_sel:BYTE_1 src1_sel:DWORD
	v_mov_b32_e32 v62, 0
	s_andn2_b32 s17, s17, exec_lo
	s_and_b32 s73, s73, exec_lo
	s_or_b32 s17, s17, s73
	s_or_b32 exec_lo, exec_lo, s72
	s_and_saveexec_b32 s72, s17
	s_cbranch_execnz .LBB2_5151
	s_branch .LBB2_5152
.LBB2_5482:                             ;   in Loop: Header=BB2_4894 Depth=3
	s_or_saveexec_b32 s72, s72
	v_mov_b32_e32 v92, 0x7f800001
	s_xor_b32 exec_lo, exec_lo, s72
	s_cbranch_execz .LBB2_5156
.LBB2_5483:                             ;   in Loop: Header=BB2_4894 Depth=3
	v_cmp_ne_u16_sdwa s73, v8, v2 src0_sel:BYTE_1 src1_sel:DWORD
	v_mov_b32_e32 v92, 0
	s_andn2_b32 s17, s17, exec_lo
	s_and_b32 s73, s73, exec_lo
	s_or_b32 s17, s17, s73
	s_or_b32 exec_lo, exec_lo, s72
	s_and_saveexec_b32 s72, s17
	s_cbranch_execnz .LBB2_5157
	s_branch .LBB2_5158
.LBB2_5484:                             ;   in Loop: Header=BB2_4894 Depth=3
	s_or_saveexec_b32 s72, s72
	v_mov_b32_e32 v75, 0x7f800001
	s_xor_b32 exec_lo, exec_lo, s72
	s_cbranch_execz .LBB2_5170
.LBB2_5485:                             ;   in Loop: Header=BB2_4894 Depth=3
	v_cmp_ne_u16_sdwa s73, v90, v2 src0_sel:BYTE_0 src1_sel:DWORD
	v_mov_b32_e32 v75, 0
	s_andn2_b32 s17, s17, exec_lo
	s_and_b32 s73, s73, exec_lo
	s_or_b32 s17, s17, s73
	s_or_b32 exec_lo, exec_lo, s72
	v_lshl_or_b32 v90, v90, 16, v91
	s_and_saveexec_b32 s72, s17
	s_cbranch_execnz .LBB2_5171
	s_branch .LBB2_5172
.LBB2_5486:                             ;   in Loop: Header=BB2_4894 Depth=3
	s_or_saveexec_b32 s72, s72
	v_mov_b32_e32 v91, 0x7f800001
	s_xor_b32 exec_lo, exec_lo, s72
	s_cbranch_execz .LBB2_5176
.LBB2_5487:                             ;   in Loop: Header=BB2_4894 Depth=3
	v_cmp_ne_u16_e32 vcc_lo, 0, v92
	v_mov_b32_e32 v91, 0
	s_andn2_b32 s17, s17, exec_lo
	s_and_b32 s73, vcc_lo, exec_lo
	s_or_b32 s17, s17, s73
	s_or_b32 exec_lo, exec_lo, s72
	s_and_saveexec_b32 s72, s17
	s_cbranch_execnz .LBB2_5177
	s_branch .LBB2_5178
.LBB2_5488:                             ;   in Loop: Header=BB2_4894 Depth=3
	s_or_saveexec_b32 s72, s72
	v_mov_b32_e32 v91, 0x7f800001
	s_xor_b32 exec_lo, exec_lo, s72
	s_cbranch_execz .LBB2_5190
.LBB2_5489:                             ;   in Loop: Header=BB2_4894 Depth=3
	v_cmp_ne_u16_sdwa s73, v90, v2 src0_sel:BYTE_3 src1_sel:DWORD
	v_mov_b32_e32 v91, 0
	s_andn2_b32 s17, s17, exec_lo
	s_and_b32 s73, s73, exec_lo
	s_or_b32 s17, s17, s73
	s_or_b32 exec_lo, exec_lo, s72
	s_and_saveexec_b32 s72, s17
	s_cbranch_execnz .LBB2_5191
	s_branch .LBB2_5192
.LBB2_5490:                             ;   in Loop: Header=BB2_4894 Depth=3
	s_or_saveexec_b32 s72, s72
	v_mov_b32_e32 v90, 0x7f800001
	s_xor_b32 exec_lo, exec_lo, s72
	s_cbranch_execz .LBB2_5196
.LBB2_5491:                             ;   in Loop: Header=BB2_4894 Depth=3
	v_cmp_ne_u16_sdwa s73, v8, v2 src0_sel:BYTE_3 src1_sel:DWORD
	v_mov_b32_e32 v90, 0
	s_andn2_b32 s17, s17, exec_lo
	s_and_b32 s73, s73, exec_lo
	s_or_b32 s17, s17, s73
	s_or_b32 exec_lo, exec_lo, s72
	s_and_saveexec_b32 s72, s17
	s_cbranch_execnz .LBB2_5197
	s_branch .LBB2_5198
.LBB2_5492:                             ;   in Loop: Header=BB2_4894 Depth=3
	s_or_saveexec_b32 s72, s72
	v_mov_b32_e32 v79, 0x7f800001
	s_xor_b32 exec_lo, exec_lo, s72
	s_cbranch_execz .LBB2_5210
.LBB2_5493:                             ;   in Loop: Header=BB2_4894 Depth=3
	v_cmp_ne_u16_sdwa s73, v90, v2 src0_sel:BYTE_0 src1_sel:DWORD
	v_mov_b32_e32 v79, 0
	s_andn2_b32 s17, s17, exec_lo
	s_and_b32 s73, s73, exec_lo
	s_or_b32 s17, s17, s73
	s_or_b32 exec_lo, exec_lo, s72
	s_and_saveexec_b32 s72, s17
	s_cbranch_execnz .LBB2_5211
	s_branch .LBB2_5212
.LBB2_5494:                             ;   in Loop: Header=BB2_4894 Depth=3
	s_or_saveexec_b32 s72, s72
	v_mov_b32_e32 v89, 0x7f800001
	s_xor_b32 exec_lo, exec_lo, s72
	s_cbranch_execz .LBB2_5216
.LBB2_5495:                             ;   in Loop: Header=BB2_4894 Depth=3
	v_cmp_ne_u16_sdwa s73, v9, v2 src0_sel:BYTE_0 src1_sel:DWORD
	v_mov_b32_e32 v89, 0
	s_andn2_b32 s17, s17, exec_lo
	s_and_b32 s73, s73, exec_lo
	s_or_b32 s17, s17, s73
	s_or_b32 exec_lo, exec_lo, s72
	s_and_saveexec_b32 s72, s17
	s_cbranch_execnz .LBB2_5217
	s_branch .LBB2_5218
.LBB2_5496:                             ;   in Loop: Header=BB2_4894 Depth=3
	s_or_saveexec_b32 s72, s72
	v_mov_b32_e32 v89, 0x7f800001
	s_xor_b32 exec_lo, exec_lo, s72
	s_cbranch_execz .LBB2_5230
.LBB2_5497:                             ;   in Loop: Header=BB2_4894 Depth=3
	v_cmp_ne_u16_sdwa s73, v90, v2 src0_sel:BYTE_1 src1_sel:DWORD
	v_mov_b32_e32 v89, 0
	s_andn2_b32 s17, s17, exec_lo
	s_and_b32 s73, s73, exec_lo
	s_or_b32 s17, s17, s73
	s_or_b32 exec_lo, exec_lo, s72
	s_and_saveexec_b32 s72, s17
	s_cbranch_execnz .LBB2_5231
	s_branch .LBB2_5232
.LBB2_5498:                             ;   in Loop: Header=BB2_4894 Depth=3
	s_or_saveexec_b32 s72, s72
	v_mov_b32_e32 v91, 0x7f800001
	s_xor_b32 exec_lo, exec_lo, s72
	s_cbranch_execz .LBB2_5236
.LBB2_5499:                             ;   in Loop: Header=BB2_4894 Depth=3
	v_cmp_ne_u16_sdwa s73, v9, v2 src0_sel:BYTE_1 src1_sel:DWORD
	v_mov_b32_e32 v91, 0
	s_andn2_b32 s17, s17, exec_lo
	s_and_b32 s73, s73, exec_lo
	s_or_b32 s17, s17, s73
	s_or_b32 exec_lo, exec_lo, s72
	s_and_saveexec_b32 s72, s17
	s_cbranch_execnz .LBB2_5237
	s_branch .LBB2_5238
.LBB2_5500:                             ;   in Loop: Header=BB2_4894 Depth=3
	s_or_saveexec_b32 s72, s72
	v_mov_b32_e32 v77, 0x7f800001
	s_xor_b32 exec_lo, exec_lo, s72
	s_cbranch_execz .LBB2_5250
.LBB2_5501:                             ;   in Loop: Header=BB2_4894 Depth=3
	v_cmp_ne_u16_sdwa s73, v88, v2 src0_sel:BYTE_0 src1_sel:DWORD
	v_mov_b32_e32 v77, 0
	s_andn2_b32 s17, s17, exec_lo
	s_and_b32 s73, s73, exec_lo
	s_or_b32 s17, s17, s73
	s_or_b32 exec_lo, exec_lo, s72
	v_lshl_or_b32 v88, v88, 16, v90
	s_and_saveexec_b32 s72, s17
	s_cbranch_execnz .LBB2_5251
	s_branch .LBB2_5252
.LBB2_5502:                             ;   in Loop: Header=BB2_4894 Depth=3
	s_or_saveexec_b32 s72, s72
	v_mov_b32_e32 v90, 0x7f800001
	s_xor_b32 exec_lo, exec_lo, s72
	s_cbranch_execz .LBB2_5256
.LBB2_5503:                             ;   in Loop: Header=BB2_4894 Depth=3
	v_cmp_ne_u16_e32 vcc_lo, 0, v91
	v_mov_b32_e32 v90, 0
	s_andn2_b32 s17, s17, exec_lo
	s_and_b32 s73, vcc_lo, exec_lo
	s_or_b32 s17, s17, s73
	s_or_b32 exec_lo, exec_lo, s72
	s_and_saveexec_b32 s72, s17
	s_cbranch_execnz .LBB2_5257
	s_branch .LBB2_5258
.LBB2_5504:                             ;   in Loop: Header=BB2_4894 Depth=3
	s_or_saveexec_b32 s72, s72
	v_mov_b32_e32 v90, 0x7f800001
	s_xor_b32 exec_lo, exec_lo, s72
	s_cbranch_execz .LBB2_5270
.LBB2_5505:                             ;   in Loop: Header=BB2_4894 Depth=3
	v_cmp_ne_u16_sdwa s73, v88, v2 src0_sel:BYTE_3 src1_sel:DWORD
	v_mov_b32_e32 v90, 0
	s_andn2_b32 s17, s17, exec_lo
	s_and_b32 s73, s73, exec_lo
	s_or_b32 s17, s17, s73
	s_or_b32 exec_lo, exec_lo, s72
	s_and_saveexec_b32 s72, s17
	s_cbranch_execnz .LBB2_5271
	s_branch .LBB2_5272
.LBB2_5506:                             ;   in Loop: Header=BB2_4894 Depth=3
	s_or_saveexec_b32 s72, s72
	v_mov_b32_e32 v88, 0x7f800001
	s_xor_b32 exec_lo, exec_lo, s72
	s_cbranch_execz .LBB2_5276
.LBB2_5507:                             ;   in Loop: Header=BB2_4894 Depth=3
	v_cmp_ne_u16_sdwa s73, v9, v2 src0_sel:BYTE_3 src1_sel:DWORD
	v_mov_b32_e32 v88, 0
	s_andn2_b32 s17, s17, exec_lo
	s_and_b32 s73, s73, exec_lo
	s_or_b32 s17, s17, s73
	s_or_b32 exec_lo, exec_lo, s72
	s_and_saveexec_b32 s72, s17
	s_cbranch_execnz .LBB2_5277
	s_branch .LBB2_5278
.LBB2_5508:                             ;   in Loop: Header=BB2_4894 Depth=3
	s_or_saveexec_b32 s72, s72
	v_mov_b32_e32 v74, 0x7f800001
	s_xor_b32 exec_lo, exec_lo, s72
	s_cbranch_execz .LBB2_5290
.LBB2_5509:                             ;   in Loop: Header=BB2_4894 Depth=3
	v_cmp_ne_u16_sdwa s73, v88, v2 src0_sel:BYTE_0 src1_sel:DWORD
	v_mov_b32_e32 v74, 0
	s_andn2_b32 s17, s17, exec_lo
	s_and_b32 s73, s73, exec_lo
	s_or_b32 s17, s17, s73
	s_or_b32 exec_lo, exec_lo, s72
	s_and_saveexec_b32 s72, s17
	s_cbranch_execnz .LBB2_5291
	s_branch .LBB2_5292
.LBB2_5510:                             ;   in Loop: Header=BB2_4894 Depth=3
	s_or_saveexec_b32 s72, s72
	v_mov_b32_e32 v78, 0x7f800001
	s_xor_b32 exec_lo, exec_lo, s72
	s_cbranch_execz .LBB2_5296
.LBB2_5511:                             ;   in Loop: Header=BB2_4894 Depth=3
	v_cmp_ne_u16_sdwa s73, v10, v2 src0_sel:BYTE_0 src1_sel:DWORD
	v_mov_b32_e32 v78, 0
	s_andn2_b32 s17, s17, exec_lo
	s_and_b32 s73, s73, exec_lo
	s_or_b32 s17, s17, s73
	s_or_b32 exec_lo, exec_lo, s72
	s_and_saveexec_b32 s72, s17
	s_cbranch_execnz .LBB2_5297
	s_branch .LBB2_5298
.LBB2_5512:                             ;   in Loop: Header=BB2_4894 Depth=3
	s_or_saveexec_b32 s72, s72
	v_mov_b32_e32 v78, 0x7f800001
	s_xor_b32 exec_lo, exec_lo, s72
	s_cbranch_execz .LBB2_5310
.LBB2_5513:                             ;   in Loop: Header=BB2_4894 Depth=3
	v_cmp_ne_u16_sdwa s73, v88, v2 src0_sel:BYTE_1 src1_sel:DWORD
	v_mov_b32_e32 v78, 0
	s_andn2_b32 s17, s17, exec_lo
	s_and_b32 s73, s73, exec_lo
	s_or_b32 s17, s17, s73
	s_or_b32 exec_lo, exec_lo, s72
	s_and_saveexec_b32 s72, s17
	s_cbranch_execnz .LBB2_5311
	s_branch .LBB2_5312
.LBB2_5514:                             ;   in Loop: Header=BB2_4894 Depth=3
	s_or_saveexec_b32 s72, s72
	v_mov_b32_e32 v90, 0x7f800001
	s_xor_b32 exec_lo, exec_lo, s72
	s_cbranch_execz .LBB2_5316
.LBB2_5515:                             ;   in Loop: Header=BB2_4894 Depth=3
	v_cmp_ne_u16_sdwa s73, v10, v2 src0_sel:BYTE_1 src1_sel:DWORD
	v_mov_b32_e32 v90, 0
	s_andn2_b32 s17, s17, exec_lo
	s_and_b32 s73, s73, exec_lo
	s_or_b32 s17, s17, s73
	s_or_b32 exec_lo, exec_lo, s72
	s_and_saveexec_b32 s72, s17
	s_cbranch_execnz .LBB2_5317
	s_branch .LBB2_5318
.LBB2_5516:                             ;   in Loop: Header=BB2_4894 Depth=3
	s_or_saveexec_b32 s72, s72
	v_mov_b32_e32 v72, 0x7f800001
	s_xor_b32 exec_lo, exec_lo, s72
	s_cbranch_execz .LBB2_5330
.LBB2_5517:                             ;   in Loop: Header=BB2_4894 Depth=3
	v_cmp_ne_u16_sdwa s73, v76, v2 src0_sel:BYTE_0 src1_sel:DWORD
	v_mov_b32_e32 v72, 0
	s_andn2_b32 s17, s17, exec_lo
	s_and_b32 s73, s73, exec_lo
	s_or_b32 s17, s17, s73
	s_or_b32 exec_lo, exec_lo, s72
	v_lshl_or_b32 v76, v76, 16, v88
	s_and_saveexec_b32 s72, s17
	s_cbranch_execnz .LBB2_5331
	s_branch .LBB2_5332
.LBB2_5518:                             ;   in Loop: Header=BB2_4894 Depth=3
	s_or_saveexec_b32 s72, s72
	v_mov_b32_e32 v88, 0x7f800001
	s_xor_b32 exec_lo, exec_lo, s72
	s_cbranch_execz .LBB2_5336
.LBB2_5519:                             ;   in Loop: Header=BB2_4894 Depth=3
	v_cmp_ne_u16_e32 vcc_lo, 0, v90
	v_mov_b32_e32 v88, 0
	s_andn2_b32 s17, s17, exec_lo
	s_and_b32 s73, vcc_lo, exec_lo
	s_or_b32 s17, s17, s73
	s_or_b32 exec_lo, exec_lo, s72
	s_and_saveexec_b32 s72, s17
	s_cbranch_execnz .LBB2_5337
	s_branch .LBB2_5338
.LBB2_5520:                             ;   in Loop: Header=BB2_4894 Depth=3
	s_or_saveexec_b32 s72, s72
	v_mov_b32_e32 v88, 0x7f800001
	s_xor_b32 exec_lo, exec_lo, s72
	s_cbranch_execz .LBB2_5350
.LBB2_5521:                             ;   in Loop: Header=BB2_4894 Depth=3
	v_cmp_ne_u16_sdwa s73, v76, v2 src0_sel:BYTE_3 src1_sel:DWORD
	v_mov_b32_e32 v88, 0
	s_andn2_b32 s17, s17, exec_lo
	s_and_b32 s73, s73, exec_lo
	s_or_b32 s17, s17, s73
	s_or_b32 exec_lo, exec_lo, s72
	s_and_saveexec_b32 s72, s17
	s_cbranch_execnz .LBB2_5351
	s_branch .LBB2_5352
.LBB2_5522:                             ;   in Loop: Header=BB2_4894 Depth=3
	s_or_saveexec_b32 s72, s72
	v_mov_b32_e32 v76, 0x7f800001
	s_xor_b32 exec_lo, exec_lo, s72
	s_cbranch_execz .LBB2_5356
.LBB2_5523:                             ;   in Loop: Header=BB2_4894 Depth=3
	v_cmp_ne_u16_sdwa s73, v10, v2 src0_sel:BYTE_3 src1_sel:DWORD
	v_mov_b32_e32 v76, 0
	s_andn2_b32 s17, s17, exec_lo
	s_and_b32 s73, s73, exec_lo
	s_or_b32 s17, s17, s73
	s_or_b32 exec_lo, exec_lo, s72
	s_and_saveexec_b32 s72, s17
	s_cbranch_execnz .LBB2_5357
	s_branch .LBB2_5358
.LBB2_5524:                             ;   in Loop: Header=BB2_4894 Depth=3
	s_or_saveexec_b32 s72, s72
	v_mov_b32_e32 v61, 0x7f800001
	s_xor_b32 exec_lo, exec_lo, s72
	s_cbranch_execz .LBB2_5370
.LBB2_5525:                             ;   in Loop: Header=BB2_4894 Depth=3
	v_cmp_ne_u16_sdwa s73, v73, v2 src0_sel:BYTE_0 src1_sel:DWORD
	v_mov_b32_e32 v61, 0
	s_andn2_b32 s17, s17, exec_lo
	s_and_b32 s73, s73, exec_lo
	s_or_b32 s17, s17, s73
	s_or_b32 exec_lo, exec_lo, s72
	s_and_saveexec_b32 s72, s17
	s_cbranch_execnz .LBB2_5371
	s_branch .LBB2_5372
.LBB2_5526:                             ;   in Loop: Header=BB2_4894 Depth=3
	s_or_saveexec_b32 s72, s72
	v_mov_b32_e32 v76, 0x7f800001
	s_xor_b32 exec_lo, exec_lo, s72
	s_cbranch_execz .LBB2_5376
.LBB2_5527:                             ;   in Loop: Header=BB2_4894 Depth=3
	v_cmp_ne_u16_sdwa s73, v11, v2 src0_sel:BYTE_0 src1_sel:DWORD
	v_mov_b32_e32 v76, 0
	s_andn2_b32 s17, s17, exec_lo
	s_and_b32 s73, s73, exec_lo
	s_or_b32 s17, s17, s73
	s_or_b32 exec_lo, exec_lo, s72
	s_and_saveexec_b32 s72, s17
	s_cbranch_execnz .LBB2_5377
	s_branch .LBB2_5378
.LBB2_5528:                             ;   in Loop: Header=BB2_4894 Depth=3
	s_or_saveexec_b32 s72, s72
	v_mov_b32_e32 v76, 0x7f800001
	s_xor_b32 exec_lo, exec_lo, s72
	s_cbranch_execz .LBB2_5390
.LBB2_5529:                             ;   in Loop: Header=BB2_4894 Depth=3
	v_cmp_ne_u16_sdwa s73, v73, v2 src0_sel:BYTE_1 src1_sel:DWORD
	v_mov_b32_e32 v76, 0
	s_andn2_b32 s17, s17, exec_lo
	s_and_b32 s73, s73, exec_lo
	s_or_b32 s17, s17, s73
	s_or_b32 exec_lo, exec_lo, s72
	s_and_saveexec_b32 s72, s17
	s_cbranch_execnz .LBB2_5391
	s_branch .LBB2_5392
.LBB2_5530:                             ;   in Loop: Header=BB2_4894 Depth=3
	s_or_saveexec_b32 s72, s72
	v_mov_b32_e32 v88, 0x7f800001
	s_xor_b32 exec_lo, exec_lo, s72
	s_cbranch_execz .LBB2_5396
.LBB2_5531:                             ;   in Loop: Header=BB2_4894 Depth=3
	v_cmp_ne_u16_sdwa s73, v11, v2 src0_sel:BYTE_1 src1_sel:DWORD
	v_mov_b32_e32 v88, 0
	s_andn2_b32 s17, s17, exec_lo
	s_and_b32 s73, s73, exec_lo
	s_or_b32 s17, s17, s73
	s_or_b32 exec_lo, exec_lo, s72
	s_and_saveexec_b32 s72, s17
	s_cbranch_execnz .LBB2_5397
	s_branch .LBB2_5398
.LBB2_5532:                             ;   in Loop: Header=BB2_4894 Depth=3
	s_or_saveexec_b32 s72, s72
	v_mov_b32_e32 v60, 0x7f800001
	s_xor_b32 exec_lo, exec_lo, s72
	s_cbranch_execz .LBB2_5410
.LBB2_5533:                             ;   in Loop: Header=BB2_4894 Depth=3
	v_cmp_ne_u16_sdwa s73, v63, v2 src0_sel:BYTE_0 src1_sel:DWORD
	v_mov_b32_e32 v60, 0
	s_andn2_b32 s17, s17, exec_lo
	s_and_b32 s73, s73, exec_lo
	s_or_b32 s17, s17, s73
	s_or_b32 exec_lo, exec_lo, s72
	v_lshl_or_b32 v63, v63, 16, v73
	s_and_saveexec_b32 s72, s17
	s_cbranch_execnz .LBB2_5411
	s_branch .LBB2_5412
.LBB2_5534:                             ;   in Loop: Header=BB2_4894 Depth=3
	s_or_saveexec_b32 s72, s72
	v_mov_b32_e32 v73, 0x7f800001
	s_xor_b32 exec_lo, exec_lo, s72
	s_cbranch_execz .LBB2_5416
.LBB2_5535:                             ;   in Loop: Header=BB2_4894 Depth=3
	v_cmp_ne_u16_e32 vcc_lo, 0, v88
	v_mov_b32_e32 v73, 0
	s_andn2_b32 s17, s17, exec_lo
	s_and_b32 s73, vcc_lo, exec_lo
	s_or_b32 s17, s17, s73
	s_or_b32 exec_lo, exec_lo, s72
	s_and_saveexec_b32 s72, s17
	s_cbranch_execnz .LBB2_5417
	s_branch .LBB2_5418
.LBB2_5536:                             ;   in Loop: Header=BB2_4894 Depth=3
	s_or_saveexec_b32 s72, s72
	v_mov_b32_e32 v73, 0x7f800001
	s_xor_b32 exec_lo, exec_lo, s72
	s_cbranch_execz .LBB2_5430
.LBB2_5537:                             ;   in Loop: Header=BB2_4894 Depth=3
	v_cmp_ne_u16_sdwa s73, v63, v2 src0_sel:BYTE_3 src1_sel:DWORD
	v_mov_b32_e32 v73, 0
	s_andn2_b32 s17, s17, exec_lo
	s_and_b32 s73, s73, exec_lo
	s_or_b32 s17, s17, s73
	s_or_b32 exec_lo, exec_lo, s72
	s_and_saveexec_b32 s72, s17
	s_cbranch_execnz .LBB2_5431
	s_branch .LBB2_5432
.LBB2_5538:                             ;   in Loop: Header=BB2_4894 Depth=3
	s_or_saveexec_b32 s72, s72
	v_mov_b32_e32 v63, 0x7f800001
	s_xor_b32 exec_lo, exec_lo, s72
	s_cbranch_execz .LBB2_5436
.LBB2_5539:                             ;   in Loop: Header=BB2_4894 Depth=3
	v_cmp_ne_u16_sdwa s73, v11, v2 src0_sel:BYTE_3 src1_sel:DWORD
	v_mov_b32_e32 v63, 0
	s_andn2_b32 s17, s17, exec_lo
	s_and_b32 s73, s73, exec_lo
	s_or_b32 s17, s17, s73
	s_or_b32 exec_lo, exec_lo, s72
	s_and_saveexec_b32 s72, s17
	s_cbranch_execnz .LBB2_5437
	s_branch .LBB2_5438
.LBB2_5540:                             ;   in Loop: Header=BB2_3107 Depth=2
	s_or_b32 exec_lo, exec_lo, s19
.LBB2_5541:                             ;   in Loop: Header=BB2_3107 Depth=2
	s_or_b32 exec_lo, exec_lo, s18
	v_and_b32_e32 v8, 15, v46
	v_mov_b32_e32 v64, 0
	s_mov_b32 s19, 0
	s_mov_b32 s18, exec_lo
                                        ; implicit-def: $vgpr65
                                        ; implicit-def: $vgpr66
	v_cndmask_b32_e64 v56, v57, v8, s16
	v_cmpx_ne_u32_e32 0, v56
	s_cbranch_execz .LBB2_6195
; %bb.5542:                             ;   in Loop: Header=BB2_3107 Depth=2
	v_cmp_lt_i32_e32 vcc_lo, 0, v58
	v_ashrrev_i32_e32 v11, 31, v56
	s_mov_b32 s19, exec_lo
	v_cndmask_b32_e32 v9, 0, v83, vcc_lo
	v_lshrrev_b32_e32 v11, 23, v11
	v_sub_nc_u32_e32 v9, v9, v58
	v_add_nc_u32_e32 v11, v56, v11
	v_lshl_or_b32 v9, v9, 5, v84
	v_and_b32_e32 v59, 0xfffffe00, v11
	v_ashrrev_i32_e32 v11, 9, v11
	v_ashrrev_i32_e32 v10, 31, v9
	v_lshrrev_b32_e32 v10, 27, v10
	v_add_nc_u32_e32 v10, v9, v10
	v_and_b32_e32 v64, 0xffffffe0, v10
	v_sub_nc_u32_e32 v58, v9, v64
	v_ashrrev_i32_e32 v9, 5, v10
	v_sub_nc_u32_e32 v64, v57, v8
	v_sub_nc_u32_e32 v57, v56, v59
	v_lshlrev_b32_e32 v10, 4, v58
	v_lshl_add_u32 v8, v9, 9, v10
	v_cndmask_b32_e64 v10, 0, v64, s16
	v_cmp_lt_i32_e64 s16, 15, v57
	v_sub_nc_u32_e32 v61, v56, v8
	v_add_nc_u32_e32 v47, v10, v47
	v_add_co_ci_u32_e64 v11, null, 0, v11, s16
	v_sub_nc_u32_e32 v60, v11, v9
	v_cmpx_lt_i32_e32 15, v61
	s_cbranch_execz .LBB2_6194
; %bb.5543:                             ;   in Loop: Header=BB2_3107 Depth=2
	s_trap 2
	ds_read_b64 v[9:10], v0
	v_add_nc_u32_e32 v8, v8, v47
	v_ashrrev_i32_e32 v11, 31, v8
	v_add_co_u32 v64, vcc_lo, v8, v51
	v_add_co_ci_u32_e64 v65, null, v11, v52, vcc_lo
	v_add_co_u32 v66, vcc_lo, v8, v53
	v_add_co_ci_u32_e64 v67, null, v11, v54, vcc_lo
	s_waitcnt lgkmcnt(0)
	v_readfirstlane_b32 s17, v9
	v_add_co_u32 v68, vcc_lo, v9, v8
	v_add_co_ci_u32_e64 v69, null, v10, v11, vcc_lo
	s_and_b32 s22, s17, 3
	s_bfe_u32 s73, s17, 0x50002
	s_flbit_i32_b32 s23, s22
	s_min_u32 s23, s23, 32
	s_sub_i32 s72, s23, 29
	s_sub_i32 s23, 30, s23
	s_lshl_b32 s72, s17, s72
	s_and_b32 s72, s72, 3
	s_cmp_eq_u32 s73, 0
	s_cselect_b32 s23, s23, s73
	s_cselect_b32 s22, s72, s22
	s_lshl_b32 s72, s17, 24
	s_lshl_b32 s23, s23, 23
	s_and_b32 s72, s72, 0x80000000
	s_add_i32 s23, s23, 0x37800000
	s_lshl_b32 s73, s22, 21
	s_or_b32 s23, s72, s23
	s_mov_b32 s22, 0
	s_or_b32 s23, s23, s73
	s_and_b32 s72, s17, 0xff
	s_branch .LBB2_5547
.LBB2_5544:                             ;   in Loop: Header=BB2_5547 Depth=3
	s_or_b32 exec_lo, exec_lo, s17
	v_lshrrev_b32_e32 v76, 21, v76
	v_min_i32_e32 v91, 31, v74
	v_cmp_gt_i32_e32 vcc_lo, 32, v74
	v_and_b32_sdwa v11, v11, v98 dst_sel:DWORD dst_unused:UNUSED_PAD src0_sel:BYTE_3 src1_sel:DWORD
	v_lshlrev_b32_e32 v91, 2, v91
	v_cndmask_b32_e32 v76, 3, v76, vcc_lo
	v_and_b32_e32 v91, 0xfc, v91
	v_and_b32_e32 v93, 3, v76
	v_or_b32_e32 v74, v74, v76
	v_or3_b32 v11, v11, v91, v93
	v_cmp_ne_u32_e32 vcc_lo, 0, v74
	v_lshlrev_b32_e32 v11, 8, v11
	v_cndmask_b32_e32 v74, 0, v11, vcc_lo
.LBB2_5545:                             ;   in Loop: Header=BB2_5547 Depth=3
	s_or_b32 exec_lo, exec_lo, s74
.LBB2_5546:                             ;   in Loop: Header=BB2_5547 Depth=3
	s_or_b32 exec_lo, exec_lo, s73
	v_or_b32_sdwa v9, v9, v88 dst_sel:WORD_1 dst_unused:UNUSED_PAD src0_sel:DWORD src1_sel:DWORD
	v_or_b32_sdwa v8, v8, v78 dst_sel:WORD_1 dst_unused:UNUSED_PAD src0_sel:DWORD src1_sel:DWORD
	;; [unrolled: 1-line block ×4, first 2 shown]
	v_sub_nc_u32_e32 v61, v61, v114
	v_or3_b32 v9, v92, v90, v9
	v_or3_b32 v8, v73, v62, v8
	;; [unrolled: 1-line block ×4, first 2 shown]
	v_add_co_u32 v64, vcc_lo, v64, v114
	v_add_co_ci_u32_e64 v65, null, 0, v65, vcc_lo
	v_add_co_u32 v68, vcc_lo, v68, v114
	global_store_dwordx4 v[66:67], v[8:11], off glc slc
	v_add_co_ci_u32_e64 v69, null, 0, v69, vcc_lo
	v_cmp_gt_i32_e32 vcc_lo, 16, v61
	v_add_co_u32 v66, s17, v66, v114
	v_add_co_ci_u32_e64 v67, null, 0, v67, s17
	v_sub_nc_u32_e32 v60, v60, v83
	s_or_b32 s22, vcc_lo, s22
	s_andn2_b32 exec_lo, exec_lo, s22
	s_cbranch_execz .LBB2_6193
.LBB2_5547:                             ;   Parent Loop BB2_47 Depth=1
                                        ;     Parent Loop BB2_3107 Depth=2
                                        ; =>    This Inner Loop Header: Depth=3
	s_cmpk_lt_i32 s72, 0x80
	s_cbranch_scc1 .LBB2_5551
; %bb.5548:                             ;   in Loop: Header=BB2_5547 Depth=3
	s_and_b32 s17, 0xffff, s72
	s_cmpk_eq_i32 s17, 0x80
	s_mov_b32 s17, -1
	s_cbranch_scc0 .LBB2_5550
; %bb.5549:                             ;   in Loop: Header=BB2_5547 Depth=3
	s_mov_b32 s17, 0
.LBB2_5550:                             ;   in Loop: Header=BB2_5547 Depth=3
	s_mov_b32 s73, 0x7f800001
	s_branch .LBB2_5553
.LBB2_5551:                             ;   in Loop: Header=BB2_5547 Depth=3
	s_mov_b32 s17, 0
	s_mov_b32 s73, 0x7f800001
	s_cbranch_execz .LBB2_5553
; %bb.5552:                             ;   in Loop: Header=BB2_5547 Depth=3
	s_and_b32 s17, 0xffff, s72
	s_mov_b32 s73, 0
	s_cmp_lg_u32 s17, 0
	s_cselect_b32 s17, -1, 0
.LBB2_5553:                             ;   in Loop: Header=BB2_5547 Depth=3
	s_andn2_b32 vcc_lo, exec_lo, s17
	s_cbranch_vccnz .LBB2_5555
; %bb.5554:                             ;   in Loop: Header=BB2_5547 Depth=3
	s_mov_b32 s73, s23
.LBB2_5555:                             ;   in Loop: Header=BB2_5547 Depth=3
	global_load_dwordx4 v[8:11], v[64:65], off slc
	s_mov_b32 s17, 0
	s_waitcnt vmcnt(0)
	v_cmp_gt_i16_sdwa s74, v8, v97 src0_sel:BYTE_0 src1_sel:DWORD
	s_and_saveexec_b32 s75, s74
	s_xor_b32 s74, exec_lo, s75
	s_cbranch_execz .LBB2_6097
; %bb.5556:                             ;   in Loop: Header=BB2_5547 Depth=3
	v_cmp_eq_u16_sdwa s76, v8, v98 src0_sel:BYTE_0 src1_sel:DWORD
	s_mov_b32 s17, -1
	s_and_saveexec_b32 s75, s76
; %bb.5557:                             ;   in Loop: Header=BB2_5547 Depth=3
	s_xor_b32 s17, exec_lo, -1
; %bb.5558:                             ;   in Loop: Header=BB2_5547 Depth=3
	s_or_b32 exec_lo, exec_lo, s75
	s_and_b32 s17, s17, exec_lo
	s_or_saveexec_b32 s74, s74
	v_mov_b32_e32 v62, 0x7f800001
	s_xor_b32 exec_lo, exec_lo, s74
	s_cbranch_execnz .LBB2_6098
.LBB2_5559:                             ;   in Loop: Header=BB2_5547 Depth=3
	s_or_b32 exec_lo, exec_lo, s74
	s_and_saveexec_b32 s74, s17
	s_cbranch_execz .LBB2_5561
.LBB2_5560:                             ;   in Loop: Header=BB2_5547 Depth=3
	v_and_b32_e32 v62, 3, v8
	v_bfe_u32 v73, v8, 2, 5
	v_lshlrev_b32_e32 v74, 24, v8
	v_ffbh_u32_e32 v63, v62
	v_cmp_eq_u32_e32 vcc_lo, 0, v73
	v_min_u32_e32 v63, 32, v63
	v_subrev_nc_u32_e32 v72, 29, v63
	v_sub_nc_u32_e32 v63, 30, v63
	v_lshlrev_b32_e32 v72, v72, v8
	v_cndmask_b32_e32 v63, v73, v63, vcc_lo
	v_and_b32_e32 v72, 3, v72
	v_lshl_add_u32 v63, v63, 23, 0x37800000
	v_cndmask_b32_e32 v62, v62, v72, vcc_lo
	v_and_b32_e32 v72, 0x80000000, v74
	v_lshlrev_b32_e32 v62, 21, v62
	v_or3_b32 v62, v72, v63, v62
.LBB2_5561:                             ;   in Loop: Header=BB2_5547 Depth=3
	s_or_b32 exec_lo, exec_lo, s74
	v_mul_f32_e32 v63, s73, v62
	v_and_b32_e32 v62, 0x7f800000, v63
	v_cmp_ne_u32_e32 vcc_lo, 0x7f800000, v62
	v_mov_b32_e32 v62, 0x80
	s_and_saveexec_b32 s74, vcc_lo
	s_cbranch_execz .LBB2_5569
; %bb.5562:                             ;   in Loop: Header=BB2_5547 Depth=3
	v_mov_b32_e32 v62, 0
	s_mov_b32 s75, exec_lo
	v_cmpx_ne_u32_e32 0, v63
	s_cbranch_execz .LBB2_5568
; %bb.5563:                             ;   in Loop: Header=BB2_5547 Depth=3
	v_bfe_u32 v62, v63, 23, 8
	v_and_b32_e32 v72, 0x7fffff, v63
	v_sub_nc_u32_e32 v73, 0x70, v62
	v_cmp_gt_u32_e32 vcc_lo, 0x71, v62
	v_or_b32_e32 v74, 0x800000, v72
	v_cndmask_b32_e32 v73, 0, v73, vcc_lo
	v_cmp_eq_u32_e32 vcc_lo, 0, v62
	v_add_nc_u32_e32 v62, 0xffffff91, v62
	v_cndmask_b32_e64 v73, v73, 0x6f, vcc_lo
	v_cndmask_b32_e32 v72, v74, v72, vcc_lo
	v_cndmask_b32_e64 v62, v62, 0xffffff92, vcc_lo
	v_lshl_add_u32 v74, 0x200000, v73, -1
	v_lshrrev_b32_e32 v75, v73, v72
	v_lshlrev_b32_e64 v77, v73, 0x100000
	v_add_nc_u32_e32 v73, v73, v62
	v_and_b32_e32 v72, v74, v72
	v_bfe_u32 v76, v75, 21, 1
	v_cmp_eq_u32_e64 s17, v72, v77
	v_add_nc_u32_e32 v74, -1, v76
	v_cndmask_b32_e64 v72, 0, v74, s17
	v_lshrrev_b32_e32 v74, 23, v75
	s_mov_b32 s17, exec_lo
	v_add_nc_u32_e32 v72, v72, v75
	v_xor_b32_e32 v74, 1, v74
	v_and_b32_e32 v62, 0x1fffff, v72
	v_add_nc_u32_e32 v72, v62, v75
                                        ; implicit-def: $vgpr62
	v_cmpx_ne_u32_e64 v73, v74
	s_xor_b32 s17, exec_lo, s17
; %bb.5564:                             ;   in Loop: Header=BB2_5547 Depth=3
	v_cmp_lt_u32_e32 vcc_lo, 0xffffff, v72
	v_sub_nc_u32_e32 v62, v73, v74
	v_cndmask_b32_e64 v73, 0, 1, vcc_lo
	v_add_co_ci_u32_e64 v62, null, 0, v62, vcc_lo
	v_lshrrev_b32_e32 v72, v73, v72
; %bb.5565:                             ;   in Loop: Header=BB2_5547 Depth=3
	s_andn2_saveexec_b32 s17, s17
; %bb.5566:                             ;   in Loop: Header=BB2_5547 Depth=3
	v_bfe_u32 v62, v72, 23, 1
; %bb.5567:                             ;   in Loop: Header=BB2_5547 Depth=3
	s_or_b32 exec_lo, exec_lo, s17
	v_lshrrev_b32_e32 v72, 21, v72
	v_min_i32_e32 v73, 31, v62
	v_cmp_gt_i32_e32 vcc_lo, 32, v62
	v_and_b32_sdwa v63, v63, v98 dst_sel:DWORD dst_unused:UNUSED_PAD src0_sel:BYTE_3 src1_sel:DWORD
	v_lshlrev_b32_e32 v73, 2, v73
	v_cndmask_b32_e32 v72, 3, v72, vcc_lo
	v_and_b32_e32 v73, 0xfc, v73
	v_and_b32_e32 v74, 3, v72
	v_or_b32_e32 v62, v62, v72
	v_or3_b32 v63, v73, v63, v74
	v_cmp_ne_u32_e32 vcc_lo, 0, v62
	v_cndmask_b32_e32 v62, 0, v63, vcc_lo
.LBB2_5568:                             ;   in Loop: Header=BB2_5547 Depth=3
	s_or_b32 exec_lo, exec_lo, s75
.LBB2_5569:                             ;   in Loop: Header=BB2_5547 Depth=3
	s_or_b32 exec_lo, exec_lo, s74
	v_cmp_gt_i16_sdwa s74, v8, v97 src0_sel:BYTE_1 src1_sel:DWORD
	s_mov_b32 s17, 0
	s_and_saveexec_b32 s75, s74
	s_xor_b32 s74, exec_lo, s75
	s_cbranch_execz .LBB2_6099
; %bb.5570:                             ;   in Loop: Header=BB2_5547 Depth=3
	v_cmp_eq_u16_sdwa s76, v8, v98 src0_sel:BYTE_1 src1_sel:DWORD
	s_mov_b32 s17, -1
	s_and_saveexec_b32 s75, s76
; %bb.5571:                             ;   in Loop: Header=BB2_5547 Depth=3
	s_xor_b32 s17, exec_lo, -1
; %bb.5572:                             ;   in Loop: Header=BB2_5547 Depth=3
	s_or_b32 exec_lo, exec_lo, s75
	s_and_b32 s17, s17, exec_lo
	s_or_saveexec_b32 s74, s74
	v_mov_b32_e32 v63, 0x7f800001
	s_xor_b32 exec_lo, exec_lo, s74
	s_cbranch_execnz .LBB2_6100
.LBB2_5573:                             ;   in Loop: Header=BB2_5547 Depth=3
	s_or_b32 exec_lo, exec_lo, s74
	s_and_saveexec_b32 s74, s17
	s_cbranch_execz .LBB2_5575
.LBB2_5574:                             ;   in Loop: Header=BB2_5547 Depth=3
	v_and_b32_sdwa v63, v99, v8 dst_sel:DWORD dst_unused:UNUSED_PAD src0_sel:DWORD src1_sel:BYTE_1
	v_and_b32_e32 v72, 3, v63
	v_bfe_u32 v75, v63, 2, 5
	v_ffbh_u32_e32 v73, v72
	v_cmp_eq_u32_e32 vcc_lo, 0, v75
	v_min_u32_e32 v73, 32, v73
	v_subrev_nc_u32_e32 v74, 29, v73
	v_sub_nc_u32_e32 v73, 30, v73
	v_lshlrev_b32_e32 v63, v74, v63
	v_lshlrev_b32_sdwa v74, v100, v8 dst_sel:DWORD dst_unused:UNUSED_PAD src0_sel:DWORD src1_sel:BYTE_1
	v_cndmask_b32_e32 v73, v75, v73, vcc_lo
	v_and_b32_e32 v63, 3, v63
	v_lshl_add_u32 v73, v73, 23, 0x37800000
	v_cndmask_b32_e32 v63, v72, v63, vcc_lo
	v_and_b32_e32 v72, 0x80000000, v74
	v_lshlrev_b32_e32 v63, 21, v63
	v_or3_b32 v63, v72, v73, v63
.LBB2_5575:                             ;   in Loop: Header=BB2_5547 Depth=3
	s_or_b32 exec_lo, exec_lo, s74
	v_mul_f32_e32 v63, s73, v63
	v_mov_b32_e32 v73, 0x8000
	s_mov_b32 s74, exec_lo
	v_and_b32_e32 v72, 0x7f800000, v63
	v_cmpx_ne_u32_e32 0x7f800000, v72
	s_cbranch_execz .LBB2_5583
; %bb.5576:                             ;   in Loop: Header=BB2_5547 Depth=3
	v_mov_b32_e32 v73, 0
	s_mov_b32 s75, exec_lo
	v_cmpx_ne_u32_e32 0, v63
	s_cbranch_execz .LBB2_5582
; %bb.5577:                             ;   in Loop: Header=BB2_5547 Depth=3
	v_bfe_u32 v72, v63, 23, 8
	v_and_b32_e32 v73, 0x7fffff, v63
	v_sub_nc_u32_e32 v74, 0x70, v72
	v_cmp_gt_u32_e32 vcc_lo, 0x71, v72
	v_or_b32_e32 v75, 0x800000, v73
	v_cndmask_b32_e32 v74, 0, v74, vcc_lo
	v_cmp_eq_u32_e32 vcc_lo, 0, v72
	v_add_nc_u32_e32 v72, 0xffffff91, v72
	v_cndmask_b32_e64 v74, v74, 0x6f, vcc_lo
	v_cndmask_b32_e32 v73, v75, v73, vcc_lo
	v_cndmask_b32_e64 v72, v72, 0xffffff92, vcc_lo
	v_lshl_add_u32 v75, 0x200000, v74, -1
	v_lshrrev_b32_e32 v76, v74, v73
	v_lshlrev_b32_e64 v78, v74, 0x100000
	v_add_nc_u32_e32 v74, v74, v72
	v_and_b32_e32 v73, v75, v73
	v_bfe_u32 v77, v76, 21, 1
	v_cmp_eq_u32_e64 s17, v73, v78
	v_add_nc_u32_e32 v75, -1, v77
	v_cndmask_b32_e64 v73, 0, v75, s17
	v_lshrrev_b32_e32 v75, 23, v76
	s_mov_b32 s17, exec_lo
	v_add_nc_u32_e32 v73, v73, v76
	v_xor_b32_e32 v75, 1, v75
	v_and_b32_e32 v72, 0x1fffff, v73
	v_add_nc_u32_e32 v73, v72, v76
                                        ; implicit-def: $vgpr72
	v_cmpx_ne_u32_e64 v74, v75
	s_xor_b32 s17, exec_lo, s17
; %bb.5578:                             ;   in Loop: Header=BB2_5547 Depth=3
	v_cmp_lt_u32_e32 vcc_lo, 0xffffff, v73
	v_sub_nc_u32_e32 v72, v74, v75
	v_cndmask_b32_e64 v74, 0, 1, vcc_lo
	v_add_co_ci_u32_e64 v72, null, 0, v72, vcc_lo
	v_lshrrev_b32_e32 v73, v74, v73
; %bb.5579:                             ;   in Loop: Header=BB2_5547 Depth=3
	s_andn2_saveexec_b32 s17, s17
; %bb.5580:                             ;   in Loop: Header=BB2_5547 Depth=3
	v_bfe_u32 v72, v73, 23, 1
; %bb.5581:                             ;   in Loop: Header=BB2_5547 Depth=3
	s_or_b32 exec_lo, exec_lo, s17
	v_lshrrev_b32_e32 v73, 21, v73
	v_min_i32_e32 v74, 31, v72
	v_cmp_gt_i32_e32 vcc_lo, 32, v72
	v_and_b32_sdwa v63, v63, v98 dst_sel:DWORD dst_unused:UNUSED_PAD src0_sel:BYTE_3 src1_sel:DWORD
	v_lshlrev_b32_e32 v74, 2, v74
	v_cndmask_b32_e32 v73, 3, v73, vcc_lo
	v_and_b32_e32 v74, 0xfc, v74
	v_and_b32_e32 v75, 3, v73
	v_or_b32_e32 v72, v72, v73
	v_or3_b32 v63, v63, v74, v75
	v_cmp_ne_u32_e32 vcc_lo, 0, v72
	v_lshlrev_b32_e32 v63, 8, v63
	v_cndmask_b32_e32 v73, 0, v63, vcc_lo
.LBB2_5582:                             ;   in Loop: Header=BB2_5547 Depth=3
	s_or_b32 exec_lo, exec_lo, s75
.LBB2_5583:                             ;   in Loop: Header=BB2_5547 Depth=3
	s_or_b32 exec_lo, exec_lo, s74
	v_and_b32_sdwa v72, v8, v101 dst_sel:DWORD dst_unused:UNUSED_PAD src0_sel:WORD_1 src1_sel:DWORD
	s_mov_b32 s17, 0
	s_mov_b32 s74, exec_lo
	v_cmpx_lt_i16_e32 0x7f, v72
	s_xor_b32 s74, exec_lo, s74
	s_cbranch_execz .LBB2_6101
; %bb.5584:                             ;   in Loop: Header=BB2_5547 Depth=3
	s_mov_b32 s17, -1
	s_mov_b32 s75, exec_lo
	v_cmpx_eq_u16_e32 0x80, v72
; %bb.5585:                             ;   in Loop: Header=BB2_5547 Depth=3
	s_xor_b32 s17, exec_lo, -1
; %bb.5586:                             ;   in Loop: Header=BB2_5547 Depth=3
	s_or_b32 exec_lo, exec_lo, s75
	s_and_b32 s17, s17, exec_lo
                                        ; implicit-def: $vgpr72
	s_or_saveexec_b32 s74, s74
	v_mov_b32_e32 v63, 0x7f800001
	s_xor_b32 exec_lo, exec_lo, s74
	s_cbranch_execnz .LBB2_6102
.LBB2_5587:                             ;   in Loop: Header=BB2_5547 Depth=3
	s_or_b32 exec_lo, exec_lo, s74
	s_and_saveexec_b32 s74, s17
	s_cbranch_execz .LBB2_5589
.LBB2_5588:                             ;   in Loop: Header=BB2_5547 Depth=3
	v_bfe_u32 v63, v8, 16, 2
	v_bfe_u32 v75, v8, 18, 5
	v_lshlrev_b32_e32 v76, 8, v8
	v_ffbh_u32_e32 v72, v63
	v_cmp_eq_u32_e32 vcc_lo, 0, v75
	v_min_u32_e32 v72, 32, v72
	v_subrev_nc_u32_e32 v74, 29, v72
	v_sub_nc_u32_e32 v72, 30, v72
	v_lshlrev_b32_sdwa v74, v74, v8 dst_sel:DWORD dst_unused:UNUSED_PAD src0_sel:DWORD src1_sel:WORD_1
	v_cndmask_b32_e32 v72, v75, v72, vcc_lo
	v_and_b32_e32 v74, 3, v74
	v_lshl_add_u32 v72, v72, 23, 0x37800000
	v_cndmask_b32_e32 v63, v63, v74, vcc_lo
	v_and_b32_e32 v74, 0x80000000, v76
	v_lshlrev_b32_e32 v63, 21, v63
	v_or3_b32 v63, v74, v72, v63
.LBB2_5589:                             ;   in Loop: Header=BB2_5547 Depth=3
	s_or_b32 exec_lo, exec_lo, s74
	v_mul_f32_e32 v63, s73, v63
	v_mov_b32_e32 v78, 0x80
	s_mov_b32 s74, exec_lo
	v_and_b32_e32 v72, 0x7f800000, v63
	v_cmpx_ne_u32_e32 0x7f800000, v72
	s_cbranch_execz .LBB2_5597
; %bb.5590:                             ;   in Loop: Header=BB2_5547 Depth=3
	v_mov_b32_e32 v78, 0
	s_mov_b32 s75, exec_lo
	v_cmpx_ne_u32_e32 0, v63
	s_cbranch_execz .LBB2_5596
; %bb.5591:                             ;   in Loop: Header=BB2_5547 Depth=3
	v_bfe_u32 v72, v63, 23, 8
	v_and_b32_e32 v74, 0x7fffff, v63
	v_sub_nc_u32_e32 v75, 0x70, v72
	v_cmp_gt_u32_e32 vcc_lo, 0x71, v72
	v_or_b32_e32 v76, 0x800000, v74
	v_cndmask_b32_e32 v75, 0, v75, vcc_lo
	v_cmp_eq_u32_e32 vcc_lo, 0, v72
	v_add_nc_u32_e32 v72, 0xffffff91, v72
	v_cndmask_b32_e64 v75, v75, 0x6f, vcc_lo
	v_cndmask_b32_e32 v74, v76, v74, vcc_lo
	v_cndmask_b32_e64 v72, v72, 0xffffff92, vcc_lo
	v_lshl_add_u32 v76, 0x200000, v75, -1
	v_lshrrev_b32_e32 v77, v75, v74
	v_lshlrev_b32_e64 v79, v75, 0x100000
	v_add_nc_u32_e32 v75, v75, v72
	v_and_b32_e32 v74, v76, v74
	v_bfe_u32 v78, v77, 21, 1
	v_cmp_eq_u32_e64 s17, v74, v79
	v_add_nc_u32_e32 v76, -1, v78
	v_cndmask_b32_e64 v74, 0, v76, s17
	v_lshrrev_b32_e32 v76, 23, v77
	s_mov_b32 s17, exec_lo
	v_add_nc_u32_e32 v74, v74, v77
	v_xor_b32_e32 v76, 1, v76
	v_and_b32_e32 v72, 0x1fffff, v74
	v_add_nc_u32_e32 v74, v72, v77
                                        ; implicit-def: $vgpr72
	v_cmpx_ne_u32_e64 v75, v76
	s_xor_b32 s17, exec_lo, s17
; %bb.5592:                             ;   in Loop: Header=BB2_5547 Depth=3
	v_cmp_lt_u32_e32 vcc_lo, 0xffffff, v74
	v_sub_nc_u32_e32 v72, v75, v76
	v_cndmask_b32_e64 v75, 0, 1, vcc_lo
	v_add_co_ci_u32_e64 v72, null, 0, v72, vcc_lo
	v_lshrrev_b32_e32 v74, v75, v74
; %bb.5593:                             ;   in Loop: Header=BB2_5547 Depth=3
	s_andn2_saveexec_b32 s17, s17
; %bb.5594:                             ;   in Loop: Header=BB2_5547 Depth=3
	v_bfe_u32 v72, v74, 23, 1
; %bb.5595:                             ;   in Loop: Header=BB2_5547 Depth=3
	s_or_b32 exec_lo, exec_lo, s17
	v_lshrrev_b32_e32 v74, 21, v74
	v_min_i32_e32 v75, 31, v72
	v_cmp_gt_i32_e32 vcc_lo, 32, v72
	v_and_b32_sdwa v63, v63, v98 dst_sel:DWORD dst_unused:UNUSED_PAD src0_sel:BYTE_3 src1_sel:DWORD
	v_lshlrev_b32_e32 v75, 2, v75
	v_cndmask_b32_e32 v74, 3, v74, vcc_lo
	v_and_b32_e32 v75, 0xfc, v75
	v_and_b32_e32 v76, 3, v74
	v_or_b32_e32 v72, v72, v74
	v_or3_b32 v63, v75, v63, v76
	v_cmp_ne_u32_e32 vcc_lo, 0, v72
	v_cndmask_b32_e32 v78, 0, v63, vcc_lo
.LBB2_5596:                             ;   in Loop: Header=BB2_5547 Depth=3
	s_or_b32 exec_lo, exec_lo, s75
.LBB2_5597:                             ;   in Loop: Header=BB2_5547 Depth=3
	s_or_b32 exec_lo, exec_lo, s74
	v_cmp_gt_i16_sdwa s74, v8, v97 src0_sel:BYTE_3 src1_sel:DWORD
	s_mov_b32 s17, 0
	s_and_saveexec_b32 s75, s74
	s_xor_b32 s74, exec_lo, s75
	s_cbranch_execz .LBB2_6103
; %bb.5598:                             ;   in Loop: Header=BB2_5547 Depth=3
	v_cmp_eq_u16_sdwa s76, v8, v98 src0_sel:BYTE_3 src1_sel:DWORD
	s_mov_b32 s17, -1
	s_and_saveexec_b32 s75, s76
; %bb.5599:                             ;   in Loop: Header=BB2_5547 Depth=3
	s_xor_b32 s17, exec_lo, -1
; %bb.5600:                             ;   in Loop: Header=BB2_5547 Depth=3
	s_or_b32 exec_lo, exec_lo, s75
	s_and_b32 s17, s17, exec_lo
	s_or_saveexec_b32 s74, s74
	v_mov_b32_e32 v63, 0x7f800001
	s_xor_b32 exec_lo, exec_lo, s74
	s_cbranch_execnz .LBB2_6104
.LBB2_5601:                             ;   in Loop: Header=BB2_5547 Depth=3
	s_or_b32 exec_lo, exec_lo, s74
	s_and_saveexec_b32 s74, s17
	s_cbranch_execz .LBB2_5603
.LBB2_5602:                             ;   in Loop: Header=BB2_5547 Depth=3
	v_bfe_u32 v63, v8, 24, 2
	v_bfe_u32 v75, v8, 26, 5
	v_ffbh_u32_e32 v72, v63
	v_cmp_eq_u32_e32 vcc_lo, 0, v75
	v_min_u32_e32 v72, 32, v72
	v_subrev_nc_u32_e32 v74, 29, v72
	v_sub_nc_u32_e32 v72, 30, v72
	v_lshlrev_b32_sdwa v74, v74, v8 dst_sel:DWORD dst_unused:UNUSED_PAD src0_sel:DWORD src1_sel:BYTE_3
	v_cndmask_b32_e32 v72, v75, v72, vcc_lo
	v_and_b32_e32 v8, 0x80000000, v8
	v_and_b32_e32 v74, 3, v74
	v_lshl_add_u32 v72, v72, 23, 0x37800000
	v_cndmask_b32_e32 v63, v63, v74, vcc_lo
	v_lshlrev_b32_e32 v63, 21, v63
	v_or3_b32 v63, v8, v72, v63
.LBB2_5603:                             ;   in Loop: Header=BB2_5547 Depth=3
	s_or_b32 exec_lo, exec_lo, s74
	v_mul_f32_e32 v8, s73, v63
	v_mov_b32_e32 v93, 0x8000
	s_mov_b32 s74, exec_lo
	v_and_b32_e32 v63, 0x7f800000, v8
	v_cmpx_ne_u32_e32 0x7f800000, v63
	s_cbranch_execz .LBB2_5611
; %bb.5604:                             ;   in Loop: Header=BB2_5547 Depth=3
	v_mov_b32_e32 v93, 0
	s_mov_b32 s75, exec_lo
	v_cmpx_ne_u32_e32 0, v8
	s_cbranch_execz .LBB2_5610
; %bb.5605:                             ;   in Loop: Header=BB2_5547 Depth=3
	v_bfe_u32 v63, v8, 23, 8
	v_and_b32_e32 v72, 0x7fffff, v8
	v_sub_nc_u32_e32 v74, 0x70, v63
	v_cmp_gt_u32_e32 vcc_lo, 0x71, v63
	v_or_b32_e32 v75, 0x800000, v72
	v_cndmask_b32_e32 v74, 0, v74, vcc_lo
	v_cmp_eq_u32_e32 vcc_lo, 0, v63
	v_add_nc_u32_e32 v63, 0xffffff91, v63
	v_cndmask_b32_e64 v74, v74, 0x6f, vcc_lo
	v_cndmask_b32_e32 v72, v75, v72, vcc_lo
	v_cndmask_b32_e64 v63, v63, 0xffffff92, vcc_lo
	v_lshl_add_u32 v75, 0x200000, v74, -1
	v_lshrrev_b32_e32 v76, v74, v72
	v_lshlrev_b32_e64 v79, v74, 0x100000
	v_add_nc_u32_e32 v74, v74, v63
	v_and_b32_e32 v72, v75, v72
	v_bfe_u32 v77, v76, 21, 1
	v_cmp_eq_u32_e64 s17, v72, v79
	v_add_nc_u32_e32 v75, -1, v77
	v_cndmask_b32_e64 v72, 0, v75, s17
	v_lshrrev_b32_e32 v75, 23, v76
	s_mov_b32 s17, exec_lo
	v_add_nc_u32_e32 v72, v72, v76
	v_xor_b32_e32 v75, 1, v75
	v_and_b32_e32 v63, 0x1fffff, v72
	v_add_nc_u32_e32 v72, v63, v76
                                        ; implicit-def: $vgpr63
	v_cmpx_ne_u32_e64 v74, v75
	s_xor_b32 s17, exec_lo, s17
; %bb.5606:                             ;   in Loop: Header=BB2_5547 Depth=3
	v_cmp_lt_u32_e32 vcc_lo, 0xffffff, v72
	v_sub_nc_u32_e32 v63, v74, v75
	v_cndmask_b32_e64 v74, 0, 1, vcc_lo
	v_add_co_ci_u32_e64 v63, null, 0, v63, vcc_lo
	v_lshrrev_b32_e32 v72, v74, v72
; %bb.5607:                             ;   in Loop: Header=BB2_5547 Depth=3
	s_andn2_saveexec_b32 s17, s17
; %bb.5608:                             ;   in Loop: Header=BB2_5547 Depth=3
	v_bfe_u32 v63, v72, 23, 1
; %bb.5609:                             ;   in Loop: Header=BB2_5547 Depth=3
	s_or_b32 exec_lo, exec_lo, s17
	v_lshrrev_b32_e32 v72, 21, v72
	v_min_i32_e32 v74, 31, v63
	v_cmp_gt_i32_e32 vcc_lo, 32, v63
	v_and_b32_sdwa v8, v8, v98 dst_sel:DWORD dst_unused:UNUSED_PAD src0_sel:BYTE_3 src1_sel:DWORD
	v_lshlrev_b32_e32 v74, 2, v74
	v_cndmask_b32_e32 v72, 3, v72, vcc_lo
	v_and_b32_e32 v74, 0xfc, v74
	v_and_b32_e32 v75, 3, v72
	v_or_b32_e32 v63, v63, v72
	v_or3_b32 v8, v8, v74, v75
	v_cmp_ne_u32_e32 vcc_lo, 0, v63
	v_lshlrev_b32_e32 v8, 8, v8
	v_cndmask_b32_e32 v93, 0, v8, vcc_lo
.LBB2_5610:                             ;   in Loop: Header=BB2_5547 Depth=3
	s_or_b32 exec_lo, exec_lo, s75
.LBB2_5611:                             ;   in Loop: Header=BB2_5547 Depth=3
	s_or_b32 exec_lo, exec_lo, s74
	v_cmp_gt_i16_sdwa s74, v9, v97 src0_sel:BYTE_0 src1_sel:DWORD
	s_mov_b32 s17, 0
	s_and_saveexec_b32 s75, s74
	s_xor_b32 s74, exec_lo, s75
	s_cbranch_execz .LBB2_6105
; %bb.5612:                             ;   in Loop: Header=BB2_5547 Depth=3
	v_cmp_eq_u16_sdwa s76, v9, v98 src0_sel:BYTE_0 src1_sel:DWORD
	s_mov_b32 s17, -1
	s_and_saveexec_b32 s75, s76
; %bb.5613:                             ;   in Loop: Header=BB2_5547 Depth=3
	s_xor_b32 s17, exec_lo, -1
; %bb.5614:                             ;   in Loop: Header=BB2_5547 Depth=3
	s_or_b32 exec_lo, exec_lo, s75
	s_and_b32 s17, s17, exec_lo
	s_or_saveexec_b32 s74, s74
	v_mov_b32_e32 v8, 0x7f800001
	s_xor_b32 exec_lo, exec_lo, s74
	s_cbranch_execnz .LBB2_6106
.LBB2_5615:                             ;   in Loop: Header=BB2_5547 Depth=3
	s_or_b32 exec_lo, exec_lo, s74
	s_and_saveexec_b32 s74, s17
	s_cbranch_execz .LBB2_5617
.LBB2_5616:                             ;   in Loop: Header=BB2_5547 Depth=3
	v_and_b32_e32 v8, 3, v9
	v_bfe_u32 v74, v9, 2, 5
	v_lshlrev_b32_e32 v75, 24, v9
	v_ffbh_u32_e32 v63, v8
	v_cmp_eq_u32_e32 vcc_lo, 0, v74
	v_min_u32_e32 v63, 32, v63
	v_subrev_nc_u32_e32 v72, 29, v63
	v_sub_nc_u32_e32 v63, 30, v63
	v_lshlrev_b32_e32 v72, v72, v9
	v_cndmask_b32_e32 v63, v74, v63, vcc_lo
	v_and_b32_e32 v72, 3, v72
	v_lshl_add_u32 v63, v63, 23, 0x37800000
	v_cndmask_b32_e32 v8, v8, v72, vcc_lo
	v_and_b32_e32 v72, 0x80000000, v75
	v_lshlrev_b32_e32 v8, 21, v8
	v_or3_b32 v8, v72, v63, v8
.LBB2_5617:                             ;   in Loop: Header=BB2_5547 Depth=3
	s_or_b32 exec_lo, exec_lo, s74
	v_mul_f32_e32 v8, s73, v8
	v_mov_b32_e32 v90, 0x80
	s_mov_b32 s74, exec_lo
	v_and_b32_e32 v63, 0x7f800000, v8
	v_cmpx_ne_u32_e32 0x7f800000, v63
	s_cbranch_execz .LBB2_5625
; %bb.5618:                             ;   in Loop: Header=BB2_5547 Depth=3
	v_mov_b32_e32 v90, 0
	s_mov_b32 s75, exec_lo
	v_cmpx_ne_u32_e32 0, v8
	s_cbranch_execz .LBB2_5624
; %bb.5619:                             ;   in Loop: Header=BB2_5547 Depth=3
	v_bfe_u32 v63, v8, 23, 8
	v_and_b32_e32 v72, 0x7fffff, v8
	v_sub_nc_u32_e32 v74, 0x70, v63
	v_cmp_gt_u32_e32 vcc_lo, 0x71, v63
	v_or_b32_e32 v75, 0x800000, v72
	v_cndmask_b32_e32 v74, 0, v74, vcc_lo
	v_cmp_eq_u32_e32 vcc_lo, 0, v63
	v_add_nc_u32_e32 v63, 0xffffff91, v63
	v_cndmask_b32_e64 v74, v74, 0x6f, vcc_lo
	v_cndmask_b32_e32 v72, v75, v72, vcc_lo
	v_cndmask_b32_e64 v63, v63, 0xffffff92, vcc_lo
	v_lshl_add_u32 v75, 0x200000, v74, -1
	v_lshrrev_b32_e32 v76, v74, v72
	v_lshlrev_b32_e64 v79, v74, 0x100000
	v_add_nc_u32_e32 v74, v74, v63
	v_and_b32_e32 v72, v75, v72
	v_bfe_u32 v77, v76, 21, 1
	v_cmp_eq_u32_e64 s17, v72, v79
	v_add_nc_u32_e32 v75, -1, v77
	v_cndmask_b32_e64 v72, 0, v75, s17
	v_lshrrev_b32_e32 v75, 23, v76
	s_mov_b32 s17, exec_lo
	v_add_nc_u32_e32 v72, v72, v76
	v_xor_b32_e32 v75, 1, v75
	v_and_b32_e32 v63, 0x1fffff, v72
	v_add_nc_u32_e32 v72, v63, v76
                                        ; implicit-def: $vgpr63
	v_cmpx_ne_u32_e64 v74, v75
	s_xor_b32 s17, exec_lo, s17
; %bb.5620:                             ;   in Loop: Header=BB2_5547 Depth=3
	v_cmp_lt_u32_e32 vcc_lo, 0xffffff, v72
	v_sub_nc_u32_e32 v63, v74, v75
	v_cndmask_b32_e64 v74, 0, 1, vcc_lo
	v_add_co_ci_u32_e64 v63, null, 0, v63, vcc_lo
	v_lshrrev_b32_e32 v72, v74, v72
; %bb.5621:                             ;   in Loop: Header=BB2_5547 Depth=3
	s_andn2_saveexec_b32 s17, s17
; %bb.5622:                             ;   in Loop: Header=BB2_5547 Depth=3
	v_bfe_u32 v63, v72, 23, 1
; %bb.5623:                             ;   in Loop: Header=BB2_5547 Depth=3
	s_or_b32 exec_lo, exec_lo, s17
	v_lshrrev_b32_e32 v72, 21, v72
	v_min_i32_e32 v74, 31, v63
	v_cmp_gt_i32_e32 vcc_lo, 32, v63
	v_and_b32_sdwa v8, v8, v98 dst_sel:DWORD dst_unused:UNUSED_PAD src0_sel:BYTE_3 src1_sel:DWORD
	v_lshlrev_b32_e32 v74, 2, v74
	v_cndmask_b32_e32 v72, 3, v72, vcc_lo
	v_and_b32_e32 v74, 0xfc, v74
	v_and_b32_e32 v75, 3, v72
	v_or_b32_e32 v63, v63, v72
	v_or3_b32 v8, v74, v8, v75
	v_cmp_ne_u32_e32 vcc_lo, 0, v63
	v_cndmask_b32_e32 v90, 0, v8, vcc_lo
.LBB2_5624:                             ;   in Loop: Header=BB2_5547 Depth=3
	s_or_b32 exec_lo, exec_lo, s75
.LBB2_5625:                             ;   in Loop: Header=BB2_5547 Depth=3
	s_or_b32 exec_lo, exec_lo, s74
	v_cmp_gt_i16_sdwa s74, v9, v97 src0_sel:BYTE_1 src1_sel:DWORD
	s_mov_b32 s17, 0
	s_and_saveexec_b32 s75, s74
	s_xor_b32 s74, exec_lo, s75
	s_cbranch_execz .LBB2_6107
; %bb.5626:                             ;   in Loop: Header=BB2_5547 Depth=3
	v_cmp_eq_u16_sdwa s76, v9, v98 src0_sel:BYTE_1 src1_sel:DWORD
	s_mov_b32 s17, -1
	s_and_saveexec_b32 s75, s76
; %bb.5627:                             ;   in Loop: Header=BB2_5547 Depth=3
	s_xor_b32 s17, exec_lo, -1
; %bb.5628:                             ;   in Loop: Header=BB2_5547 Depth=3
	s_or_b32 exec_lo, exec_lo, s75
	s_and_b32 s17, s17, exec_lo
	s_or_saveexec_b32 s74, s74
	v_mov_b32_e32 v8, 0x7f800001
	s_xor_b32 exec_lo, exec_lo, s74
	s_cbranch_execnz .LBB2_6108
.LBB2_5629:                             ;   in Loop: Header=BB2_5547 Depth=3
	s_or_b32 exec_lo, exec_lo, s74
	s_and_saveexec_b32 s74, s17
	s_cbranch_execz .LBB2_5631
.LBB2_5630:                             ;   in Loop: Header=BB2_5547 Depth=3
	v_and_b32_sdwa v8, v99, v9 dst_sel:DWORD dst_unused:UNUSED_PAD src0_sel:DWORD src1_sel:BYTE_1
	v_and_b32_e32 v63, 3, v8
	v_bfe_u32 v75, v8, 2, 5
	v_ffbh_u32_e32 v72, v63
	v_cmp_eq_u32_e32 vcc_lo, 0, v75
	v_min_u32_e32 v72, 32, v72
	v_subrev_nc_u32_e32 v74, 29, v72
	v_sub_nc_u32_e32 v72, 30, v72
	v_lshlrev_b32_e32 v8, v74, v8
	v_lshlrev_b32_sdwa v74, v100, v9 dst_sel:DWORD dst_unused:UNUSED_PAD src0_sel:DWORD src1_sel:BYTE_1
	v_cndmask_b32_e32 v72, v75, v72, vcc_lo
	v_and_b32_e32 v8, 3, v8
	v_lshl_add_u32 v72, v72, 23, 0x37800000
	v_cndmask_b32_e32 v8, v63, v8, vcc_lo
	v_and_b32_e32 v63, 0x80000000, v74
	v_lshlrev_b32_e32 v8, 21, v8
	v_or3_b32 v8, v63, v72, v8
.LBB2_5631:                             ;   in Loop: Header=BB2_5547 Depth=3
	s_or_b32 exec_lo, exec_lo, s74
	v_mul_f32_e32 v8, s73, v8
	v_mov_b32_e32 v92, 0x8000
	s_mov_b32 s74, exec_lo
	v_and_b32_e32 v63, 0x7f800000, v8
	v_cmpx_ne_u32_e32 0x7f800000, v63
	s_cbranch_execz .LBB2_5639
; %bb.5632:                             ;   in Loop: Header=BB2_5547 Depth=3
	v_mov_b32_e32 v92, 0
	s_mov_b32 s75, exec_lo
	v_cmpx_ne_u32_e32 0, v8
	s_cbranch_execz .LBB2_5638
; %bb.5633:                             ;   in Loop: Header=BB2_5547 Depth=3
	v_bfe_u32 v63, v8, 23, 8
	v_and_b32_e32 v72, 0x7fffff, v8
	v_sub_nc_u32_e32 v74, 0x70, v63
	v_cmp_gt_u32_e32 vcc_lo, 0x71, v63
	v_or_b32_e32 v75, 0x800000, v72
	v_cndmask_b32_e32 v74, 0, v74, vcc_lo
	v_cmp_eq_u32_e32 vcc_lo, 0, v63
	v_add_nc_u32_e32 v63, 0xffffff91, v63
	v_cndmask_b32_e64 v74, v74, 0x6f, vcc_lo
	v_cndmask_b32_e32 v72, v75, v72, vcc_lo
	v_cndmask_b32_e64 v63, v63, 0xffffff92, vcc_lo
	v_lshl_add_u32 v75, 0x200000, v74, -1
	v_lshrrev_b32_e32 v76, v74, v72
	v_lshlrev_b32_e64 v79, v74, 0x100000
	v_add_nc_u32_e32 v74, v74, v63
	v_and_b32_e32 v72, v75, v72
	v_bfe_u32 v77, v76, 21, 1
	v_cmp_eq_u32_e64 s17, v72, v79
	v_add_nc_u32_e32 v75, -1, v77
	v_cndmask_b32_e64 v72, 0, v75, s17
	v_lshrrev_b32_e32 v75, 23, v76
	s_mov_b32 s17, exec_lo
	v_add_nc_u32_e32 v72, v72, v76
	v_xor_b32_e32 v75, 1, v75
	v_and_b32_e32 v63, 0x1fffff, v72
	v_add_nc_u32_e32 v72, v63, v76
                                        ; implicit-def: $vgpr63
	v_cmpx_ne_u32_e64 v74, v75
	s_xor_b32 s17, exec_lo, s17
; %bb.5634:                             ;   in Loop: Header=BB2_5547 Depth=3
	v_cmp_lt_u32_e32 vcc_lo, 0xffffff, v72
	v_sub_nc_u32_e32 v63, v74, v75
	v_cndmask_b32_e64 v74, 0, 1, vcc_lo
	v_add_co_ci_u32_e64 v63, null, 0, v63, vcc_lo
	v_lshrrev_b32_e32 v72, v74, v72
; %bb.5635:                             ;   in Loop: Header=BB2_5547 Depth=3
	s_andn2_saveexec_b32 s17, s17
; %bb.5636:                             ;   in Loop: Header=BB2_5547 Depth=3
	v_bfe_u32 v63, v72, 23, 1
; %bb.5637:                             ;   in Loop: Header=BB2_5547 Depth=3
	s_or_b32 exec_lo, exec_lo, s17
	v_lshrrev_b32_e32 v72, 21, v72
	v_min_i32_e32 v74, 31, v63
	v_cmp_gt_i32_e32 vcc_lo, 32, v63
	v_and_b32_sdwa v8, v8, v98 dst_sel:DWORD dst_unused:UNUSED_PAD src0_sel:BYTE_3 src1_sel:DWORD
	v_lshlrev_b32_e32 v74, 2, v74
	v_cndmask_b32_e32 v72, 3, v72, vcc_lo
	v_and_b32_e32 v74, 0xfc, v74
	v_and_b32_e32 v75, 3, v72
	v_or_b32_e32 v63, v63, v72
	v_or3_b32 v8, v8, v74, v75
	v_cmp_ne_u32_e32 vcc_lo, 0, v63
	v_lshlrev_b32_e32 v8, 8, v8
	v_cndmask_b32_e32 v92, 0, v8, vcc_lo
.LBB2_5638:                             ;   in Loop: Header=BB2_5547 Depth=3
	s_or_b32 exec_lo, exec_lo, s75
.LBB2_5639:                             ;   in Loop: Header=BB2_5547 Depth=3
	s_or_b32 exec_lo, exec_lo, s74
	v_and_b32_sdwa v63, v9, v101 dst_sel:DWORD dst_unused:UNUSED_PAD src0_sel:WORD_1 src1_sel:DWORD
	s_mov_b32 s17, 0
	s_mov_b32 s74, exec_lo
	v_cmpx_lt_i16_e32 0x7f, v63
	s_xor_b32 s74, exec_lo, s74
	s_cbranch_execz .LBB2_6109
; %bb.5640:                             ;   in Loop: Header=BB2_5547 Depth=3
	s_mov_b32 s17, -1
	s_mov_b32 s75, exec_lo
	v_cmpx_eq_u16_e32 0x80, v63
; %bb.5641:                             ;   in Loop: Header=BB2_5547 Depth=3
	s_xor_b32 s17, exec_lo, -1
; %bb.5642:                             ;   in Loop: Header=BB2_5547 Depth=3
	s_or_b32 exec_lo, exec_lo, s75
	s_and_b32 s17, s17, exec_lo
                                        ; implicit-def: $vgpr63
	s_or_saveexec_b32 s74, s74
	v_mov_b32_e32 v8, 0x7f800001
	s_xor_b32 exec_lo, exec_lo, s74
	s_cbranch_execnz .LBB2_6110
.LBB2_5643:                             ;   in Loop: Header=BB2_5547 Depth=3
	s_or_b32 exec_lo, exec_lo, s74
	s_and_saveexec_b32 s74, s17
	s_cbranch_execz .LBB2_5645
.LBB2_5644:                             ;   in Loop: Header=BB2_5547 Depth=3
	v_bfe_u32 v8, v9, 16, 2
	v_bfe_u32 v74, v9, 18, 5
	v_lshlrev_b32_e32 v75, 8, v9
	v_ffbh_u32_e32 v63, v8
	v_cmp_eq_u32_e32 vcc_lo, 0, v74
	v_min_u32_e32 v63, 32, v63
	v_subrev_nc_u32_e32 v72, 29, v63
	v_sub_nc_u32_e32 v63, 30, v63
	v_lshlrev_b32_sdwa v72, v72, v9 dst_sel:DWORD dst_unused:UNUSED_PAD src0_sel:DWORD src1_sel:WORD_1
	v_cndmask_b32_e32 v63, v74, v63, vcc_lo
	v_and_b32_e32 v72, 3, v72
	v_lshl_add_u32 v63, v63, 23, 0x37800000
	v_cndmask_b32_e32 v8, v8, v72, vcc_lo
	v_and_b32_e32 v72, 0x80000000, v75
	v_lshlrev_b32_e32 v8, 21, v8
	v_or3_b32 v8, v72, v63, v8
.LBB2_5645:                             ;   in Loop: Header=BB2_5547 Depth=3
	s_or_b32 exec_lo, exec_lo, s74
	v_mul_f32_e32 v8, s73, v8
	v_mov_b32_e32 v88, 0x80
	s_mov_b32 s74, exec_lo
	v_and_b32_e32 v63, 0x7f800000, v8
	v_cmpx_ne_u32_e32 0x7f800000, v63
	s_cbranch_execz .LBB2_5653
; %bb.5646:                             ;   in Loop: Header=BB2_5547 Depth=3
	v_mov_b32_e32 v88, 0
	s_mov_b32 s75, exec_lo
	v_cmpx_ne_u32_e32 0, v8
	s_cbranch_execz .LBB2_5652
; %bb.5647:                             ;   in Loop: Header=BB2_5547 Depth=3
	v_bfe_u32 v63, v8, 23, 8
	v_and_b32_e32 v72, 0x7fffff, v8
	v_sub_nc_u32_e32 v74, 0x70, v63
	v_cmp_gt_u32_e32 vcc_lo, 0x71, v63
	v_or_b32_e32 v75, 0x800000, v72
	v_cndmask_b32_e32 v74, 0, v74, vcc_lo
	v_cmp_eq_u32_e32 vcc_lo, 0, v63
	v_add_nc_u32_e32 v63, 0xffffff91, v63
	v_cndmask_b32_e64 v74, v74, 0x6f, vcc_lo
	v_cndmask_b32_e32 v72, v75, v72, vcc_lo
	v_cndmask_b32_e64 v63, v63, 0xffffff92, vcc_lo
	v_lshl_add_u32 v75, 0x200000, v74, -1
	v_lshrrev_b32_e32 v76, v74, v72
	v_lshlrev_b32_e64 v79, v74, 0x100000
	v_add_nc_u32_e32 v74, v74, v63
	v_and_b32_e32 v72, v75, v72
	v_bfe_u32 v77, v76, 21, 1
	v_cmp_eq_u32_e64 s17, v72, v79
	v_add_nc_u32_e32 v75, -1, v77
	v_cndmask_b32_e64 v72, 0, v75, s17
	v_lshrrev_b32_e32 v75, 23, v76
	s_mov_b32 s17, exec_lo
	v_add_nc_u32_e32 v72, v72, v76
	v_xor_b32_e32 v75, 1, v75
	v_and_b32_e32 v63, 0x1fffff, v72
	v_add_nc_u32_e32 v72, v63, v76
                                        ; implicit-def: $vgpr63
	v_cmpx_ne_u32_e64 v74, v75
	s_xor_b32 s17, exec_lo, s17
; %bb.5648:                             ;   in Loop: Header=BB2_5547 Depth=3
	v_cmp_lt_u32_e32 vcc_lo, 0xffffff, v72
	v_sub_nc_u32_e32 v63, v74, v75
	v_cndmask_b32_e64 v74, 0, 1, vcc_lo
	v_add_co_ci_u32_e64 v63, null, 0, v63, vcc_lo
	v_lshrrev_b32_e32 v72, v74, v72
; %bb.5649:                             ;   in Loop: Header=BB2_5547 Depth=3
	s_andn2_saveexec_b32 s17, s17
; %bb.5650:                             ;   in Loop: Header=BB2_5547 Depth=3
	v_bfe_u32 v63, v72, 23, 1
; %bb.5651:                             ;   in Loop: Header=BB2_5547 Depth=3
	s_or_b32 exec_lo, exec_lo, s17
	v_lshrrev_b32_e32 v72, 21, v72
	v_min_i32_e32 v74, 31, v63
	v_cmp_gt_i32_e32 vcc_lo, 32, v63
	v_and_b32_sdwa v8, v8, v98 dst_sel:DWORD dst_unused:UNUSED_PAD src0_sel:BYTE_3 src1_sel:DWORD
	v_lshlrev_b32_e32 v74, 2, v74
	v_cndmask_b32_e32 v72, 3, v72, vcc_lo
	v_and_b32_e32 v74, 0xfc, v74
	v_and_b32_e32 v75, 3, v72
	v_or_b32_e32 v63, v63, v72
	v_or3_b32 v8, v74, v8, v75
	v_cmp_ne_u32_e32 vcc_lo, 0, v63
	v_cndmask_b32_e32 v88, 0, v8, vcc_lo
.LBB2_5652:                             ;   in Loop: Header=BB2_5547 Depth=3
	s_or_b32 exec_lo, exec_lo, s75
.LBB2_5653:                             ;   in Loop: Header=BB2_5547 Depth=3
	s_or_b32 exec_lo, exec_lo, s74
	v_cmp_gt_i16_sdwa s74, v9, v97 src0_sel:BYTE_3 src1_sel:DWORD
	s_mov_b32 s17, 0
	s_and_saveexec_b32 s75, s74
	s_xor_b32 s74, exec_lo, s75
	s_cbranch_execz .LBB2_6111
; %bb.5654:                             ;   in Loop: Header=BB2_5547 Depth=3
	v_cmp_eq_u16_sdwa s76, v9, v98 src0_sel:BYTE_3 src1_sel:DWORD
	s_mov_b32 s17, -1
	s_and_saveexec_b32 s75, s76
; %bb.5655:                             ;   in Loop: Header=BB2_5547 Depth=3
	s_xor_b32 s17, exec_lo, -1
; %bb.5656:                             ;   in Loop: Header=BB2_5547 Depth=3
	s_or_b32 exec_lo, exec_lo, s75
	s_and_b32 s17, s17, exec_lo
	s_or_saveexec_b32 s74, s74
	v_mov_b32_e32 v8, 0x7f800001
	s_xor_b32 exec_lo, exec_lo, s74
	s_cbranch_execnz .LBB2_6112
.LBB2_5657:                             ;   in Loop: Header=BB2_5547 Depth=3
	s_or_b32 exec_lo, exec_lo, s74
	s_and_saveexec_b32 s74, s17
	s_cbranch_execz .LBB2_5659
.LBB2_5658:                             ;   in Loop: Header=BB2_5547 Depth=3
	v_bfe_u32 v8, v9, 24, 2
	v_bfe_u32 v74, v9, 26, 5
	v_ffbh_u32_e32 v63, v8
	v_cmp_eq_u32_e32 vcc_lo, 0, v74
	v_min_u32_e32 v63, 32, v63
	v_subrev_nc_u32_e32 v72, 29, v63
	v_sub_nc_u32_e32 v63, 30, v63
	v_lshlrev_b32_sdwa v72, v72, v9 dst_sel:DWORD dst_unused:UNUSED_PAD src0_sel:DWORD src1_sel:BYTE_3
	v_cndmask_b32_e32 v63, v74, v63, vcc_lo
	v_and_b32_e32 v9, 0x80000000, v9
	v_and_b32_e32 v72, 3, v72
	v_lshl_add_u32 v63, v63, 23, 0x37800000
	v_cndmask_b32_e32 v8, v8, v72, vcc_lo
	v_lshlrev_b32_e32 v8, 21, v8
	v_or3_b32 v8, v9, v63, v8
.LBB2_5659:                             ;   in Loop: Header=BB2_5547 Depth=3
	s_or_b32 exec_lo, exec_lo, s74
	v_mul_f32_e32 v8, s73, v8
	v_mov_b32_e32 v91, 0x8000
	s_mov_b32 s74, exec_lo
	v_and_b32_e32 v9, 0x7f800000, v8
	v_cmpx_ne_u32_e32 0x7f800000, v9
	s_cbranch_execz .LBB2_5667
; %bb.5660:                             ;   in Loop: Header=BB2_5547 Depth=3
	v_mov_b32_e32 v91, 0
	s_mov_b32 s75, exec_lo
	v_cmpx_ne_u32_e32 0, v8
	s_cbranch_execz .LBB2_5666
; %bb.5661:                             ;   in Loop: Header=BB2_5547 Depth=3
	v_bfe_u32 v9, v8, 23, 8
	v_and_b32_e32 v63, 0x7fffff, v8
	v_sub_nc_u32_e32 v72, 0x70, v9
	v_cmp_gt_u32_e32 vcc_lo, 0x71, v9
	v_or_b32_e32 v74, 0x800000, v63
	v_cndmask_b32_e32 v72, 0, v72, vcc_lo
	v_cmp_eq_u32_e32 vcc_lo, 0, v9
	v_add_nc_u32_e32 v9, 0xffffff91, v9
	v_cndmask_b32_e64 v72, v72, 0x6f, vcc_lo
	v_cndmask_b32_e32 v63, v74, v63, vcc_lo
	v_cndmask_b32_e64 v9, v9, 0xffffff92, vcc_lo
	v_lshl_add_u32 v74, 0x200000, v72, -1
	v_lshrrev_b32_e32 v75, v72, v63
	v_lshlrev_b32_e64 v77, v72, 0x100000
	v_add_nc_u32_e32 v72, v72, v9
	v_and_b32_e32 v63, v74, v63
	v_bfe_u32 v76, v75, 21, 1
	v_cmp_eq_u32_e64 s17, v63, v77
	v_add_nc_u32_e32 v74, -1, v76
	v_cndmask_b32_e64 v63, 0, v74, s17
	v_lshrrev_b32_e32 v74, 23, v75
	s_mov_b32 s17, exec_lo
	v_add_nc_u32_e32 v63, v63, v75
	v_xor_b32_e32 v74, 1, v74
	v_and_b32_e32 v9, 0x1fffff, v63
	v_add_nc_u32_e32 v63, v9, v75
                                        ; implicit-def: $vgpr9
	v_cmpx_ne_u32_e64 v72, v74
	s_xor_b32 s17, exec_lo, s17
; %bb.5662:                             ;   in Loop: Header=BB2_5547 Depth=3
	v_cmp_lt_u32_e32 vcc_lo, 0xffffff, v63
	v_sub_nc_u32_e32 v9, v72, v74
	v_cndmask_b32_e64 v72, 0, 1, vcc_lo
	v_add_co_ci_u32_e64 v9, null, 0, v9, vcc_lo
	v_lshrrev_b32_e32 v63, v72, v63
; %bb.5663:                             ;   in Loop: Header=BB2_5547 Depth=3
	s_andn2_saveexec_b32 s17, s17
; %bb.5664:                             ;   in Loop: Header=BB2_5547 Depth=3
	v_bfe_u32 v9, v63, 23, 1
; %bb.5665:                             ;   in Loop: Header=BB2_5547 Depth=3
	s_or_b32 exec_lo, exec_lo, s17
	v_lshrrev_b32_e32 v63, 21, v63
	v_min_i32_e32 v72, 31, v9
	v_cmp_gt_i32_e32 vcc_lo, 32, v9
	v_and_b32_sdwa v8, v8, v98 dst_sel:DWORD dst_unused:UNUSED_PAD src0_sel:BYTE_3 src1_sel:DWORD
	v_lshlrev_b32_e32 v72, 2, v72
	v_cndmask_b32_e32 v63, 3, v63, vcc_lo
	v_and_b32_e32 v72, 0xfc, v72
	v_and_b32_e32 v74, 3, v63
	v_or_b32_e32 v9, v9, v63
	v_or3_b32 v8, v8, v72, v74
	v_cmp_ne_u32_e32 vcc_lo, 0, v9
	v_lshlrev_b32_e32 v8, 8, v8
	v_cndmask_b32_e32 v91, 0, v8, vcc_lo
.LBB2_5666:                             ;   in Loop: Header=BB2_5547 Depth=3
	s_or_b32 exec_lo, exec_lo, s75
.LBB2_5667:                             ;   in Loop: Header=BB2_5547 Depth=3
	s_or_b32 exec_lo, exec_lo, s74
	v_cmp_gt_i16_sdwa s74, v10, v97 src0_sel:BYTE_0 src1_sel:DWORD
	s_mov_b32 s17, 0
	s_and_saveexec_b32 s75, s74
	s_xor_b32 s74, exec_lo, s75
	s_cbranch_execz .LBB2_6113
; %bb.5668:                             ;   in Loop: Header=BB2_5547 Depth=3
	v_cmp_eq_u16_sdwa s76, v10, v98 src0_sel:BYTE_0 src1_sel:DWORD
	s_mov_b32 s17, -1
	s_and_saveexec_b32 s75, s76
; %bb.5669:                             ;   in Loop: Header=BB2_5547 Depth=3
	s_xor_b32 s17, exec_lo, -1
; %bb.5670:                             ;   in Loop: Header=BB2_5547 Depth=3
	s_or_b32 exec_lo, exec_lo, s75
	s_and_b32 s17, s17, exec_lo
	s_or_saveexec_b32 s74, s74
	v_mov_b32_e32 v8, 0x7f800001
	s_xor_b32 exec_lo, exec_lo, s74
	s_cbranch_execnz .LBB2_6114
.LBB2_5671:                             ;   in Loop: Header=BB2_5547 Depth=3
	s_or_b32 exec_lo, exec_lo, s74
	s_and_saveexec_b32 s74, s17
	s_cbranch_execz .LBB2_5673
.LBB2_5672:                             ;   in Loop: Header=BB2_5547 Depth=3
	v_and_b32_e32 v8, 3, v10
	v_bfe_u32 v72, v10, 2, 5
	v_lshlrev_b32_e32 v74, 24, v10
	v_ffbh_u32_e32 v9, v8
	v_cmp_eq_u32_e32 vcc_lo, 0, v72
	v_min_u32_e32 v9, 32, v9
	v_subrev_nc_u32_e32 v63, 29, v9
	v_sub_nc_u32_e32 v9, 30, v9
	v_lshlrev_b32_e32 v63, v63, v10
	v_cndmask_b32_e32 v9, v72, v9, vcc_lo
	v_and_b32_e32 v63, 3, v63
	v_lshl_add_u32 v9, v9, 23, 0x37800000
	v_cndmask_b32_e32 v8, v8, v63, vcc_lo
	v_and_b32_e32 v63, 0x80000000, v74
	v_lshlrev_b32_e32 v8, 21, v8
	v_or3_b32 v8, v63, v9, v8
.LBB2_5673:                             ;   in Loop: Header=BB2_5547 Depth=3
	s_or_b32 exec_lo, exec_lo, s74
	v_mul_f32_e32 v8, s73, v8
	v_mov_b32_e32 v77, 0x80
	s_mov_b32 s74, exec_lo
	v_and_b32_e32 v9, 0x7f800000, v8
	v_cmpx_ne_u32_e32 0x7f800000, v9
	s_cbranch_execz .LBB2_5681
; %bb.5674:                             ;   in Loop: Header=BB2_5547 Depth=3
	v_mov_b32_e32 v77, 0
	s_mov_b32 s75, exec_lo
	v_cmpx_ne_u32_e32 0, v8
	s_cbranch_execz .LBB2_5680
; %bb.5675:                             ;   in Loop: Header=BB2_5547 Depth=3
	v_bfe_u32 v9, v8, 23, 8
	v_and_b32_e32 v63, 0x7fffff, v8
	v_sub_nc_u32_e32 v72, 0x70, v9
	v_cmp_gt_u32_e32 vcc_lo, 0x71, v9
	v_or_b32_e32 v74, 0x800000, v63
	v_cndmask_b32_e32 v72, 0, v72, vcc_lo
	v_cmp_eq_u32_e32 vcc_lo, 0, v9
	v_add_nc_u32_e32 v9, 0xffffff91, v9
	v_cndmask_b32_e64 v72, v72, 0x6f, vcc_lo
	v_cndmask_b32_e32 v63, v74, v63, vcc_lo
	v_cndmask_b32_e64 v9, v9, 0xffffff92, vcc_lo
	v_lshl_add_u32 v74, 0x200000, v72, -1
	v_lshrrev_b32_e32 v75, v72, v63
	v_lshlrev_b32_e64 v77, v72, 0x100000
	v_add_nc_u32_e32 v72, v72, v9
	v_and_b32_e32 v63, v74, v63
	v_bfe_u32 v76, v75, 21, 1
	v_cmp_eq_u32_e64 s17, v63, v77
	v_add_nc_u32_e32 v74, -1, v76
	v_cndmask_b32_e64 v63, 0, v74, s17
	v_lshrrev_b32_e32 v74, 23, v75
	s_mov_b32 s17, exec_lo
	v_add_nc_u32_e32 v63, v63, v75
	v_xor_b32_e32 v74, 1, v74
	v_and_b32_e32 v9, 0x1fffff, v63
	v_add_nc_u32_e32 v63, v9, v75
                                        ; implicit-def: $vgpr9
	v_cmpx_ne_u32_e64 v72, v74
	s_xor_b32 s17, exec_lo, s17
; %bb.5676:                             ;   in Loop: Header=BB2_5547 Depth=3
	v_cmp_lt_u32_e32 vcc_lo, 0xffffff, v63
	v_sub_nc_u32_e32 v9, v72, v74
	v_cndmask_b32_e64 v72, 0, 1, vcc_lo
	v_add_co_ci_u32_e64 v9, null, 0, v9, vcc_lo
	v_lshrrev_b32_e32 v63, v72, v63
; %bb.5677:                             ;   in Loop: Header=BB2_5547 Depth=3
	s_andn2_saveexec_b32 s17, s17
; %bb.5678:                             ;   in Loop: Header=BB2_5547 Depth=3
	v_bfe_u32 v9, v63, 23, 1
; %bb.5679:                             ;   in Loop: Header=BB2_5547 Depth=3
	s_or_b32 exec_lo, exec_lo, s17
	v_lshrrev_b32_e32 v63, 21, v63
	v_min_i32_e32 v72, 31, v9
	v_cmp_gt_i32_e32 vcc_lo, 32, v9
	v_and_b32_sdwa v8, v8, v98 dst_sel:DWORD dst_unused:UNUSED_PAD src0_sel:BYTE_3 src1_sel:DWORD
	v_lshlrev_b32_e32 v72, 2, v72
	v_cndmask_b32_e32 v63, 3, v63, vcc_lo
	v_and_b32_e32 v72, 0xfc, v72
	v_and_b32_e32 v74, 3, v63
	v_or_b32_e32 v9, v9, v63
	v_or3_b32 v8, v72, v8, v74
	v_cmp_ne_u32_e32 vcc_lo, 0, v9
	v_cndmask_b32_e32 v77, 0, v8, vcc_lo
.LBB2_5680:                             ;   in Loop: Header=BB2_5547 Depth=3
	s_or_b32 exec_lo, exec_lo, s75
.LBB2_5681:                             ;   in Loop: Header=BB2_5547 Depth=3
	s_or_b32 exec_lo, exec_lo, s74
	v_cmp_gt_i16_sdwa s74, v10, v97 src0_sel:BYTE_1 src1_sel:DWORD
	s_mov_b32 s17, 0
	s_and_saveexec_b32 s75, s74
	s_xor_b32 s74, exec_lo, s75
	s_cbranch_execz .LBB2_6115
; %bb.5682:                             ;   in Loop: Header=BB2_5547 Depth=3
	v_cmp_eq_u16_sdwa s76, v10, v98 src0_sel:BYTE_1 src1_sel:DWORD
	s_mov_b32 s17, -1
	s_and_saveexec_b32 s75, s76
; %bb.5683:                             ;   in Loop: Header=BB2_5547 Depth=3
	s_xor_b32 s17, exec_lo, -1
; %bb.5684:                             ;   in Loop: Header=BB2_5547 Depth=3
	s_or_b32 exec_lo, exec_lo, s75
	s_and_b32 s17, s17, exec_lo
	s_or_saveexec_b32 s74, s74
	v_mov_b32_e32 v8, 0x7f800001
	s_xor_b32 exec_lo, exec_lo, s74
	s_cbranch_execnz .LBB2_6116
.LBB2_5685:                             ;   in Loop: Header=BB2_5547 Depth=3
	s_or_b32 exec_lo, exec_lo, s74
	s_and_saveexec_b32 s74, s17
	s_cbranch_execz .LBB2_5687
.LBB2_5686:                             ;   in Loop: Header=BB2_5547 Depth=3
	v_and_b32_sdwa v8, v99, v10 dst_sel:DWORD dst_unused:UNUSED_PAD src0_sel:DWORD src1_sel:BYTE_1
	v_and_b32_e32 v9, 3, v8
	v_bfe_u32 v74, v8, 2, 5
	v_ffbh_u32_e32 v63, v9
	v_cmp_eq_u32_e32 vcc_lo, 0, v74
	v_min_u32_e32 v63, 32, v63
	v_subrev_nc_u32_e32 v72, 29, v63
	v_sub_nc_u32_e32 v63, 30, v63
	v_lshlrev_b32_e32 v8, v72, v8
	v_lshlrev_b32_sdwa v72, v100, v10 dst_sel:DWORD dst_unused:UNUSED_PAD src0_sel:DWORD src1_sel:BYTE_1
	v_cndmask_b32_e32 v63, v74, v63, vcc_lo
	v_and_b32_e32 v8, 3, v8
	v_lshl_add_u32 v63, v63, 23, 0x37800000
	v_cndmask_b32_e32 v8, v9, v8, vcc_lo
	v_and_b32_e32 v9, 0x80000000, v72
	v_lshlrev_b32_e32 v8, 21, v8
	v_or3_b32 v8, v9, v63, v8
.LBB2_5687:                             ;   in Loop: Header=BB2_5547 Depth=3
	s_or_b32 exec_lo, exec_lo, s74
	v_mul_f32_e32 v8, s73, v8
	v_mov_b32_e32 v89, 0x8000
	s_mov_b32 s74, exec_lo
	v_and_b32_e32 v9, 0x7f800000, v8
	v_cmpx_ne_u32_e32 0x7f800000, v9
	s_cbranch_execz .LBB2_5695
; %bb.5688:                             ;   in Loop: Header=BB2_5547 Depth=3
	v_mov_b32_e32 v89, 0
	s_mov_b32 s75, exec_lo
	v_cmpx_ne_u32_e32 0, v8
	s_cbranch_execz .LBB2_5694
; %bb.5689:                             ;   in Loop: Header=BB2_5547 Depth=3
	v_bfe_u32 v9, v8, 23, 8
	v_and_b32_e32 v63, 0x7fffff, v8
	v_sub_nc_u32_e32 v72, 0x70, v9
	v_cmp_gt_u32_e32 vcc_lo, 0x71, v9
	v_or_b32_e32 v74, 0x800000, v63
	v_cndmask_b32_e32 v72, 0, v72, vcc_lo
	v_cmp_eq_u32_e32 vcc_lo, 0, v9
	v_add_nc_u32_e32 v9, 0xffffff91, v9
	v_cndmask_b32_e64 v72, v72, 0x6f, vcc_lo
	v_cndmask_b32_e32 v63, v74, v63, vcc_lo
	v_cndmask_b32_e64 v9, v9, 0xffffff92, vcc_lo
	v_lshl_add_u32 v74, 0x200000, v72, -1
	v_lshrrev_b32_e32 v75, v72, v63
	v_lshlrev_b32_e64 v79, v72, 0x100000
	v_add_nc_u32_e32 v72, v72, v9
	v_and_b32_e32 v63, v74, v63
	v_bfe_u32 v76, v75, 21, 1
	v_cmp_eq_u32_e64 s17, v63, v79
	v_add_nc_u32_e32 v74, -1, v76
	v_cndmask_b32_e64 v63, 0, v74, s17
	v_lshrrev_b32_e32 v74, 23, v75
	s_mov_b32 s17, exec_lo
	v_add_nc_u32_e32 v63, v63, v75
	v_xor_b32_e32 v74, 1, v74
	v_and_b32_e32 v9, 0x1fffff, v63
	v_add_nc_u32_e32 v63, v9, v75
                                        ; implicit-def: $vgpr9
	v_cmpx_ne_u32_e64 v72, v74
	s_xor_b32 s17, exec_lo, s17
; %bb.5690:                             ;   in Loop: Header=BB2_5547 Depth=3
	v_cmp_lt_u32_e32 vcc_lo, 0xffffff, v63
	v_sub_nc_u32_e32 v9, v72, v74
	v_cndmask_b32_e64 v72, 0, 1, vcc_lo
	v_add_co_ci_u32_e64 v9, null, 0, v9, vcc_lo
	v_lshrrev_b32_e32 v63, v72, v63
; %bb.5691:                             ;   in Loop: Header=BB2_5547 Depth=3
	s_andn2_saveexec_b32 s17, s17
; %bb.5692:                             ;   in Loop: Header=BB2_5547 Depth=3
	v_bfe_u32 v9, v63, 23, 1
; %bb.5693:                             ;   in Loop: Header=BB2_5547 Depth=3
	s_or_b32 exec_lo, exec_lo, s17
	v_lshrrev_b32_e32 v63, 21, v63
	v_min_i32_e32 v72, 31, v9
	v_cmp_gt_i32_e32 vcc_lo, 32, v9
	v_and_b32_sdwa v8, v8, v98 dst_sel:DWORD dst_unused:UNUSED_PAD src0_sel:BYTE_3 src1_sel:DWORD
	v_lshlrev_b32_e32 v72, 2, v72
	v_cndmask_b32_e32 v63, 3, v63, vcc_lo
	v_and_b32_e32 v72, 0xfc, v72
	v_and_b32_e32 v74, 3, v63
	v_or_b32_e32 v9, v9, v63
	v_or3_b32 v8, v8, v72, v74
	v_cmp_ne_u32_e32 vcc_lo, 0, v9
	v_lshlrev_b32_e32 v8, 8, v8
	v_cndmask_b32_e32 v89, 0, v8, vcc_lo
.LBB2_5694:                             ;   in Loop: Header=BB2_5547 Depth=3
	s_or_b32 exec_lo, exec_lo, s75
.LBB2_5695:                             ;   in Loop: Header=BB2_5547 Depth=3
	s_or_b32 exec_lo, exec_lo, s74
	v_and_b32_sdwa v9, v10, v101 dst_sel:DWORD dst_unused:UNUSED_PAD src0_sel:WORD_1 src1_sel:DWORD
	s_mov_b32 s17, 0
	s_mov_b32 s74, exec_lo
	v_cmpx_lt_i16_e32 0x7f, v9
	s_xor_b32 s74, exec_lo, s74
	s_cbranch_execz .LBB2_6117
; %bb.5696:                             ;   in Loop: Header=BB2_5547 Depth=3
	s_mov_b32 s17, -1
	s_mov_b32 s75, exec_lo
	v_cmpx_eq_u16_e32 0x80, v9
; %bb.5697:                             ;   in Loop: Header=BB2_5547 Depth=3
	s_xor_b32 s17, exec_lo, -1
; %bb.5698:                             ;   in Loop: Header=BB2_5547 Depth=3
	s_or_b32 exec_lo, exec_lo, s75
	s_and_b32 s17, s17, exec_lo
                                        ; implicit-def: $vgpr9
	s_or_saveexec_b32 s74, s74
	v_mov_b32_e32 v8, 0x7f800001
	s_xor_b32 exec_lo, exec_lo, s74
	s_cbranch_execnz .LBB2_6118
.LBB2_5699:                             ;   in Loop: Header=BB2_5547 Depth=3
	s_or_b32 exec_lo, exec_lo, s74
	s_and_saveexec_b32 s74, s17
	s_cbranch_execz .LBB2_5701
.LBB2_5700:                             ;   in Loop: Header=BB2_5547 Depth=3
	v_bfe_u32 v8, v10, 16, 2
	v_bfe_u32 v72, v10, 18, 5
	v_lshlrev_b32_e32 v74, 8, v10
	v_ffbh_u32_e32 v9, v8
	v_cmp_eq_u32_e32 vcc_lo, 0, v72
	v_min_u32_e32 v9, 32, v9
	v_subrev_nc_u32_e32 v63, 29, v9
	v_sub_nc_u32_e32 v9, 30, v9
	v_lshlrev_b32_sdwa v63, v63, v10 dst_sel:DWORD dst_unused:UNUSED_PAD src0_sel:DWORD src1_sel:WORD_1
	v_cndmask_b32_e32 v9, v72, v9, vcc_lo
	v_and_b32_e32 v63, 3, v63
	v_lshl_add_u32 v9, v9, 23, 0x37800000
	v_cndmask_b32_e32 v8, v8, v63, vcc_lo
	v_and_b32_e32 v63, 0x80000000, v74
	v_lshlrev_b32_e32 v8, 21, v8
	v_or3_b32 v8, v63, v9, v8
.LBB2_5701:                             ;   in Loop: Header=BB2_5547 Depth=3
	s_or_b32 exec_lo, exec_lo, s74
	v_mul_f32_e32 v8, s73, v8
	v_mov_b32_e32 v75, 0x80
	s_mov_b32 s74, exec_lo
	v_and_b32_e32 v9, 0x7f800000, v8
	v_cmpx_ne_u32_e32 0x7f800000, v9
	s_cbranch_execz .LBB2_5709
; %bb.5702:                             ;   in Loop: Header=BB2_5547 Depth=3
	v_mov_b32_e32 v75, 0
	s_mov_b32 s75, exec_lo
	v_cmpx_ne_u32_e32 0, v8
	s_cbranch_execz .LBB2_5708
; %bb.5703:                             ;   in Loop: Header=BB2_5547 Depth=3
	v_bfe_u32 v9, v8, 23, 8
	v_and_b32_e32 v63, 0x7fffff, v8
	v_sub_nc_u32_e32 v72, 0x70, v9
	v_cmp_gt_u32_e32 vcc_lo, 0x71, v9
	v_or_b32_e32 v74, 0x800000, v63
	v_cndmask_b32_e32 v72, 0, v72, vcc_lo
	v_cmp_eq_u32_e32 vcc_lo, 0, v9
	v_add_nc_u32_e32 v9, 0xffffff91, v9
	v_cndmask_b32_e64 v72, v72, 0x6f, vcc_lo
	v_cndmask_b32_e32 v63, v74, v63, vcc_lo
	v_cndmask_b32_e64 v9, v9, 0xffffff92, vcc_lo
	v_lshl_add_u32 v74, 0x200000, v72, -1
	v_lshrrev_b32_e32 v75, v72, v63
	v_lshlrev_b32_e64 v79, v72, 0x100000
	v_add_nc_u32_e32 v72, v72, v9
	v_and_b32_e32 v63, v74, v63
	v_bfe_u32 v76, v75, 21, 1
	v_cmp_eq_u32_e64 s17, v63, v79
	v_add_nc_u32_e32 v74, -1, v76
	v_cndmask_b32_e64 v63, 0, v74, s17
	v_lshrrev_b32_e32 v74, 23, v75
	s_mov_b32 s17, exec_lo
	v_add_nc_u32_e32 v63, v63, v75
	v_xor_b32_e32 v74, 1, v74
	v_and_b32_e32 v9, 0x1fffff, v63
	v_add_nc_u32_e32 v63, v9, v75
                                        ; implicit-def: $vgpr9
	v_cmpx_ne_u32_e64 v72, v74
	s_xor_b32 s17, exec_lo, s17
; %bb.5704:                             ;   in Loop: Header=BB2_5547 Depth=3
	v_cmp_lt_u32_e32 vcc_lo, 0xffffff, v63
	v_sub_nc_u32_e32 v9, v72, v74
	v_cndmask_b32_e64 v72, 0, 1, vcc_lo
	v_add_co_ci_u32_e64 v9, null, 0, v9, vcc_lo
	v_lshrrev_b32_e32 v63, v72, v63
; %bb.5705:                             ;   in Loop: Header=BB2_5547 Depth=3
	s_andn2_saveexec_b32 s17, s17
; %bb.5706:                             ;   in Loop: Header=BB2_5547 Depth=3
	v_bfe_u32 v9, v63, 23, 1
; %bb.5707:                             ;   in Loop: Header=BB2_5547 Depth=3
	s_or_b32 exec_lo, exec_lo, s17
	v_lshrrev_b32_e32 v63, 21, v63
	v_min_i32_e32 v72, 31, v9
	v_cmp_gt_i32_e32 vcc_lo, 32, v9
	v_and_b32_sdwa v8, v8, v98 dst_sel:DWORD dst_unused:UNUSED_PAD src0_sel:BYTE_3 src1_sel:DWORD
	v_lshlrev_b32_e32 v72, 2, v72
	v_cndmask_b32_e32 v63, 3, v63, vcc_lo
	v_and_b32_e32 v72, 0xfc, v72
	v_and_b32_e32 v74, 3, v63
	v_or_b32_e32 v9, v9, v63
	v_or3_b32 v8, v72, v8, v74
	v_cmp_ne_u32_e32 vcc_lo, 0, v9
	v_cndmask_b32_e32 v75, 0, v8, vcc_lo
.LBB2_5708:                             ;   in Loop: Header=BB2_5547 Depth=3
	s_or_b32 exec_lo, exec_lo, s75
.LBB2_5709:                             ;   in Loop: Header=BB2_5547 Depth=3
	s_or_b32 exec_lo, exec_lo, s74
	v_cmp_gt_i16_sdwa s74, v10, v97 src0_sel:BYTE_3 src1_sel:DWORD
	s_mov_b32 s17, 0
	s_and_saveexec_b32 s75, s74
	s_xor_b32 s74, exec_lo, s75
	s_cbranch_execz .LBB2_6119
; %bb.5710:                             ;   in Loop: Header=BB2_5547 Depth=3
	v_cmp_eq_u16_sdwa s76, v10, v98 src0_sel:BYTE_3 src1_sel:DWORD
	s_mov_b32 s17, -1
	s_and_saveexec_b32 s75, s76
; %bb.5711:                             ;   in Loop: Header=BB2_5547 Depth=3
	s_xor_b32 s17, exec_lo, -1
; %bb.5712:                             ;   in Loop: Header=BB2_5547 Depth=3
	s_or_b32 exec_lo, exec_lo, s75
	s_and_b32 s17, s17, exec_lo
	s_or_saveexec_b32 s74, s74
	v_mov_b32_e32 v8, 0x7f800001
	s_xor_b32 exec_lo, exec_lo, s74
	s_cbranch_execnz .LBB2_6120
.LBB2_5713:                             ;   in Loop: Header=BB2_5547 Depth=3
	s_or_b32 exec_lo, exec_lo, s74
	s_and_saveexec_b32 s74, s17
	s_cbranch_execz .LBB2_5715
.LBB2_5714:                             ;   in Loop: Header=BB2_5547 Depth=3
	v_bfe_u32 v8, v10, 24, 2
	v_bfe_u32 v72, v10, 26, 5
	v_ffbh_u32_e32 v9, v8
	v_cmp_eq_u32_e32 vcc_lo, 0, v72
	v_min_u32_e32 v9, 32, v9
	v_subrev_nc_u32_e32 v63, 29, v9
	v_sub_nc_u32_e32 v9, 30, v9
	v_lshlrev_b32_sdwa v63, v63, v10 dst_sel:DWORD dst_unused:UNUSED_PAD src0_sel:DWORD src1_sel:BYTE_3
	v_cndmask_b32_e32 v9, v72, v9, vcc_lo
	v_and_b32_e32 v10, 0x80000000, v10
	v_and_b32_e32 v63, 3, v63
	v_lshl_add_u32 v9, v9, 23, 0x37800000
	v_cndmask_b32_e32 v8, v8, v63, vcc_lo
	v_lshlrev_b32_e32 v8, 21, v8
	v_or3_b32 v8, v10, v9, v8
.LBB2_5715:                             ;   in Loop: Header=BB2_5547 Depth=3
	s_or_b32 exec_lo, exec_lo, s74
	v_mul_f32_e32 v8, s73, v8
	v_mov_b32_e32 v79, 0x8000
	s_mov_b32 s74, exec_lo
	v_and_b32_e32 v9, 0x7f800000, v8
	v_cmpx_ne_u32_e32 0x7f800000, v9
	s_cbranch_execz .LBB2_5723
; %bb.5716:                             ;   in Loop: Header=BB2_5547 Depth=3
	v_mov_b32_e32 v79, 0
	s_mov_b32 s75, exec_lo
	v_cmpx_ne_u32_e32 0, v8
	s_cbranch_execz .LBB2_5722
; %bb.5717:                             ;   in Loop: Header=BB2_5547 Depth=3
	v_bfe_u32 v9, v8, 23, 8
	v_and_b32_e32 v10, 0x7fffff, v8
	v_sub_nc_u32_e32 v63, 0x70, v9
	v_cmp_gt_u32_e32 vcc_lo, 0x71, v9
	v_or_b32_e32 v72, 0x800000, v10
	v_cndmask_b32_e32 v63, 0, v63, vcc_lo
	v_cmp_eq_u32_e32 vcc_lo, 0, v9
	v_add_nc_u32_e32 v9, 0xffffff91, v9
	v_cndmask_b32_e64 v63, v63, 0x6f, vcc_lo
	v_cndmask_b32_e32 v10, v72, v10, vcc_lo
	v_cndmask_b32_e64 v9, v9, 0xffffff92, vcc_lo
	v_lshl_add_u32 v72, 0x200000, v63, -1
	v_lshrrev_b32_e32 v74, v63, v10
	v_lshlrev_b32_e64 v79, v63, 0x100000
	v_add_nc_u32_e32 v63, v63, v9
	v_and_b32_e32 v10, v72, v10
	v_bfe_u32 v76, v74, 21, 1
	v_cmp_eq_u32_e64 s17, v10, v79
	v_add_nc_u32_e32 v72, -1, v76
	v_cndmask_b32_e64 v10, 0, v72, s17
	v_lshrrev_b32_e32 v72, 23, v74
	s_mov_b32 s17, exec_lo
	v_add_nc_u32_e32 v10, v10, v74
	v_xor_b32_e32 v72, 1, v72
	v_and_b32_e32 v9, 0x1fffff, v10
	v_add_nc_u32_e32 v10, v9, v74
                                        ; implicit-def: $vgpr9
	v_cmpx_ne_u32_e64 v63, v72
	s_xor_b32 s17, exec_lo, s17
; %bb.5718:                             ;   in Loop: Header=BB2_5547 Depth=3
	v_cmp_lt_u32_e32 vcc_lo, 0xffffff, v10
	v_sub_nc_u32_e32 v9, v63, v72
	v_cndmask_b32_e64 v63, 0, 1, vcc_lo
	v_add_co_ci_u32_e64 v9, null, 0, v9, vcc_lo
	v_lshrrev_b32_e32 v10, v63, v10
; %bb.5719:                             ;   in Loop: Header=BB2_5547 Depth=3
	s_andn2_saveexec_b32 s17, s17
; %bb.5720:                             ;   in Loop: Header=BB2_5547 Depth=3
	v_bfe_u32 v9, v10, 23, 1
; %bb.5721:                             ;   in Loop: Header=BB2_5547 Depth=3
	s_or_b32 exec_lo, exec_lo, s17
	v_lshrrev_b32_e32 v10, 21, v10
	v_min_i32_e32 v63, 31, v9
	v_cmp_gt_i32_e32 vcc_lo, 32, v9
	v_and_b32_sdwa v8, v8, v98 dst_sel:DWORD dst_unused:UNUSED_PAD src0_sel:BYTE_3 src1_sel:DWORD
	v_lshlrev_b32_e32 v63, 2, v63
	v_cndmask_b32_e32 v10, 3, v10, vcc_lo
	v_and_b32_e32 v63, 0xfc, v63
	v_and_b32_e32 v72, 3, v10
	v_or_b32_e32 v9, v9, v10
	v_or3_b32 v8, v8, v63, v72
	v_cmp_ne_u32_e32 vcc_lo, 0, v9
	v_lshlrev_b32_e32 v8, 8, v8
	v_cndmask_b32_e32 v79, 0, v8, vcc_lo
.LBB2_5722:                             ;   in Loop: Header=BB2_5547 Depth=3
	s_or_b32 exec_lo, exec_lo, s75
.LBB2_5723:                             ;   in Loop: Header=BB2_5547 Depth=3
	s_or_b32 exec_lo, exec_lo, s74
	v_cmp_gt_i16_sdwa s74, v11, v97 src0_sel:BYTE_0 src1_sel:DWORD
	s_mov_b32 s17, 0
	s_and_saveexec_b32 s75, s74
	s_xor_b32 s74, exec_lo, s75
	s_cbranch_execz .LBB2_6121
; %bb.5724:                             ;   in Loop: Header=BB2_5547 Depth=3
	v_cmp_eq_u16_sdwa s76, v11, v98 src0_sel:BYTE_0 src1_sel:DWORD
	s_mov_b32 s17, -1
	s_and_saveexec_b32 s75, s76
; %bb.5725:                             ;   in Loop: Header=BB2_5547 Depth=3
	s_xor_b32 s17, exec_lo, -1
; %bb.5726:                             ;   in Loop: Header=BB2_5547 Depth=3
	s_or_b32 exec_lo, exec_lo, s75
	s_and_b32 s17, s17, exec_lo
	s_or_saveexec_b32 s74, s74
	v_mov_b32_e32 v8, 0x7f800001
	s_xor_b32 exec_lo, exec_lo, s74
	s_cbranch_execnz .LBB2_6122
.LBB2_5727:                             ;   in Loop: Header=BB2_5547 Depth=3
	s_or_b32 exec_lo, exec_lo, s74
	s_and_saveexec_b32 s74, s17
	s_cbranch_execz .LBB2_5729
.LBB2_5728:                             ;   in Loop: Header=BB2_5547 Depth=3
	v_and_b32_e32 v8, 3, v11
	v_bfe_u32 v63, v11, 2, 5
	v_lshlrev_b32_e32 v72, 24, v11
	v_ffbh_u32_e32 v9, v8
	v_cmp_eq_u32_e32 vcc_lo, 0, v63
	v_min_u32_e32 v9, 32, v9
	v_subrev_nc_u32_e32 v10, 29, v9
	v_sub_nc_u32_e32 v9, 30, v9
	v_lshlrev_b32_e32 v10, v10, v11
	v_cndmask_b32_e32 v9, v63, v9, vcc_lo
	v_and_b32_e32 v10, 3, v10
	v_lshl_add_u32 v9, v9, 23, 0x37800000
	v_cndmask_b32_e32 v8, v8, v10, vcc_lo
	v_and_b32_e32 v10, 0x80000000, v72
	v_lshlrev_b32_e32 v8, 21, v8
	v_or3_b32 v8, v10, v9, v8
.LBB2_5729:                             ;   in Loop: Header=BB2_5547 Depth=3
	s_or_b32 exec_lo, exec_lo, s74
	v_mul_f32_e32 v8, s73, v8
	v_mov_b32_e32 v72, 0x80
	s_mov_b32 s74, exec_lo
	v_and_b32_e32 v9, 0x7f800000, v8
	v_cmpx_ne_u32_e32 0x7f800000, v9
	s_cbranch_execz .LBB2_5737
; %bb.5730:                             ;   in Loop: Header=BB2_5547 Depth=3
	v_mov_b32_e32 v72, 0
	s_mov_b32 s75, exec_lo
	v_cmpx_ne_u32_e32 0, v8
	s_cbranch_execz .LBB2_5736
; %bb.5731:                             ;   in Loop: Header=BB2_5547 Depth=3
	v_bfe_u32 v9, v8, 23, 8
	v_and_b32_e32 v10, 0x7fffff, v8
	v_sub_nc_u32_e32 v63, 0x70, v9
	v_cmp_gt_u32_e32 vcc_lo, 0x71, v9
	v_or_b32_e32 v72, 0x800000, v10
	v_cndmask_b32_e32 v63, 0, v63, vcc_lo
	v_cmp_eq_u32_e32 vcc_lo, 0, v9
	v_add_nc_u32_e32 v9, 0xffffff91, v9
	v_cndmask_b32_e64 v63, v63, 0x6f, vcc_lo
	v_cndmask_b32_e32 v10, v72, v10, vcc_lo
	v_cndmask_b32_e64 v9, v9, 0xffffff92, vcc_lo
	v_lshl_add_u32 v72, 0x200000, v63, -1
	v_lshrrev_b32_e32 v74, v63, v10
	v_lshlrev_b32_e64 v94, v63, 0x100000
	v_add_nc_u32_e32 v63, v63, v9
	v_and_b32_e32 v10, v72, v10
	v_bfe_u32 v76, v74, 21, 1
	v_cmp_eq_u32_e64 s17, v10, v94
	v_add_nc_u32_e32 v72, -1, v76
	v_cndmask_b32_e64 v10, 0, v72, s17
	v_lshrrev_b32_e32 v72, 23, v74
	s_mov_b32 s17, exec_lo
	v_add_nc_u32_e32 v10, v10, v74
	v_xor_b32_e32 v72, 1, v72
	v_and_b32_e32 v9, 0x1fffff, v10
	v_add_nc_u32_e32 v10, v9, v74
                                        ; implicit-def: $vgpr9
	v_cmpx_ne_u32_e64 v63, v72
	s_xor_b32 s17, exec_lo, s17
; %bb.5732:                             ;   in Loop: Header=BB2_5547 Depth=3
	v_cmp_lt_u32_e32 vcc_lo, 0xffffff, v10
	v_sub_nc_u32_e32 v9, v63, v72
	v_cndmask_b32_e64 v63, 0, 1, vcc_lo
	v_add_co_ci_u32_e64 v9, null, 0, v9, vcc_lo
	v_lshrrev_b32_e32 v10, v63, v10
; %bb.5733:                             ;   in Loop: Header=BB2_5547 Depth=3
	s_andn2_saveexec_b32 s17, s17
; %bb.5734:                             ;   in Loop: Header=BB2_5547 Depth=3
	v_bfe_u32 v9, v10, 23, 1
; %bb.5735:                             ;   in Loop: Header=BB2_5547 Depth=3
	s_or_b32 exec_lo, exec_lo, s17
	v_lshrrev_b32_e32 v10, 21, v10
	v_min_i32_e32 v63, 31, v9
	v_cmp_gt_i32_e32 vcc_lo, 32, v9
	v_and_b32_sdwa v8, v8, v98 dst_sel:DWORD dst_unused:UNUSED_PAD src0_sel:BYTE_3 src1_sel:DWORD
	v_lshlrev_b32_e32 v63, 2, v63
	v_cndmask_b32_e32 v10, 3, v10, vcc_lo
	v_and_b32_e32 v63, 0xfc, v63
	v_and_b32_e32 v72, 3, v10
	v_or_b32_e32 v9, v9, v10
	v_or3_b32 v8, v63, v8, v72
	v_cmp_ne_u32_e32 vcc_lo, 0, v9
	v_cndmask_b32_e32 v72, 0, v8, vcc_lo
.LBB2_5736:                             ;   in Loop: Header=BB2_5547 Depth=3
	s_or_b32 exec_lo, exec_lo, s75
.LBB2_5737:                             ;   in Loop: Header=BB2_5547 Depth=3
	s_or_b32 exec_lo, exec_lo, s74
	v_cmp_gt_i16_sdwa s74, v11, v97 src0_sel:BYTE_1 src1_sel:DWORD
	s_mov_b32 s17, 0
	s_and_saveexec_b32 s75, s74
	s_xor_b32 s74, exec_lo, s75
	s_cbranch_execz .LBB2_6123
; %bb.5738:                             ;   in Loop: Header=BB2_5547 Depth=3
	v_cmp_eq_u16_sdwa s76, v11, v98 src0_sel:BYTE_1 src1_sel:DWORD
	s_mov_b32 s17, -1
	s_and_saveexec_b32 s75, s76
; %bb.5739:                             ;   in Loop: Header=BB2_5547 Depth=3
	s_xor_b32 s17, exec_lo, -1
; %bb.5740:                             ;   in Loop: Header=BB2_5547 Depth=3
	s_or_b32 exec_lo, exec_lo, s75
	s_and_b32 s17, s17, exec_lo
	s_or_saveexec_b32 s74, s74
	v_mov_b32_e32 v8, 0x7f800001
	s_xor_b32 exec_lo, exec_lo, s74
	s_cbranch_execnz .LBB2_6124
.LBB2_5741:                             ;   in Loop: Header=BB2_5547 Depth=3
	s_or_b32 exec_lo, exec_lo, s74
	s_and_saveexec_b32 s74, s17
	s_cbranch_execz .LBB2_5743
.LBB2_5742:                             ;   in Loop: Header=BB2_5547 Depth=3
	v_and_b32_sdwa v8, v99, v11 dst_sel:DWORD dst_unused:UNUSED_PAD src0_sel:DWORD src1_sel:BYTE_1
	v_and_b32_e32 v9, 3, v8
	v_bfe_u32 v74, v8, 2, 5
	v_ffbh_u32_e32 v10, v9
	v_cmp_eq_u32_e32 vcc_lo, 0, v74
	v_min_u32_e32 v10, 32, v10
	v_subrev_nc_u32_e32 v63, 29, v10
	v_sub_nc_u32_e32 v10, 30, v10
	v_lshlrev_b32_e32 v8, v63, v8
	v_lshlrev_b32_sdwa v63, v100, v11 dst_sel:DWORD dst_unused:UNUSED_PAD src0_sel:DWORD src1_sel:BYTE_1
	v_cndmask_b32_e32 v10, v74, v10, vcc_lo
	v_and_b32_e32 v8, 3, v8
	v_lshl_add_u32 v10, v10, 23, 0x37800000
	v_cndmask_b32_e32 v8, v9, v8, vcc_lo
	v_and_b32_e32 v9, 0x80000000, v63
	v_lshlrev_b32_e32 v8, 21, v8
	v_or3_b32 v8, v9, v10, v8
.LBB2_5743:                             ;   in Loop: Header=BB2_5547 Depth=3
	s_or_b32 exec_lo, exec_lo, s74
	v_mul_f32_e32 v8, s73, v8
	v_mov_b32_e32 v76, 0x8000
	s_mov_b32 s74, exec_lo
	v_and_b32_e32 v9, 0x7f800000, v8
	v_cmpx_ne_u32_e32 0x7f800000, v9
	s_cbranch_execz .LBB2_5751
; %bb.5744:                             ;   in Loop: Header=BB2_5547 Depth=3
	v_mov_b32_e32 v76, 0
	s_mov_b32 s75, exec_lo
	v_cmpx_ne_u32_e32 0, v8
	s_cbranch_execz .LBB2_5750
; %bb.5745:                             ;   in Loop: Header=BB2_5547 Depth=3
	v_bfe_u32 v9, v8, 23, 8
	v_and_b32_e32 v10, 0x7fffff, v8
	v_sub_nc_u32_e32 v63, 0x70, v9
	v_cmp_gt_u32_e32 vcc_lo, 0x71, v9
	v_or_b32_e32 v74, 0x800000, v10
	v_cndmask_b32_e32 v63, 0, v63, vcc_lo
	v_cmp_eq_u32_e32 vcc_lo, 0, v9
	v_add_nc_u32_e32 v9, 0xffffff91, v9
	v_cndmask_b32_e64 v63, v63, 0x6f, vcc_lo
	v_cndmask_b32_e32 v10, v74, v10, vcc_lo
	v_cndmask_b32_e64 v9, v9, 0xffffff92, vcc_lo
	v_lshl_add_u32 v74, 0x200000, v63, -1
	v_lshrrev_b32_e32 v76, v63, v10
	v_lshlrev_b32_e64 v95, v63, 0x100000
	v_add_nc_u32_e32 v63, v63, v9
	v_and_b32_e32 v10, v74, v10
	v_bfe_u32 v94, v76, 21, 1
	v_cmp_eq_u32_e64 s17, v10, v95
	v_add_nc_u32_e32 v74, -1, v94
	v_cndmask_b32_e64 v10, 0, v74, s17
	v_lshrrev_b32_e32 v74, 23, v76
	s_mov_b32 s17, exec_lo
	v_add_nc_u32_e32 v10, v10, v76
	v_xor_b32_e32 v74, 1, v74
	v_and_b32_e32 v9, 0x1fffff, v10
	v_add_nc_u32_e32 v10, v9, v76
                                        ; implicit-def: $vgpr9
	v_cmpx_ne_u32_e64 v63, v74
	s_xor_b32 s17, exec_lo, s17
; %bb.5746:                             ;   in Loop: Header=BB2_5547 Depth=3
	v_cmp_lt_u32_e32 vcc_lo, 0xffffff, v10
	v_sub_nc_u32_e32 v9, v63, v74
	v_cndmask_b32_e64 v63, 0, 1, vcc_lo
	v_add_co_ci_u32_e64 v9, null, 0, v9, vcc_lo
	v_lshrrev_b32_e32 v10, v63, v10
; %bb.5747:                             ;   in Loop: Header=BB2_5547 Depth=3
	s_andn2_saveexec_b32 s17, s17
; %bb.5748:                             ;   in Loop: Header=BB2_5547 Depth=3
	v_bfe_u32 v9, v10, 23, 1
; %bb.5749:                             ;   in Loop: Header=BB2_5547 Depth=3
	s_or_b32 exec_lo, exec_lo, s17
	v_lshrrev_b32_e32 v10, 21, v10
	v_min_i32_e32 v63, 31, v9
	v_cmp_gt_i32_e32 vcc_lo, 32, v9
	v_and_b32_sdwa v8, v8, v98 dst_sel:DWORD dst_unused:UNUSED_PAD src0_sel:BYTE_3 src1_sel:DWORD
	v_lshlrev_b32_e32 v63, 2, v63
	v_cndmask_b32_e32 v10, 3, v10, vcc_lo
	v_and_b32_e32 v63, 0xfc, v63
	v_and_b32_e32 v74, 3, v10
	v_or_b32_e32 v9, v9, v10
	v_or3_b32 v8, v8, v63, v74
	v_cmp_ne_u32_e32 vcc_lo, 0, v9
	v_lshlrev_b32_e32 v8, 8, v8
	v_cndmask_b32_e32 v76, 0, v8, vcc_lo
.LBB2_5750:                             ;   in Loop: Header=BB2_5547 Depth=3
	s_or_b32 exec_lo, exec_lo, s75
.LBB2_5751:                             ;   in Loop: Header=BB2_5547 Depth=3
	s_or_b32 exec_lo, exec_lo, s74
	v_and_b32_sdwa v9, v11, v101 dst_sel:DWORD dst_unused:UNUSED_PAD src0_sel:WORD_1 src1_sel:DWORD
	s_mov_b32 s17, 0
	s_mov_b32 s74, exec_lo
	v_cmpx_lt_i16_e32 0x7f, v9
	s_xor_b32 s74, exec_lo, s74
	s_cbranch_execz .LBB2_6125
; %bb.5752:                             ;   in Loop: Header=BB2_5547 Depth=3
	s_mov_b32 s17, -1
	s_mov_b32 s75, exec_lo
	v_cmpx_eq_u16_e32 0x80, v9
; %bb.5753:                             ;   in Loop: Header=BB2_5547 Depth=3
	s_xor_b32 s17, exec_lo, -1
; %bb.5754:                             ;   in Loop: Header=BB2_5547 Depth=3
	s_or_b32 exec_lo, exec_lo, s75
	s_and_b32 s17, s17, exec_lo
                                        ; implicit-def: $vgpr9
	s_or_saveexec_b32 s74, s74
	v_mov_b32_e32 v8, 0x7f800001
	s_xor_b32 exec_lo, exec_lo, s74
	s_cbranch_execnz .LBB2_6126
.LBB2_5755:                             ;   in Loop: Header=BB2_5547 Depth=3
	s_or_b32 exec_lo, exec_lo, s74
	s_and_saveexec_b32 s74, s17
	s_cbranch_execz .LBB2_5757
.LBB2_5756:                             ;   in Loop: Header=BB2_5547 Depth=3
	v_bfe_u32 v8, v11, 16, 2
	v_bfe_u32 v63, v11, 18, 5
	v_lshlrev_b32_e32 v74, 8, v11
	v_ffbh_u32_e32 v9, v8
	v_cmp_eq_u32_e32 vcc_lo, 0, v63
	v_min_u32_e32 v9, 32, v9
	v_subrev_nc_u32_e32 v10, 29, v9
	v_sub_nc_u32_e32 v9, 30, v9
	v_lshlrev_b32_sdwa v10, v10, v11 dst_sel:DWORD dst_unused:UNUSED_PAD src0_sel:DWORD src1_sel:WORD_1
	v_cndmask_b32_e32 v9, v63, v9, vcc_lo
	v_and_b32_e32 v10, 3, v10
	v_lshl_add_u32 v9, v9, 23, 0x37800000
	v_cndmask_b32_e32 v8, v8, v10, vcc_lo
	v_and_b32_e32 v10, 0x80000000, v74
	v_lshlrev_b32_e32 v8, 21, v8
	v_or3_b32 v8, v10, v9, v8
.LBB2_5757:                             ;   in Loop: Header=BB2_5547 Depth=3
	s_or_b32 exec_lo, exec_lo, s74
	v_mul_f32_e32 v8, s73, v8
	v_mov_b32_e32 v63, 0x80
	s_mov_b32 s74, exec_lo
	v_and_b32_e32 v9, 0x7f800000, v8
	v_cmpx_ne_u32_e32 0x7f800000, v9
	s_cbranch_execz .LBB2_5765
; %bb.5758:                             ;   in Loop: Header=BB2_5547 Depth=3
	v_mov_b32_e32 v63, 0
	s_mov_b32 s75, exec_lo
	v_cmpx_ne_u32_e32 0, v8
	s_cbranch_execz .LBB2_5764
; %bb.5759:                             ;   in Loop: Header=BB2_5547 Depth=3
	v_bfe_u32 v9, v8, 23, 8
	v_and_b32_e32 v10, 0x7fffff, v8
	v_sub_nc_u32_e32 v63, 0x70, v9
	v_cmp_gt_u32_e32 vcc_lo, 0x71, v9
	v_or_b32_e32 v74, 0x800000, v10
	v_cndmask_b32_e32 v63, 0, v63, vcc_lo
	v_cmp_eq_u32_e32 vcc_lo, 0, v9
	v_add_nc_u32_e32 v9, 0xffffff91, v9
	v_cndmask_b32_e64 v63, v63, 0x6f, vcc_lo
	v_cndmask_b32_e32 v10, v74, v10, vcc_lo
	v_cndmask_b32_e64 v9, v9, 0xffffff92, vcc_lo
	v_lshl_add_u32 v74, 0x200000, v63, -1
	v_lshrrev_b32_e32 v94, v63, v10
	v_lshlrev_b32_e64 v104, v63, 0x100000
	v_add_nc_u32_e32 v63, v63, v9
	v_and_b32_e32 v10, v74, v10
	v_bfe_u32 v95, v94, 21, 1
	v_cmp_eq_u32_e64 s17, v10, v104
	v_add_nc_u32_e32 v74, -1, v95
	v_cndmask_b32_e64 v10, 0, v74, s17
	v_lshrrev_b32_e32 v74, 23, v94
	s_mov_b32 s17, exec_lo
	v_add_nc_u32_e32 v10, v10, v94
	v_xor_b32_e32 v74, 1, v74
	v_and_b32_e32 v9, 0x1fffff, v10
	v_add_nc_u32_e32 v10, v9, v94
                                        ; implicit-def: $vgpr9
	v_cmpx_ne_u32_e64 v63, v74
	s_xor_b32 s17, exec_lo, s17
; %bb.5760:                             ;   in Loop: Header=BB2_5547 Depth=3
	v_cmp_lt_u32_e32 vcc_lo, 0xffffff, v10
	v_sub_nc_u32_e32 v9, v63, v74
	v_cndmask_b32_e64 v63, 0, 1, vcc_lo
	v_add_co_ci_u32_e64 v9, null, 0, v9, vcc_lo
	v_lshrrev_b32_e32 v10, v63, v10
; %bb.5761:                             ;   in Loop: Header=BB2_5547 Depth=3
	s_andn2_saveexec_b32 s17, s17
; %bb.5762:                             ;   in Loop: Header=BB2_5547 Depth=3
	v_bfe_u32 v9, v10, 23, 1
; %bb.5763:                             ;   in Loop: Header=BB2_5547 Depth=3
	s_or_b32 exec_lo, exec_lo, s17
	v_lshrrev_b32_e32 v10, 21, v10
	v_min_i32_e32 v63, 31, v9
	v_cmp_gt_i32_e32 vcc_lo, 32, v9
	v_and_b32_sdwa v8, v8, v98 dst_sel:DWORD dst_unused:UNUSED_PAD src0_sel:BYTE_3 src1_sel:DWORD
	v_lshlrev_b32_e32 v63, 2, v63
	v_cndmask_b32_e32 v10, 3, v10, vcc_lo
	v_and_b32_e32 v63, 0xfc, v63
	v_and_b32_e32 v74, 3, v10
	v_or_b32_e32 v9, v9, v10
	v_or3_b32 v8, v63, v8, v74
	v_cmp_ne_u32_e32 vcc_lo, 0, v9
	v_cndmask_b32_e32 v63, 0, v8, vcc_lo
.LBB2_5764:                             ;   in Loop: Header=BB2_5547 Depth=3
	s_or_b32 exec_lo, exec_lo, s75
.LBB2_5765:                             ;   in Loop: Header=BB2_5547 Depth=3
	s_or_b32 exec_lo, exec_lo, s74
	v_cmp_gt_i16_sdwa s74, v11, v97 src0_sel:BYTE_3 src1_sel:DWORD
	s_mov_b32 s17, 0
	s_and_saveexec_b32 s75, s74
	s_xor_b32 s74, exec_lo, s75
	s_cbranch_execz .LBB2_6127
; %bb.5766:                             ;   in Loop: Header=BB2_5547 Depth=3
	v_cmp_eq_u16_sdwa s76, v11, v98 src0_sel:BYTE_3 src1_sel:DWORD
	s_mov_b32 s17, -1
	s_and_saveexec_b32 s75, s76
; %bb.5767:                             ;   in Loop: Header=BB2_5547 Depth=3
	s_xor_b32 s17, exec_lo, -1
; %bb.5768:                             ;   in Loop: Header=BB2_5547 Depth=3
	s_or_b32 exec_lo, exec_lo, s75
	s_and_b32 s17, s17, exec_lo
	s_or_saveexec_b32 s74, s74
	v_mov_b32_e32 v8, 0x7f800001
	s_xor_b32 exec_lo, exec_lo, s74
	s_cbranch_execnz .LBB2_6128
.LBB2_5769:                             ;   in Loop: Header=BB2_5547 Depth=3
	s_or_b32 exec_lo, exec_lo, s74
	s_and_saveexec_b32 s74, s17
	s_cbranch_execz .LBB2_5771
.LBB2_5770:                             ;   in Loop: Header=BB2_5547 Depth=3
	v_bfe_u32 v8, v11, 24, 2
	v_bfe_u32 v74, v11, 26, 5
	v_ffbh_u32_e32 v9, v8
	v_cmp_eq_u32_e32 vcc_lo, 0, v74
	v_min_u32_e32 v9, 32, v9
	v_subrev_nc_u32_e32 v10, 29, v9
	v_sub_nc_u32_e32 v9, 30, v9
	v_lshlrev_b32_sdwa v10, v10, v11 dst_sel:DWORD dst_unused:UNUSED_PAD src0_sel:DWORD src1_sel:BYTE_3
	v_cndmask_b32_e32 v9, v74, v9, vcc_lo
	v_and_b32_e32 v10, 3, v10
	v_lshl_add_u32 v9, v9, 23, 0x37800000
	v_cndmask_b32_e32 v8, v8, v10, vcc_lo
	v_and_b32_e32 v10, 0x80000000, v11
	v_lshlrev_b32_e32 v8, 21, v8
	v_or3_b32 v8, v10, v9, v8
.LBB2_5771:                             ;   in Loop: Header=BB2_5547 Depth=3
	s_or_b32 exec_lo, exec_lo, s74
	v_mul_f32_e32 v8, s73, v8
	v_mov_b32_e32 v74, 0x8000
	s_mov_b32 s73, exec_lo
	v_and_b32_e32 v9, 0x7f800000, v8
	v_cmpx_ne_u32_e32 0x7f800000, v9
	s_cbranch_execz .LBB2_5779
; %bb.5772:                             ;   in Loop: Header=BB2_5547 Depth=3
	v_mov_b32_e32 v74, 0
	s_mov_b32 s74, exec_lo
	v_cmpx_ne_u32_e32 0, v8
	s_cbranch_execz .LBB2_5778
; %bb.5773:                             ;   in Loop: Header=BB2_5547 Depth=3
	v_bfe_u32 v9, v8, 23, 8
	v_and_b32_e32 v10, 0x7fffff, v8
	v_sub_nc_u32_e32 v11, 0x70, v9
	v_cmp_gt_u32_e32 vcc_lo, 0x71, v9
	v_or_b32_e32 v74, 0x800000, v10
	v_cndmask_b32_e32 v11, 0, v11, vcc_lo
	v_cmp_eq_u32_e32 vcc_lo, 0, v9
	v_add_nc_u32_e32 v9, 0xffffff91, v9
	v_cndmask_b32_e64 v11, v11, 0x6f, vcc_lo
	v_cndmask_b32_e32 v10, v74, v10, vcc_lo
	v_cndmask_b32_e64 v9, v9, 0xffffff92, vcc_lo
	v_lshl_add_u32 v74, 0x200000, v11, -1
	v_lshrrev_b32_e32 v94, v11, v10
	v_lshlrev_b32_e64 v104, v11, 0x100000
	v_add_nc_u32_e32 v11, v11, v9
	v_and_b32_e32 v10, v74, v10
	v_bfe_u32 v95, v94, 21, 1
	v_cmp_eq_u32_e64 s17, v10, v104
	v_add_nc_u32_e32 v74, -1, v95
	v_cndmask_b32_e64 v10, 0, v74, s17
	v_lshrrev_b32_e32 v74, 23, v94
	s_mov_b32 s17, exec_lo
	v_add_nc_u32_e32 v10, v10, v94
	v_xor_b32_e32 v74, 1, v74
	v_and_b32_e32 v9, 0x1fffff, v10
	v_add_nc_u32_e32 v10, v9, v94
                                        ; implicit-def: $vgpr9
	v_cmpx_ne_u32_e64 v11, v74
	s_xor_b32 s17, exec_lo, s17
; %bb.5774:                             ;   in Loop: Header=BB2_5547 Depth=3
	v_cmp_lt_u32_e32 vcc_lo, 0xffffff, v10
	v_sub_nc_u32_e32 v9, v11, v74
	v_cndmask_b32_e64 v11, 0, 1, vcc_lo
	v_add_co_ci_u32_e64 v9, null, 0, v9, vcc_lo
	v_lshrrev_b32_e32 v10, v11, v10
; %bb.5775:                             ;   in Loop: Header=BB2_5547 Depth=3
	s_andn2_saveexec_b32 s17, s17
; %bb.5776:                             ;   in Loop: Header=BB2_5547 Depth=3
	v_bfe_u32 v9, v10, 23, 1
; %bb.5777:                             ;   in Loop: Header=BB2_5547 Depth=3
	s_or_b32 exec_lo, exec_lo, s17
	v_lshrrev_b32_e32 v10, 21, v10
	v_min_i32_e32 v11, 31, v9
	v_cmp_gt_i32_e32 vcc_lo, 32, v9
	v_and_b32_sdwa v8, v8, v98 dst_sel:DWORD dst_unused:UNUSED_PAD src0_sel:BYTE_3 src1_sel:DWORD
	v_lshlrev_b32_e32 v11, 2, v11
	v_cndmask_b32_e32 v10, 3, v10, vcc_lo
	v_and_b32_e32 v11, 0xfc, v11
	v_and_b32_e32 v74, 3, v10
	v_or_b32_e32 v9, v9, v10
	v_or3_b32 v8, v8, v11, v74
	v_cmp_ne_u32_e32 vcc_lo, 0, v9
	v_lshlrev_b32_e32 v8, 8, v8
	v_cndmask_b32_e32 v74, 0, v8, vcc_lo
.LBB2_5778:                             ;   in Loop: Header=BB2_5547 Depth=3
	s_or_b32 exec_lo, exec_lo, s74
.LBB2_5779:                             ;   in Loop: Header=BB2_5547 Depth=3
	s_or_b32 exec_lo, exec_lo, s73
	global_load_dwordx4 v[8:11], v[68:69], off slc
	v_or_b32_e32 v94, v73, v62
	s_mov_b32 s17, 0
	v_cmp_gt_i16_sdwa s73, v94, v97 src0_sel:BYTE_0 src1_sel:DWORD
	s_and_saveexec_b32 s74, s73
	s_xor_b32 s73, exec_lo, s74
	s_cbranch_execz .LBB2_6129
; %bb.5780:                             ;   in Loop: Header=BB2_5547 Depth=3
	v_cmp_eq_u16_sdwa s75, v94, v98 src0_sel:BYTE_0 src1_sel:DWORD
	s_mov_b32 s17, -1
	s_and_saveexec_b32 s74, s75
; %bb.5781:                             ;   in Loop: Header=BB2_5547 Depth=3
	s_xor_b32 s17, exec_lo, -1
; %bb.5782:                             ;   in Loop: Header=BB2_5547 Depth=3
	s_or_b32 exec_lo, exec_lo, s74
	s_and_b32 s17, s17, exec_lo
	s_or_saveexec_b32 s73, s73
	v_mov_b32_e32 v62, 0x7f800001
	s_xor_b32 exec_lo, exec_lo, s73
	s_cbranch_execnz .LBB2_6130
.LBB2_5783:                             ;   in Loop: Header=BB2_5547 Depth=3
	s_or_b32 exec_lo, exec_lo, s73
	s_and_saveexec_b32 s73, s17
	s_cbranch_execz .LBB2_5785
.LBB2_5784:                             ;   in Loop: Header=BB2_5547 Depth=3
	v_and_b32_e32 v62, 3, v94
	v_bfe_u32 v104, v94, 2, 5
	v_lshlrev_b32_e32 v105, 24, v94
	v_ffbh_u32_e32 v73, v62
	v_cmp_eq_u32_e32 vcc_lo, 0, v104
	v_min_u32_e32 v73, 32, v73
	v_subrev_nc_u32_e32 v95, 29, v73
	v_sub_nc_u32_e32 v73, 30, v73
	v_lshlrev_b32_e32 v95, v95, v94
	v_cndmask_b32_e32 v73, v104, v73, vcc_lo
	v_and_b32_e32 v95, 3, v95
	v_lshl_add_u32 v73, v73, 23, 0x37800000
	v_cndmask_b32_e32 v62, v62, v95, vcc_lo
	v_and_b32_e32 v95, 0x80000000, v105
	v_lshlrev_b32_e32 v62, 21, v62
	v_or3_b32 v62, v95, v73, v62
.LBB2_5785:                             ;   in Loop: Header=BB2_5547 Depth=3
	s_or_b32 exec_lo, exec_lo, s73
	s_waitcnt vmcnt(0)
	v_cmp_gt_i16_sdwa s73, v8, v97 src0_sel:BYTE_0 src1_sel:DWORD
	s_mov_b32 s17, 0
	s_and_saveexec_b32 s74, s73
	s_xor_b32 s73, exec_lo, s74
	s_cbranch_execz .LBB2_6131
; %bb.5786:                             ;   in Loop: Header=BB2_5547 Depth=3
	v_cmp_eq_u16_sdwa s75, v8, v98 src0_sel:BYTE_0 src1_sel:DWORD
	s_mov_b32 s17, -1
	s_and_saveexec_b32 s74, s75
; %bb.5787:                             ;   in Loop: Header=BB2_5547 Depth=3
	s_xor_b32 s17, exec_lo, -1
; %bb.5788:                             ;   in Loop: Header=BB2_5547 Depth=3
	s_or_b32 exec_lo, exec_lo, s74
	s_and_b32 s17, s17, exec_lo
	s_or_saveexec_b32 s73, s73
	v_mov_b32_e32 v73, 0x7f800001
	s_xor_b32 exec_lo, exec_lo, s73
	s_cbranch_execnz .LBB2_6132
.LBB2_5789:                             ;   in Loop: Header=BB2_5547 Depth=3
	s_or_b32 exec_lo, exec_lo, s73
	s_and_saveexec_b32 s73, s17
	s_cbranch_execz .LBB2_5791
.LBB2_5790:                             ;   in Loop: Header=BB2_5547 Depth=3
	v_and_b32_e32 v73, 3, v8
	v_bfe_u32 v105, v8, 2, 5
	v_lshlrev_b32_e32 v106, 24, v8
	v_ffbh_u32_e32 v95, v73
	v_cmp_eq_u32_e32 vcc_lo, 0, v105
	v_min_u32_e32 v95, 32, v95
	v_subrev_nc_u32_e32 v104, 29, v95
	v_sub_nc_u32_e32 v95, 30, v95
	v_lshlrev_b32_e32 v104, v104, v8
	v_cndmask_b32_e32 v95, v105, v95, vcc_lo
	v_and_b32_e32 v104, 3, v104
	v_lshl_add_u32 v95, v95, 23, 0x37800000
	v_cndmask_b32_e32 v73, v73, v104, vcc_lo
	v_and_b32_e32 v104, 0x80000000, v106
	v_lshlrev_b32_e32 v73, 21, v73
	v_or3_b32 v73, v104, v95, v73
.LBB2_5791:                             ;   in Loop: Header=BB2_5547 Depth=3
	s_or_b32 exec_lo, exec_lo, s73
	v_add_f32_e32 v73, v62, v73
	v_and_b32_e32 v62, 0x7f800000, v73
	v_cmp_ne_u32_e32 vcc_lo, 0x7f800000, v62
	v_mov_b32_e32 v62, 0x80
	s_and_saveexec_b32 s73, vcc_lo
	s_cbranch_execz .LBB2_5799
; %bb.5792:                             ;   in Loop: Header=BB2_5547 Depth=3
	v_mov_b32_e32 v62, 0
	s_mov_b32 s74, exec_lo
	v_cmpx_ne_u32_e32 0, v73
	s_cbranch_execz .LBB2_5798
; %bb.5793:                             ;   in Loop: Header=BB2_5547 Depth=3
	v_bfe_u32 v62, v73, 23, 8
	v_and_b32_e32 v95, 0x7fffff, v73
	v_sub_nc_u32_e32 v104, 0x70, v62
	v_cmp_gt_u32_e32 vcc_lo, 0x71, v62
	v_or_b32_e32 v105, 0x800000, v95
	v_cndmask_b32_e32 v104, 0, v104, vcc_lo
	v_cmp_eq_u32_e32 vcc_lo, 0, v62
	v_add_nc_u32_e32 v62, 0xffffff91, v62
	v_cndmask_b32_e64 v104, v104, 0x6f, vcc_lo
	v_cndmask_b32_e32 v95, v105, v95, vcc_lo
	v_cndmask_b32_e64 v62, v62, 0xffffff92, vcc_lo
	v_lshl_add_u32 v105, 0x200000, v104, -1
	v_lshrrev_b32_e32 v106, v104, v95
	v_lshlrev_b32_e64 v108, v104, 0x100000
	v_add_nc_u32_e32 v104, v104, v62
	v_and_b32_e32 v95, v105, v95
	v_bfe_u32 v107, v106, 21, 1
	v_cmp_eq_u32_e64 s17, v95, v108
	v_add_nc_u32_e32 v105, -1, v107
	v_cndmask_b32_e64 v95, 0, v105, s17
	v_lshrrev_b32_e32 v105, 23, v106
	s_mov_b32 s17, exec_lo
	v_add_nc_u32_e32 v95, v95, v106
	v_xor_b32_e32 v105, 1, v105
	v_and_b32_e32 v62, 0x1fffff, v95
	v_add_nc_u32_e32 v95, v62, v106
                                        ; implicit-def: $vgpr62
	v_cmpx_ne_u32_e64 v104, v105
	s_xor_b32 s17, exec_lo, s17
; %bb.5794:                             ;   in Loop: Header=BB2_5547 Depth=3
	v_cmp_lt_u32_e32 vcc_lo, 0xffffff, v95
	v_sub_nc_u32_e32 v62, v104, v105
	v_cndmask_b32_e64 v104, 0, 1, vcc_lo
	v_add_co_ci_u32_e64 v62, null, 0, v62, vcc_lo
	v_lshrrev_b32_e32 v95, v104, v95
; %bb.5795:                             ;   in Loop: Header=BB2_5547 Depth=3
	s_andn2_saveexec_b32 s17, s17
; %bb.5796:                             ;   in Loop: Header=BB2_5547 Depth=3
	v_bfe_u32 v62, v95, 23, 1
; %bb.5797:                             ;   in Loop: Header=BB2_5547 Depth=3
	s_or_b32 exec_lo, exec_lo, s17
	v_lshrrev_b32_e32 v95, 21, v95
	v_min_i32_e32 v104, 31, v62
	v_cmp_gt_i32_e32 vcc_lo, 32, v62
	v_and_b32_sdwa v73, v73, v98 dst_sel:DWORD dst_unused:UNUSED_PAD src0_sel:BYTE_3 src1_sel:DWORD
	v_lshlrev_b32_e32 v104, 2, v104
	v_cndmask_b32_e32 v95, 3, v95, vcc_lo
	v_and_b32_e32 v104, 0xfc, v104
	v_and_b32_e32 v105, 3, v95
	v_or_b32_e32 v62, v62, v95
	v_or3_b32 v73, v104, v73, v105
	v_cmp_ne_u32_e32 vcc_lo, 0, v62
	v_cndmask_b32_e32 v62, 0, v73, vcc_lo
.LBB2_5798:                             ;   in Loop: Header=BB2_5547 Depth=3
	s_or_b32 exec_lo, exec_lo, s74
.LBB2_5799:                             ;   in Loop: Header=BB2_5547 Depth=3
	s_or_b32 exec_lo, exec_lo, s73
	v_cmp_gt_i16_sdwa s73, v94, v97 src0_sel:BYTE_1 src1_sel:DWORD
	s_mov_b32 s17, 0
	s_and_saveexec_b32 s74, s73
	s_xor_b32 s73, exec_lo, s74
	s_cbranch_execz .LBB2_6133
; %bb.5800:                             ;   in Loop: Header=BB2_5547 Depth=3
	v_cmp_eq_u16_sdwa s75, v94, v98 src0_sel:BYTE_1 src1_sel:DWORD
	s_mov_b32 s17, -1
	s_and_saveexec_b32 s74, s75
; %bb.5801:                             ;   in Loop: Header=BB2_5547 Depth=3
	s_xor_b32 s17, exec_lo, -1
; %bb.5802:                             ;   in Loop: Header=BB2_5547 Depth=3
	s_or_b32 exec_lo, exec_lo, s74
	s_and_b32 s17, s17, exec_lo
	s_or_saveexec_b32 s73, s73
	v_mov_b32_e32 v73, 0x7f800001
	s_xor_b32 exec_lo, exec_lo, s73
	s_cbranch_execnz .LBB2_6134
.LBB2_5803:                             ;   in Loop: Header=BB2_5547 Depth=3
	s_or_b32 exec_lo, exec_lo, s73
	s_and_saveexec_b32 s73, s17
	s_cbranch_execz .LBB2_5805
.LBB2_5804:                             ;   in Loop: Header=BB2_5547 Depth=3
	v_and_b32_sdwa v73, v99, v94 dst_sel:DWORD dst_unused:UNUSED_PAD src0_sel:DWORD src1_sel:BYTE_1
	v_and_b32_e32 v95, 3, v73
	v_bfe_u32 v106, v73, 2, 5
	v_ffbh_u32_e32 v104, v95
	v_cmp_eq_u32_e32 vcc_lo, 0, v106
	v_min_u32_e32 v104, 32, v104
	v_subrev_nc_u32_e32 v105, 29, v104
	v_sub_nc_u32_e32 v104, 30, v104
	v_lshlrev_b32_e32 v73, v105, v73
	v_lshlrev_b32_sdwa v105, v100, v94 dst_sel:DWORD dst_unused:UNUSED_PAD src0_sel:DWORD src1_sel:BYTE_1
	v_cndmask_b32_e32 v104, v106, v104, vcc_lo
	v_and_b32_e32 v73, 3, v73
	v_lshl_add_u32 v104, v104, 23, 0x37800000
	v_cndmask_b32_e32 v73, v95, v73, vcc_lo
	v_and_b32_e32 v95, 0x80000000, v105
	v_lshlrev_b32_e32 v73, 21, v73
	v_or3_b32 v73, v95, v104, v73
.LBB2_5805:                             ;   in Loop: Header=BB2_5547 Depth=3
	s_or_b32 exec_lo, exec_lo, s73
	v_cmp_gt_i16_sdwa s73, v8, v97 src0_sel:BYTE_1 src1_sel:DWORD
	s_mov_b32 s17, 0
	s_and_saveexec_b32 s74, s73
	s_xor_b32 s73, exec_lo, s74
	s_cbranch_execz .LBB2_6135
; %bb.5806:                             ;   in Loop: Header=BB2_5547 Depth=3
	v_cmp_eq_u16_sdwa s75, v8, v98 src0_sel:BYTE_1 src1_sel:DWORD
	s_mov_b32 s17, -1
	s_and_saveexec_b32 s74, s75
; %bb.5807:                             ;   in Loop: Header=BB2_5547 Depth=3
	s_xor_b32 s17, exec_lo, -1
; %bb.5808:                             ;   in Loop: Header=BB2_5547 Depth=3
	s_or_b32 exec_lo, exec_lo, s74
	s_and_b32 s17, s17, exec_lo
	s_or_saveexec_b32 s73, s73
	v_mov_b32_e32 v95, 0x7f800001
	s_xor_b32 exec_lo, exec_lo, s73
	s_cbranch_execnz .LBB2_6136
.LBB2_5809:                             ;   in Loop: Header=BB2_5547 Depth=3
	s_or_b32 exec_lo, exec_lo, s73
	s_and_saveexec_b32 s73, s17
	s_cbranch_execz .LBB2_5811
.LBB2_5810:                             ;   in Loop: Header=BB2_5547 Depth=3
	v_and_b32_sdwa v95, v99, v8 dst_sel:DWORD dst_unused:UNUSED_PAD src0_sel:DWORD src1_sel:BYTE_1
	v_and_b32_e32 v104, 3, v95
	v_bfe_u32 v107, v95, 2, 5
	v_ffbh_u32_e32 v105, v104
	v_cmp_eq_u32_e32 vcc_lo, 0, v107
	v_min_u32_e32 v105, 32, v105
	v_subrev_nc_u32_e32 v106, 29, v105
	v_sub_nc_u32_e32 v105, 30, v105
	v_lshlrev_b32_e32 v95, v106, v95
	v_lshlrev_b32_sdwa v106, v100, v8 dst_sel:DWORD dst_unused:UNUSED_PAD src0_sel:DWORD src1_sel:BYTE_1
	v_cndmask_b32_e32 v105, v107, v105, vcc_lo
	v_and_b32_e32 v95, 3, v95
	v_lshl_add_u32 v105, v105, 23, 0x37800000
	v_cndmask_b32_e32 v95, v104, v95, vcc_lo
	v_and_b32_e32 v104, 0x80000000, v106
	v_lshlrev_b32_e32 v95, 21, v95
	v_or3_b32 v95, v104, v105, v95
.LBB2_5811:                             ;   in Loop: Header=BB2_5547 Depth=3
	s_or_b32 exec_lo, exec_lo, s73
	v_add_f32_e32 v95, v73, v95
	v_and_b32_e32 v73, 0x7f800000, v95
	v_cmp_ne_u32_e32 vcc_lo, 0x7f800000, v73
	v_mov_b32_e32 v73, 0x8000
	s_and_saveexec_b32 s73, vcc_lo
	s_cbranch_execz .LBB2_5819
; %bb.5812:                             ;   in Loop: Header=BB2_5547 Depth=3
	v_mov_b32_e32 v73, 0
	s_mov_b32 s74, exec_lo
	v_cmpx_ne_u32_e32 0, v95
	s_cbranch_execz .LBB2_5818
; %bb.5813:                             ;   in Loop: Header=BB2_5547 Depth=3
	v_bfe_u32 v73, v95, 23, 8
	v_and_b32_e32 v104, 0x7fffff, v95
	v_sub_nc_u32_e32 v105, 0x70, v73
	v_cmp_gt_u32_e32 vcc_lo, 0x71, v73
	v_or_b32_e32 v106, 0x800000, v104
	v_cndmask_b32_e32 v105, 0, v105, vcc_lo
	v_cmp_eq_u32_e32 vcc_lo, 0, v73
	v_add_nc_u32_e32 v73, 0xffffff91, v73
	v_cndmask_b32_e64 v105, v105, 0x6f, vcc_lo
	v_cndmask_b32_e32 v104, v106, v104, vcc_lo
	v_cndmask_b32_e64 v73, v73, 0xffffff92, vcc_lo
	v_lshl_add_u32 v106, 0x200000, v105, -1
	v_lshrrev_b32_e32 v107, v105, v104
	v_lshlrev_b32_e64 v109, v105, 0x100000
	v_add_nc_u32_e32 v105, v105, v73
	v_and_b32_e32 v104, v106, v104
	v_bfe_u32 v108, v107, 21, 1
	v_cmp_eq_u32_e64 s17, v104, v109
	v_add_nc_u32_e32 v106, -1, v108
	v_cndmask_b32_e64 v104, 0, v106, s17
	v_lshrrev_b32_e32 v106, 23, v107
	s_mov_b32 s17, exec_lo
	v_add_nc_u32_e32 v104, v104, v107
	v_xor_b32_e32 v106, 1, v106
	v_and_b32_e32 v73, 0x1fffff, v104
	v_add_nc_u32_e32 v104, v73, v107
                                        ; implicit-def: $vgpr73
	v_cmpx_ne_u32_e64 v105, v106
	s_xor_b32 s17, exec_lo, s17
; %bb.5814:                             ;   in Loop: Header=BB2_5547 Depth=3
	v_cmp_lt_u32_e32 vcc_lo, 0xffffff, v104
	v_sub_nc_u32_e32 v73, v105, v106
	v_cndmask_b32_e64 v105, 0, 1, vcc_lo
	v_add_co_ci_u32_e64 v73, null, 0, v73, vcc_lo
	v_lshrrev_b32_e32 v104, v105, v104
; %bb.5815:                             ;   in Loop: Header=BB2_5547 Depth=3
	s_andn2_saveexec_b32 s17, s17
; %bb.5816:                             ;   in Loop: Header=BB2_5547 Depth=3
	v_bfe_u32 v73, v104, 23, 1
; %bb.5817:                             ;   in Loop: Header=BB2_5547 Depth=3
	s_or_b32 exec_lo, exec_lo, s17
	v_lshrrev_b32_e32 v104, 21, v104
	v_min_i32_e32 v105, 31, v73
	v_cmp_gt_i32_e32 vcc_lo, 32, v73
	v_and_b32_sdwa v95, v95, v98 dst_sel:DWORD dst_unused:UNUSED_PAD src0_sel:BYTE_3 src1_sel:DWORD
	v_lshlrev_b32_e32 v105, 2, v105
	v_cndmask_b32_e32 v104, 3, v104, vcc_lo
	v_and_b32_e32 v105, 0xfc, v105
	v_and_b32_e32 v106, 3, v104
	v_or_b32_e32 v73, v73, v104
	v_or3_b32 v95, v95, v105, v106
	v_cmp_ne_u32_e32 vcc_lo, 0, v73
	v_lshlrev_b32_e32 v95, 8, v95
	v_cndmask_b32_e32 v73, 0, v95, vcc_lo
.LBB2_5818:                             ;   in Loop: Header=BB2_5547 Depth=3
	s_or_b32 exec_lo, exec_lo, s74
.LBB2_5819:                             ;   in Loop: Header=BB2_5547 Depth=3
	s_or_b32 exec_lo, exec_lo, s73
	v_or_b32_e32 v93, v93, v78
	s_mov_b32 s17, 0
	v_cmp_gt_i16_sdwa s73, v93, v97 src0_sel:BYTE_0 src1_sel:DWORD
	s_and_saveexec_b32 s74, s73
	s_xor_b32 s73, exec_lo, s74
	s_cbranch_execz .LBB2_6137
; %bb.5820:                             ;   in Loop: Header=BB2_5547 Depth=3
	v_cmp_eq_u16_sdwa s75, v93, v98 src0_sel:BYTE_0 src1_sel:DWORD
	s_mov_b32 s17, -1
	s_and_saveexec_b32 s74, s75
; %bb.5821:                             ;   in Loop: Header=BB2_5547 Depth=3
	s_xor_b32 s17, exec_lo, -1
; %bb.5822:                             ;   in Loop: Header=BB2_5547 Depth=3
	s_or_b32 exec_lo, exec_lo, s74
	s_and_b32 s17, s17, exec_lo
	s_or_saveexec_b32 s73, s73
	v_mov_b32_e32 v78, 0x7f800001
	s_xor_b32 exec_lo, exec_lo, s73
	s_cbranch_execnz .LBB2_6138
.LBB2_5823:                             ;   in Loop: Header=BB2_5547 Depth=3
	s_or_b32 exec_lo, exec_lo, s73
	v_lshl_or_b32 v93, v93, 16, v94
	s_and_saveexec_b32 s73, s17
	s_cbranch_execz .LBB2_5825
.LBB2_5824:                             ;   in Loop: Header=BB2_5547 Depth=3
	v_bfe_u32 v78, v93, 16, 2
	v_bfe_u32 v104, v93, 18, 5
	v_lshlrev_b32_e32 v105, 8, v93
	v_ffbh_u32_e32 v94, v78
	v_cmp_eq_u32_e32 vcc_lo, 0, v104
	v_min_u32_e32 v94, 32, v94
	v_subrev_nc_u32_e32 v95, 29, v94
	v_sub_nc_u32_e32 v94, 30, v94
	v_lshlrev_b32_sdwa v95, v95, v93 dst_sel:DWORD dst_unused:UNUSED_PAD src0_sel:DWORD src1_sel:WORD_1
	v_cndmask_b32_e32 v94, v104, v94, vcc_lo
	v_and_b32_e32 v95, 3, v95
	v_lshl_add_u32 v94, v94, 23, 0x37800000
	v_cndmask_b32_e32 v78, v78, v95, vcc_lo
	v_and_b32_e32 v95, 0x80000000, v105
	v_lshlrev_b32_e32 v78, 21, v78
	v_or3_b32 v78, v95, v94, v78
.LBB2_5825:                             ;   in Loop: Header=BB2_5547 Depth=3
	s_or_b32 exec_lo, exec_lo, s73
	v_and_b32_sdwa v95, v8, v101 dst_sel:DWORD dst_unused:UNUSED_PAD src0_sel:WORD_1 src1_sel:DWORD
	s_mov_b32 s17, 0
	s_mov_b32 s73, exec_lo
	v_cmpx_lt_i16_e32 0x7f, v95
	s_xor_b32 s73, exec_lo, s73
	s_cbranch_execz .LBB2_6139
; %bb.5826:                             ;   in Loop: Header=BB2_5547 Depth=3
	s_mov_b32 s17, -1
	s_mov_b32 s74, exec_lo
	v_cmpx_eq_u16_e32 0x80, v95
; %bb.5827:                             ;   in Loop: Header=BB2_5547 Depth=3
	s_xor_b32 s17, exec_lo, -1
; %bb.5828:                             ;   in Loop: Header=BB2_5547 Depth=3
	s_or_b32 exec_lo, exec_lo, s74
	s_and_b32 s17, s17, exec_lo
                                        ; implicit-def: $vgpr95
	s_or_saveexec_b32 s73, s73
	v_mov_b32_e32 v94, 0x7f800001
	s_xor_b32 exec_lo, exec_lo, s73
	s_cbranch_execnz .LBB2_6140
.LBB2_5829:                             ;   in Loop: Header=BB2_5547 Depth=3
	s_or_b32 exec_lo, exec_lo, s73
	s_and_saveexec_b32 s73, s17
	s_cbranch_execz .LBB2_5831
.LBB2_5830:                             ;   in Loop: Header=BB2_5547 Depth=3
	v_and_b32_sdwa v94, v8, v103 dst_sel:DWORD dst_unused:UNUSED_PAD src0_sel:WORD_1 src1_sel:DWORD
	v_bfe_u32 v105, v8, 18, 5
	v_lshlrev_b32_sdwa v106, v100, v8 dst_sel:DWORD dst_unused:UNUSED_PAD src0_sel:DWORD src1_sel:WORD_1
	v_ffbh_u32_e32 v95, v94
	v_cmp_eq_u32_e32 vcc_lo, 0, v105
	v_min_u32_e32 v95, 32, v95
	v_subrev_nc_u32_e32 v104, 29, v95
	v_sub_nc_u32_e32 v95, 30, v95
	v_lshlrev_b32_sdwa v104, v104, v8 dst_sel:DWORD dst_unused:UNUSED_PAD src0_sel:DWORD src1_sel:WORD_1
	v_cndmask_b32_e32 v95, v105, v95, vcc_lo
	v_and_b32_e32 v104, 3, v104
	v_lshl_add_u32 v95, v95, 23, 0x37800000
	v_cndmask_b32_e32 v94, v94, v104, vcc_lo
	v_and_b32_e32 v104, 0x80000000, v106
	v_lshlrev_b32_e32 v94, 21, v94
	v_or3_b32 v94, v104, v95, v94
.LBB2_5831:                             ;   in Loop: Header=BB2_5547 Depth=3
	s_or_b32 exec_lo, exec_lo, s73
	v_add_f32_e32 v94, v78, v94
	v_and_b32_e32 v78, 0x7f800000, v94
	v_cmp_ne_u32_e32 vcc_lo, 0x7f800000, v78
	v_mov_b32_e32 v78, 0x80
	s_and_saveexec_b32 s73, vcc_lo
	s_cbranch_execz .LBB2_5839
; %bb.5832:                             ;   in Loop: Header=BB2_5547 Depth=3
	v_mov_b32_e32 v78, 0
	s_mov_b32 s74, exec_lo
	v_cmpx_ne_u32_e32 0, v94
	s_cbranch_execz .LBB2_5838
; %bb.5833:                             ;   in Loop: Header=BB2_5547 Depth=3
	v_bfe_u32 v78, v94, 23, 8
	v_and_b32_e32 v95, 0x7fffff, v94
	v_sub_nc_u32_e32 v104, 0x70, v78
	v_cmp_gt_u32_e32 vcc_lo, 0x71, v78
	v_or_b32_e32 v105, 0x800000, v95
	v_cndmask_b32_e32 v104, 0, v104, vcc_lo
	v_cmp_eq_u32_e32 vcc_lo, 0, v78
	v_add_nc_u32_e32 v78, 0xffffff91, v78
	v_cndmask_b32_e64 v104, v104, 0x6f, vcc_lo
	v_cndmask_b32_e32 v95, v105, v95, vcc_lo
	v_cndmask_b32_e64 v78, v78, 0xffffff92, vcc_lo
	v_lshl_add_u32 v105, 0x200000, v104, -1
	v_lshrrev_b32_e32 v106, v104, v95
	v_lshlrev_b32_e64 v108, v104, 0x100000
	v_add_nc_u32_e32 v104, v104, v78
	v_and_b32_e32 v95, v105, v95
	v_bfe_u32 v107, v106, 21, 1
	v_cmp_eq_u32_e64 s17, v95, v108
	v_add_nc_u32_e32 v105, -1, v107
	v_cndmask_b32_e64 v95, 0, v105, s17
	v_lshrrev_b32_e32 v105, 23, v106
	s_mov_b32 s17, exec_lo
	v_add_nc_u32_e32 v95, v95, v106
	v_xor_b32_e32 v105, 1, v105
	v_and_b32_e32 v78, 0x1fffff, v95
	v_add_nc_u32_e32 v95, v78, v106
                                        ; implicit-def: $vgpr78
	v_cmpx_ne_u32_e64 v104, v105
	s_xor_b32 s17, exec_lo, s17
; %bb.5834:                             ;   in Loop: Header=BB2_5547 Depth=3
	v_cmp_lt_u32_e32 vcc_lo, 0xffffff, v95
	v_sub_nc_u32_e32 v78, v104, v105
	v_cndmask_b32_e64 v104, 0, 1, vcc_lo
	v_add_co_ci_u32_e64 v78, null, 0, v78, vcc_lo
	v_lshrrev_b32_e32 v95, v104, v95
; %bb.5835:                             ;   in Loop: Header=BB2_5547 Depth=3
	s_andn2_saveexec_b32 s17, s17
; %bb.5836:                             ;   in Loop: Header=BB2_5547 Depth=3
	v_bfe_u32 v78, v95, 23, 1
; %bb.5837:                             ;   in Loop: Header=BB2_5547 Depth=3
	s_or_b32 exec_lo, exec_lo, s17
	v_lshrrev_b32_e32 v95, 21, v95
	v_min_i32_e32 v104, 31, v78
	v_cmp_gt_i32_e32 vcc_lo, 32, v78
	v_and_b32_sdwa v94, v94, v98 dst_sel:DWORD dst_unused:UNUSED_PAD src0_sel:BYTE_3 src1_sel:DWORD
	v_lshlrev_b32_e32 v104, 2, v104
	v_cndmask_b32_e32 v95, 3, v95, vcc_lo
	v_and_b32_e32 v104, 0xfc, v104
	v_and_b32_e32 v105, 3, v95
	v_or_b32_e32 v78, v78, v95
	v_or3_b32 v94, v104, v94, v105
	v_cmp_ne_u32_e32 vcc_lo, 0, v78
	v_cndmask_b32_e32 v78, 0, v94, vcc_lo
.LBB2_5838:                             ;   in Loop: Header=BB2_5547 Depth=3
	s_or_b32 exec_lo, exec_lo, s74
.LBB2_5839:                             ;   in Loop: Header=BB2_5547 Depth=3
	s_or_b32 exec_lo, exec_lo, s73
	v_cmp_gt_i16_sdwa s73, v93, v97 src0_sel:BYTE_3 src1_sel:DWORD
	s_mov_b32 s17, 0
	s_and_saveexec_b32 s74, s73
	s_xor_b32 s73, exec_lo, s74
	s_cbranch_execz .LBB2_6141
; %bb.5840:                             ;   in Loop: Header=BB2_5547 Depth=3
	v_cmp_eq_u16_sdwa s75, v93, v98 src0_sel:BYTE_3 src1_sel:DWORD
	s_mov_b32 s17, -1
	s_and_saveexec_b32 s74, s75
; %bb.5841:                             ;   in Loop: Header=BB2_5547 Depth=3
	s_xor_b32 s17, exec_lo, -1
; %bb.5842:                             ;   in Loop: Header=BB2_5547 Depth=3
	s_or_b32 exec_lo, exec_lo, s74
	s_and_b32 s17, s17, exec_lo
	s_or_saveexec_b32 s73, s73
	v_mov_b32_e32 v94, 0x7f800001
	s_xor_b32 exec_lo, exec_lo, s73
	s_cbranch_execnz .LBB2_6142
.LBB2_5843:                             ;   in Loop: Header=BB2_5547 Depth=3
	s_or_b32 exec_lo, exec_lo, s73
	s_and_saveexec_b32 s73, s17
	s_cbranch_execz .LBB2_5845
.LBB2_5844:                             ;   in Loop: Header=BB2_5547 Depth=3
	v_bfe_u32 v94, v93, 24, 2
	v_bfe_u32 v105, v93, 26, 5
	v_ffbh_u32_e32 v95, v94
	v_cmp_eq_u32_e32 vcc_lo, 0, v105
	v_min_u32_e32 v95, 32, v95
	v_subrev_nc_u32_e32 v104, 29, v95
	v_sub_nc_u32_e32 v95, 30, v95
	v_lshlrev_b32_sdwa v104, v104, v93 dst_sel:DWORD dst_unused:UNUSED_PAD src0_sel:DWORD src1_sel:BYTE_3
	v_cndmask_b32_e32 v95, v105, v95, vcc_lo
	v_and_b32_e32 v93, 0x80000000, v93
	v_and_b32_e32 v104, 3, v104
	v_lshl_add_u32 v95, v95, 23, 0x37800000
	v_cndmask_b32_e32 v94, v94, v104, vcc_lo
	v_lshlrev_b32_e32 v94, 21, v94
	v_or3_b32 v94, v93, v95, v94
.LBB2_5845:                             ;   in Loop: Header=BB2_5547 Depth=3
	s_or_b32 exec_lo, exec_lo, s73
	v_cmp_gt_i16_sdwa s73, v8, v97 src0_sel:BYTE_3 src1_sel:DWORD
	s_mov_b32 s17, 0
	s_and_saveexec_b32 s74, s73
	s_xor_b32 s73, exec_lo, s74
	s_cbranch_execz .LBB2_6143
; %bb.5846:                             ;   in Loop: Header=BB2_5547 Depth=3
	v_cmp_eq_u16_sdwa s75, v8, v98 src0_sel:BYTE_3 src1_sel:DWORD
	s_mov_b32 s17, -1
	s_and_saveexec_b32 s74, s75
; %bb.5847:                             ;   in Loop: Header=BB2_5547 Depth=3
	s_xor_b32 s17, exec_lo, -1
; %bb.5848:                             ;   in Loop: Header=BB2_5547 Depth=3
	s_or_b32 exec_lo, exec_lo, s74
	s_and_b32 s17, s17, exec_lo
	s_or_saveexec_b32 s73, s73
	v_mov_b32_e32 v93, 0x7f800001
	s_xor_b32 exec_lo, exec_lo, s73
	s_cbranch_execnz .LBB2_6144
.LBB2_5849:                             ;   in Loop: Header=BB2_5547 Depth=3
	s_or_b32 exec_lo, exec_lo, s73
	s_and_saveexec_b32 s73, s17
	s_cbranch_execz .LBB2_5851
.LBB2_5850:                             ;   in Loop: Header=BB2_5547 Depth=3
	v_and_b32_sdwa v93, v8, v103 dst_sel:DWORD dst_unused:UNUSED_PAD src0_sel:BYTE_3 src1_sel:DWORD
	v_bfe_u32 v105, v8, 26, 5
	v_ffbh_u32_e32 v95, v93
	v_cmp_eq_u32_e32 vcc_lo, 0, v105
	v_min_u32_e32 v95, 32, v95
	v_subrev_nc_u32_e32 v104, 29, v95
	v_sub_nc_u32_e32 v95, 30, v95
	v_lshlrev_b32_sdwa v104, v104, v8 dst_sel:DWORD dst_unused:UNUSED_PAD src0_sel:DWORD src1_sel:BYTE_3
	v_cndmask_b32_e32 v95, v105, v95, vcc_lo
	v_and_b32_e32 v8, 0x80000000, v8
	v_and_b32_e32 v104, 3, v104
	v_lshl_add_u32 v95, v95, 23, 0x37800000
	v_cndmask_b32_e32 v93, v93, v104, vcc_lo
	v_lshlrev_b32_e32 v93, 21, v93
	v_or3_b32 v93, v8, v95, v93
.LBB2_5851:                             ;   in Loop: Header=BB2_5547 Depth=3
	s_or_b32 exec_lo, exec_lo, s73
	v_add_f32_e32 v93, v94, v93
	v_and_b32_e32 v8, 0x7f800000, v93
	v_cmp_ne_u32_e32 vcc_lo, 0x7f800000, v8
	v_mov_b32_e32 v8, 0x8000
	s_and_saveexec_b32 s73, vcc_lo
	s_cbranch_execz .LBB2_5859
; %bb.5852:                             ;   in Loop: Header=BB2_5547 Depth=3
	v_mov_b32_e32 v8, 0
	s_mov_b32 s74, exec_lo
	v_cmpx_ne_u32_e32 0, v93
	s_cbranch_execz .LBB2_5858
; %bb.5853:                             ;   in Loop: Header=BB2_5547 Depth=3
	v_bfe_u32 v8, v93, 23, 8
	v_and_b32_e32 v94, 0x7fffff, v93
	v_sub_nc_u32_e32 v95, 0x70, v8
	v_cmp_gt_u32_e32 vcc_lo, 0x71, v8
	v_or_b32_e32 v104, 0x800000, v94
	v_cndmask_b32_e32 v95, 0, v95, vcc_lo
	v_cmp_eq_u32_e32 vcc_lo, 0, v8
	v_add_nc_u32_e32 v8, 0xffffff91, v8
	v_cndmask_b32_e64 v95, v95, 0x6f, vcc_lo
	v_cndmask_b32_e32 v94, v104, v94, vcc_lo
	v_cndmask_b32_e64 v8, v8, 0xffffff92, vcc_lo
	v_lshl_add_u32 v104, 0x200000, v95, -1
	v_lshrrev_b32_e32 v105, v95, v94
	v_lshlrev_b32_e64 v107, v95, 0x100000
	v_add_nc_u32_e32 v95, v95, v8
	v_and_b32_e32 v94, v104, v94
	v_bfe_u32 v106, v105, 21, 1
	v_cmp_eq_u32_e64 s17, v94, v107
	v_add_nc_u32_e32 v104, -1, v106
	v_cndmask_b32_e64 v94, 0, v104, s17
	v_lshrrev_b32_e32 v104, 23, v105
	s_mov_b32 s17, exec_lo
	v_add_nc_u32_e32 v94, v94, v105
	v_xor_b32_e32 v104, 1, v104
	v_and_b32_e32 v8, 0x1fffff, v94
	v_add_nc_u32_e32 v94, v8, v105
                                        ; implicit-def: $vgpr8
	v_cmpx_ne_u32_e64 v95, v104
	s_xor_b32 s17, exec_lo, s17
; %bb.5854:                             ;   in Loop: Header=BB2_5547 Depth=3
	v_cmp_lt_u32_e32 vcc_lo, 0xffffff, v94
	v_sub_nc_u32_e32 v8, v95, v104
	v_cndmask_b32_e64 v95, 0, 1, vcc_lo
	v_add_co_ci_u32_e64 v8, null, 0, v8, vcc_lo
	v_lshrrev_b32_e32 v94, v95, v94
; %bb.5855:                             ;   in Loop: Header=BB2_5547 Depth=3
	s_andn2_saveexec_b32 s17, s17
; %bb.5856:                             ;   in Loop: Header=BB2_5547 Depth=3
	v_bfe_u32 v8, v94, 23, 1
; %bb.5857:                             ;   in Loop: Header=BB2_5547 Depth=3
	s_or_b32 exec_lo, exec_lo, s17
	v_lshrrev_b32_e32 v94, 21, v94
	v_min_i32_e32 v95, 31, v8
	v_cmp_gt_i32_e32 vcc_lo, 32, v8
	v_and_b32_sdwa v93, v93, v98 dst_sel:DWORD dst_unused:UNUSED_PAD src0_sel:BYTE_3 src1_sel:DWORD
	v_lshlrev_b32_e32 v95, 2, v95
	v_cndmask_b32_e32 v94, 3, v94, vcc_lo
	v_and_b32_e32 v95, 0xfc, v95
	v_and_b32_e32 v104, 3, v94
	v_or_b32_e32 v8, v8, v94
	v_or3_b32 v93, v93, v95, v104
	v_cmp_ne_u32_e32 vcc_lo, 0, v8
	v_lshlrev_b32_e32 v93, 8, v93
	v_cndmask_b32_e32 v8, 0, v93, vcc_lo
.LBB2_5858:                             ;   in Loop: Header=BB2_5547 Depth=3
	s_or_b32 exec_lo, exec_lo, s74
.LBB2_5859:                             ;   in Loop: Header=BB2_5547 Depth=3
	s_or_b32 exec_lo, exec_lo, s73
	v_or_b32_e32 v93, v92, v90
	s_mov_b32 s17, 0
	v_cmp_gt_i16_sdwa s73, v93, v97 src0_sel:BYTE_0 src1_sel:DWORD
	s_and_saveexec_b32 s74, s73
	s_xor_b32 s73, exec_lo, s74
	s_cbranch_execz .LBB2_6145
; %bb.5860:                             ;   in Loop: Header=BB2_5547 Depth=3
	v_cmp_eq_u16_sdwa s75, v93, v98 src0_sel:BYTE_0 src1_sel:DWORD
	s_mov_b32 s17, -1
	s_and_saveexec_b32 s74, s75
; %bb.5861:                             ;   in Loop: Header=BB2_5547 Depth=3
	s_xor_b32 s17, exec_lo, -1
; %bb.5862:                             ;   in Loop: Header=BB2_5547 Depth=3
	s_or_b32 exec_lo, exec_lo, s74
	s_and_b32 s17, s17, exec_lo
	s_or_saveexec_b32 s73, s73
	v_mov_b32_e32 v90, 0x7f800001
	s_xor_b32 exec_lo, exec_lo, s73
	s_cbranch_execnz .LBB2_6146
.LBB2_5863:                             ;   in Loop: Header=BB2_5547 Depth=3
	s_or_b32 exec_lo, exec_lo, s73
	s_and_saveexec_b32 s73, s17
	s_cbranch_execz .LBB2_5865
.LBB2_5864:                             ;   in Loop: Header=BB2_5547 Depth=3
	v_and_b32_e32 v90, 3, v93
	v_bfe_u32 v95, v93, 2, 5
	v_lshlrev_b32_e32 v104, 24, v93
	v_ffbh_u32_e32 v92, v90
	v_cmp_eq_u32_e32 vcc_lo, 0, v95
	v_min_u32_e32 v92, 32, v92
	v_subrev_nc_u32_e32 v94, 29, v92
	v_sub_nc_u32_e32 v92, 30, v92
	v_lshlrev_b32_e32 v94, v94, v93
	v_cndmask_b32_e32 v92, v95, v92, vcc_lo
	v_and_b32_e32 v94, 3, v94
	v_lshl_add_u32 v92, v92, 23, 0x37800000
	v_cndmask_b32_e32 v90, v90, v94, vcc_lo
	v_and_b32_e32 v94, 0x80000000, v104
	v_lshlrev_b32_e32 v90, 21, v90
	v_or3_b32 v90, v94, v92, v90
.LBB2_5865:                             ;   in Loop: Header=BB2_5547 Depth=3
	s_or_b32 exec_lo, exec_lo, s73
	v_cmp_gt_i16_sdwa s73, v9, v97 src0_sel:BYTE_0 src1_sel:DWORD
	s_mov_b32 s17, 0
	s_and_saveexec_b32 s74, s73
	s_xor_b32 s73, exec_lo, s74
	s_cbranch_execz .LBB2_6147
; %bb.5866:                             ;   in Loop: Header=BB2_5547 Depth=3
	v_cmp_eq_u16_sdwa s75, v9, v98 src0_sel:BYTE_0 src1_sel:DWORD
	s_mov_b32 s17, -1
	s_and_saveexec_b32 s74, s75
; %bb.5867:                             ;   in Loop: Header=BB2_5547 Depth=3
	s_xor_b32 s17, exec_lo, -1
; %bb.5868:                             ;   in Loop: Header=BB2_5547 Depth=3
	s_or_b32 exec_lo, exec_lo, s74
	s_and_b32 s17, s17, exec_lo
	s_or_saveexec_b32 s73, s73
	v_mov_b32_e32 v92, 0x7f800001
	s_xor_b32 exec_lo, exec_lo, s73
	s_cbranch_execnz .LBB2_6148
.LBB2_5869:                             ;   in Loop: Header=BB2_5547 Depth=3
	s_or_b32 exec_lo, exec_lo, s73
	s_and_saveexec_b32 s73, s17
	s_cbranch_execz .LBB2_5871
.LBB2_5870:                             ;   in Loop: Header=BB2_5547 Depth=3
	v_and_b32_e32 v92, 3, v9
	v_bfe_u32 v104, v9, 2, 5
	v_lshlrev_b32_e32 v105, 24, v9
	v_ffbh_u32_e32 v94, v92
	v_cmp_eq_u32_e32 vcc_lo, 0, v104
	v_min_u32_e32 v94, 32, v94
	v_subrev_nc_u32_e32 v95, 29, v94
	v_sub_nc_u32_e32 v94, 30, v94
	v_lshlrev_b32_e32 v95, v95, v9
	v_cndmask_b32_e32 v94, v104, v94, vcc_lo
	v_and_b32_e32 v95, 3, v95
	v_lshl_add_u32 v94, v94, 23, 0x37800000
	v_cndmask_b32_e32 v92, v92, v95, vcc_lo
	v_and_b32_e32 v95, 0x80000000, v105
	v_lshlrev_b32_e32 v92, 21, v92
	v_or3_b32 v92, v95, v94, v92
.LBB2_5871:                             ;   in Loop: Header=BB2_5547 Depth=3
	s_or_b32 exec_lo, exec_lo, s73
	v_add_f32_e32 v92, v90, v92
	v_and_b32_e32 v90, 0x7f800000, v92
	v_cmp_ne_u32_e32 vcc_lo, 0x7f800000, v90
	v_mov_b32_e32 v90, 0x80
	s_and_saveexec_b32 s73, vcc_lo
	s_cbranch_execz .LBB2_5879
; %bb.5872:                             ;   in Loop: Header=BB2_5547 Depth=3
	v_mov_b32_e32 v90, 0
	s_mov_b32 s74, exec_lo
	v_cmpx_ne_u32_e32 0, v92
	s_cbranch_execz .LBB2_5878
; %bb.5873:                             ;   in Loop: Header=BB2_5547 Depth=3
	v_bfe_u32 v90, v92, 23, 8
	v_and_b32_e32 v94, 0x7fffff, v92
	v_sub_nc_u32_e32 v95, 0x70, v90
	v_cmp_gt_u32_e32 vcc_lo, 0x71, v90
	v_or_b32_e32 v104, 0x800000, v94
	v_cndmask_b32_e32 v95, 0, v95, vcc_lo
	v_cmp_eq_u32_e32 vcc_lo, 0, v90
	v_add_nc_u32_e32 v90, 0xffffff91, v90
	v_cndmask_b32_e64 v95, v95, 0x6f, vcc_lo
	v_cndmask_b32_e32 v94, v104, v94, vcc_lo
	v_cndmask_b32_e64 v90, v90, 0xffffff92, vcc_lo
	v_lshl_add_u32 v104, 0x200000, v95, -1
	v_lshrrev_b32_e32 v105, v95, v94
	v_lshlrev_b32_e64 v107, v95, 0x100000
	v_add_nc_u32_e32 v95, v95, v90
	v_and_b32_e32 v94, v104, v94
	v_bfe_u32 v106, v105, 21, 1
	v_cmp_eq_u32_e64 s17, v94, v107
	v_add_nc_u32_e32 v104, -1, v106
	v_cndmask_b32_e64 v94, 0, v104, s17
	v_lshrrev_b32_e32 v104, 23, v105
	s_mov_b32 s17, exec_lo
	v_add_nc_u32_e32 v94, v94, v105
	v_xor_b32_e32 v104, 1, v104
	v_and_b32_e32 v90, 0x1fffff, v94
	v_add_nc_u32_e32 v94, v90, v105
                                        ; implicit-def: $vgpr90
	v_cmpx_ne_u32_e64 v95, v104
	s_xor_b32 s17, exec_lo, s17
; %bb.5874:                             ;   in Loop: Header=BB2_5547 Depth=3
	v_cmp_lt_u32_e32 vcc_lo, 0xffffff, v94
	v_sub_nc_u32_e32 v90, v95, v104
	v_cndmask_b32_e64 v95, 0, 1, vcc_lo
	v_add_co_ci_u32_e64 v90, null, 0, v90, vcc_lo
	v_lshrrev_b32_e32 v94, v95, v94
; %bb.5875:                             ;   in Loop: Header=BB2_5547 Depth=3
	s_andn2_saveexec_b32 s17, s17
; %bb.5876:                             ;   in Loop: Header=BB2_5547 Depth=3
	v_bfe_u32 v90, v94, 23, 1
; %bb.5877:                             ;   in Loop: Header=BB2_5547 Depth=3
	s_or_b32 exec_lo, exec_lo, s17
	v_lshrrev_b32_e32 v94, 21, v94
	v_min_i32_e32 v95, 31, v90
	v_cmp_gt_i32_e32 vcc_lo, 32, v90
	v_and_b32_sdwa v92, v92, v98 dst_sel:DWORD dst_unused:UNUSED_PAD src0_sel:BYTE_3 src1_sel:DWORD
	v_lshlrev_b32_e32 v95, 2, v95
	v_cndmask_b32_e32 v94, 3, v94, vcc_lo
	v_and_b32_e32 v95, 0xfc, v95
	v_and_b32_e32 v104, 3, v94
	v_or_b32_e32 v90, v90, v94
	v_or3_b32 v92, v95, v92, v104
	v_cmp_ne_u32_e32 vcc_lo, 0, v90
	v_cndmask_b32_e32 v90, 0, v92, vcc_lo
.LBB2_5878:                             ;   in Loop: Header=BB2_5547 Depth=3
	s_or_b32 exec_lo, exec_lo, s74
.LBB2_5879:                             ;   in Loop: Header=BB2_5547 Depth=3
	s_or_b32 exec_lo, exec_lo, s73
	v_cmp_gt_i16_sdwa s73, v93, v97 src0_sel:BYTE_1 src1_sel:DWORD
	s_mov_b32 s17, 0
	s_and_saveexec_b32 s74, s73
	s_xor_b32 s73, exec_lo, s74
	s_cbranch_execz .LBB2_6149
; %bb.5880:                             ;   in Loop: Header=BB2_5547 Depth=3
	v_cmp_eq_u16_sdwa s75, v93, v98 src0_sel:BYTE_1 src1_sel:DWORD
	s_mov_b32 s17, -1
	s_and_saveexec_b32 s74, s75
; %bb.5881:                             ;   in Loop: Header=BB2_5547 Depth=3
	s_xor_b32 s17, exec_lo, -1
; %bb.5882:                             ;   in Loop: Header=BB2_5547 Depth=3
	s_or_b32 exec_lo, exec_lo, s74
	s_and_b32 s17, s17, exec_lo
	s_or_saveexec_b32 s73, s73
	v_mov_b32_e32 v92, 0x7f800001
	s_xor_b32 exec_lo, exec_lo, s73
	s_cbranch_execnz .LBB2_6150
.LBB2_5883:                             ;   in Loop: Header=BB2_5547 Depth=3
	s_or_b32 exec_lo, exec_lo, s73
	s_and_saveexec_b32 s73, s17
	s_cbranch_execz .LBB2_5885
.LBB2_5884:                             ;   in Loop: Header=BB2_5547 Depth=3
	v_and_b32_sdwa v92, v99, v93 dst_sel:DWORD dst_unused:UNUSED_PAD src0_sel:DWORD src1_sel:BYTE_1
	v_and_b32_e32 v94, 3, v92
	v_bfe_u32 v105, v92, 2, 5
	v_ffbh_u32_e32 v95, v94
	v_cmp_eq_u32_e32 vcc_lo, 0, v105
	v_min_u32_e32 v95, 32, v95
	v_subrev_nc_u32_e32 v104, 29, v95
	v_sub_nc_u32_e32 v95, 30, v95
	v_lshlrev_b32_e32 v92, v104, v92
	v_lshlrev_b32_sdwa v104, v100, v93 dst_sel:DWORD dst_unused:UNUSED_PAD src0_sel:DWORD src1_sel:BYTE_1
	v_cndmask_b32_e32 v95, v105, v95, vcc_lo
	v_and_b32_e32 v92, 3, v92
	v_lshl_add_u32 v95, v95, 23, 0x37800000
	v_cndmask_b32_e32 v92, v94, v92, vcc_lo
	v_and_b32_e32 v94, 0x80000000, v104
	v_lshlrev_b32_e32 v92, 21, v92
	v_or3_b32 v92, v94, v95, v92
.LBB2_5885:                             ;   in Loop: Header=BB2_5547 Depth=3
	s_or_b32 exec_lo, exec_lo, s73
	v_cmp_gt_i16_sdwa s73, v9, v97 src0_sel:BYTE_1 src1_sel:DWORD
	s_mov_b32 s17, 0
	s_and_saveexec_b32 s74, s73
	s_xor_b32 s73, exec_lo, s74
	s_cbranch_execz .LBB2_6151
; %bb.5886:                             ;   in Loop: Header=BB2_5547 Depth=3
	v_cmp_eq_u16_sdwa s75, v9, v98 src0_sel:BYTE_1 src1_sel:DWORD
	s_mov_b32 s17, -1
	s_and_saveexec_b32 s74, s75
; %bb.5887:                             ;   in Loop: Header=BB2_5547 Depth=3
	s_xor_b32 s17, exec_lo, -1
; %bb.5888:                             ;   in Loop: Header=BB2_5547 Depth=3
	s_or_b32 exec_lo, exec_lo, s74
	s_and_b32 s17, s17, exec_lo
	s_or_saveexec_b32 s73, s73
	v_mov_b32_e32 v94, 0x7f800001
	s_xor_b32 exec_lo, exec_lo, s73
	s_cbranch_execnz .LBB2_6152
.LBB2_5889:                             ;   in Loop: Header=BB2_5547 Depth=3
	s_or_b32 exec_lo, exec_lo, s73
	s_and_saveexec_b32 s73, s17
	s_cbranch_execz .LBB2_5891
.LBB2_5890:                             ;   in Loop: Header=BB2_5547 Depth=3
	v_and_b32_sdwa v94, v99, v9 dst_sel:DWORD dst_unused:UNUSED_PAD src0_sel:DWORD src1_sel:BYTE_1
	v_and_b32_e32 v95, 3, v94
	v_bfe_u32 v106, v94, 2, 5
	v_ffbh_u32_e32 v104, v95
	v_cmp_eq_u32_e32 vcc_lo, 0, v106
	v_min_u32_e32 v104, 32, v104
	v_subrev_nc_u32_e32 v105, 29, v104
	v_sub_nc_u32_e32 v104, 30, v104
	v_lshlrev_b32_e32 v94, v105, v94
	v_lshlrev_b32_sdwa v105, v100, v9 dst_sel:DWORD dst_unused:UNUSED_PAD src0_sel:DWORD src1_sel:BYTE_1
	v_cndmask_b32_e32 v104, v106, v104, vcc_lo
	v_and_b32_e32 v94, 3, v94
	v_lshl_add_u32 v104, v104, 23, 0x37800000
	v_cndmask_b32_e32 v94, v95, v94, vcc_lo
	v_and_b32_e32 v95, 0x80000000, v105
	v_lshlrev_b32_e32 v94, 21, v94
	v_or3_b32 v94, v95, v104, v94
.LBB2_5891:                             ;   in Loop: Header=BB2_5547 Depth=3
	s_or_b32 exec_lo, exec_lo, s73
	v_add_f32_e32 v94, v92, v94
	v_and_b32_e32 v92, 0x7f800000, v94
	v_cmp_ne_u32_e32 vcc_lo, 0x7f800000, v92
	v_mov_b32_e32 v92, 0x8000
	s_and_saveexec_b32 s73, vcc_lo
	s_cbranch_execz .LBB2_5899
; %bb.5892:                             ;   in Loop: Header=BB2_5547 Depth=3
	v_mov_b32_e32 v92, 0
	s_mov_b32 s74, exec_lo
	v_cmpx_ne_u32_e32 0, v94
	s_cbranch_execz .LBB2_5898
; %bb.5893:                             ;   in Loop: Header=BB2_5547 Depth=3
	v_bfe_u32 v92, v94, 23, 8
	v_and_b32_e32 v95, 0x7fffff, v94
	v_sub_nc_u32_e32 v104, 0x70, v92
	v_cmp_gt_u32_e32 vcc_lo, 0x71, v92
	v_or_b32_e32 v105, 0x800000, v95
	v_cndmask_b32_e32 v104, 0, v104, vcc_lo
	v_cmp_eq_u32_e32 vcc_lo, 0, v92
	v_add_nc_u32_e32 v92, 0xffffff91, v92
	v_cndmask_b32_e64 v104, v104, 0x6f, vcc_lo
	v_cndmask_b32_e32 v95, v105, v95, vcc_lo
	v_cndmask_b32_e64 v92, v92, 0xffffff92, vcc_lo
	v_lshl_add_u32 v105, 0x200000, v104, -1
	v_lshrrev_b32_e32 v106, v104, v95
	v_lshlrev_b32_e64 v108, v104, 0x100000
	v_add_nc_u32_e32 v104, v104, v92
	v_and_b32_e32 v95, v105, v95
	v_bfe_u32 v107, v106, 21, 1
	v_cmp_eq_u32_e64 s17, v95, v108
	v_add_nc_u32_e32 v105, -1, v107
	v_cndmask_b32_e64 v95, 0, v105, s17
	v_lshrrev_b32_e32 v105, 23, v106
	s_mov_b32 s17, exec_lo
	v_add_nc_u32_e32 v95, v95, v106
	v_xor_b32_e32 v105, 1, v105
	v_and_b32_e32 v92, 0x1fffff, v95
	v_add_nc_u32_e32 v95, v92, v106
                                        ; implicit-def: $vgpr92
	v_cmpx_ne_u32_e64 v104, v105
	s_xor_b32 s17, exec_lo, s17
; %bb.5894:                             ;   in Loop: Header=BB2_5547 Depth=3
	v_cmp_lt_u32_e32 vcc_lo, 0xffffff, v95
	v_sub_nc_u32_e32 v92, v104, v105
	v_cndmask_b32_e64 v104, 0, 1, vcc_lo
	v_add_co_ci_u32_e64 v92, null, 0, v92, vcc_lo
	v_lshrrev_b32_e32 v95, v104, v95
; %bb.5895:                             ;   in Loop: Header=BB2_5547 Depth=3
	s_andn2_saveexec_b32 s17, s17
; %bb.5896:                             ;   in Loop: Header=BB2_5547 Depth=3
	v_bfe_u32 v92, v95, 23, 1
; %bb.5897:                             ;   in Loop: Header=BB2_5547 Depth=3
	s_or_b32 exec_lo, exec_lo, s17
	v_lshrrev_b32_e32 v95, 21, v95
	v_min_i32_e32 v104, 31, v92
	v_cmp_gt_i32_e32 vcc_lo, 32, v92
	v_and_b32_sdwa v94, v94, v98 dst_sel:DWORD dst_unused:UNUSED_PAD src0_sel:BYTE_3 src1_sel:DWORD
	v_lshlrev_b32_e32 v104, 2, v104
	v_cndmask_b32_e32 v95, 3, v95, vcc_lo
	v_and_b32_e32 v104, 0xfc, v104
	v_and_b32_e32 v105, 3, v95
	v_or_b32_e32 v92, v92, v95
	v_or3_b32 v94, v94, v104, v105
	v_cmp_ne_u32_e32 vcc_lo, 0, v92
	v_lshlrev_b32_e32 v94, 8, v94
	v_cndmask_b32_e32 v92, 0, v94, vcc_lo
.LBB2_5898:                             ;   in Loop: Header=BB2_5547 Depth=3
	s_or_b32 exec_lo, exec_lo, s74
.LBB2_5899:                             ;   in Loop: Header=BB2_5547 Depth=3
	s_or_b32 exec_lo, exec_lo, s73
	v_or_b32_e32 v91, v91, v88
	s_mov_b32 s17, 0
	v_cmp_gt_i16_sdwa s73, v91, v97 src0_sel:BYTE_0 src1_sel:DWORD
	s_and_saveexec_b32 s74, s73
	s_xor_b32 s73, exec_lo, s74
	s_cbranch_execz .LBB2_6153
; %bb.5900:                             ;   in Loop: Header=BB2_5547 Depth=3
	v_cmp_eq_u16_sdwa s75, v91, v98 src0_sel:BYTE_0 src1_sel:DWORD
	s_mov_b32 s17, -1
	s_and_saveexec_b32 s74, s75
; %bb.5901:                             ;   in Loop: Header=BB2_5547 Depth=3
	s_xor_b32 s17, exec_lo, -1
; %bb.5902:                             ;   in Loop: Header=BB2_5547 Depth=3
	s_or_b32 exec_lo, exec_lo, s74
	s_and_b32 s17, s17, exec_lo
	s_or_saveexec_b32 s73, s73
	v_mov_b32_e32 v88, 0x7f800001
	s_xor_b32 exec_lo, exec_lo, s73
	s_cbranch_execnz .LBB2_6154
.LBB2_5903:                             ;   in Loop: Header=BB2_5547 Depth=3
	s_or_b32 exec_lo, exec_lo, s73
	v_lshl_or_b32 v91, v91, 16, v93
	s_and_saveexec_b32 s73, s17
	s_cbranch_execz .LBB2_5905
.LBB2_5904:                             ;   in Loop: Header=BB2_5547 Depth=3
	v_bfe_u32 v88, v91, 16, 2
	v_bfe_u32 v95, v91, 18, 5
	v_lshlrev_b32_e32 v104, 8, v91
	v_ffbh_u32_e32 v93, v88
	v_cmp_eq_u32_e32 vcc_lo, 0, v95
	v_min_u32_e32 v93, 32, v93
	v_subrev_nc_u32_e32 v94, 29, v93
	v_sub_nc_u32_e32 v93, 30, v93
	v_lshlrev_b32_sdwa v94, v94, v91 dst_sel:DWORD dst_unused:UNUSED_PAD src0_sel:DWORD src1_sel:WORD_1
	v_cndmask_b32_e32 v93, v95, v93, vcc_lo
	v_and_b32_e32 v94, 3, v94
	v_lshl_add_u32 v93, v93, 23, 0x37800000
	v_cndmask_b32_e32 v88, v88, v94, vcc_lo
	v_and_b32_e32 v94, 0x80000000, v104
	v_lshlrev_b32_e32 v88, 21, v88
	v_or3_b32 v88, v94, v93, v88
.LBB2_5905:                             ;   in Loop: Header=BB2_5547 Depth=3
	s_or_b32 exec_lo, exec_lo, s73
	v_and_b32_sdwa v94, v9, v101 dst_sel:DWORD dst_unused:UNUSED_PAD src0_sel:WORD_1 src1_sel:DWORD
	s_mov_b32 s17, 0
	s_mov_b32 s73, exec_lo
	v_cmpx_lt_i16_e32 0x7f, v94
	s_xor_b32 s73, exec_lo, s73
	s_cbranch_execz .LBB2_6155
; %bb.5906:                             ;   in Loop: Header=BB2_5547 Depth=3
	s_mov_b32 s17, -1
	s_mov_b32 s74, exec_lo
	v_cmpx_eq_u16_e32 0x80, v94
; %bb.5907:                             ;   in Loop: Header=BB2_5547 Depth=3
	s_xor_b32 s17, exec_lo, -1
; %bb.5908:                             ;   in Loop: Header=BB2_5547 Depth=3
	s_or_b32 exec_lo, exec_lo, s74
	s_and_b32 s17, s17, exec_lo
                                        ; implicit-def: $vgpr94
	s_or_saveexec_b32 s73, s73
	v_mov_b32_e32 v93, 0x7f800001
	s_xor_b32 exec_lo, exec_lo, s73
	s_cbranch_execnz .LBB2_6156
.LBB2_5909:                             ;   in Loop: Header=BB2_5547 Depth=3
	s_or_b32 exec_lo, exec_lo, s73
	s_and_saveexec_b32 s73, s17
	s_cbranch_execz .LBB2_5911
.LBB2_5910:                             ;   in Loop: Header=BB2_5547 Depth=3
	v_and_b32_sdwa v93, v9, v103 dst_sel:DWORD dst_unused:UNUSED_PAD src0_sel:WORD_1 src1_sel:DWORD
	v_bfe_u32 v104, v9, 18, 5
	v_lshlrev_b32_sdwa v105, v100, v9 dst_sel:DWORD dst_unused:UNUSED_PAD src0_sel:DWORD src1_sel:WORD_1
	v_ffbh_u32_e32 v94, v93
	v_cmp_eq_u32_e32 vcc_lo, 0, v104
	v_min_u32_e32 v94, 32, v94
	v_subrev_nc_u32_e32 v95, 29, v94
	v_sub_nc_u32_e32 v94, 30, v94
	v_lshlrev_b32_sdwa v95, v95, v9 dst_sel:DWORD dst_unused:UNUSED_PAD src0_sel:DWORD src1_sel:WORD_1
	v_cndmask_b32_e32 v94, v104, v94, vcc_lo
	v_and_b32_e32 v95, 3, v95
	v_lshl_add_u32 v94, v94, 23, 0x37800000
	v_cndmask_b32_e32 v93, v93, v95, vcc_lo
	v_and_b32_e32 v95, 0x80000000, v105
	v_lshlrev_b32_e32 v93, 21, v93
	v_or3_b32 v93, v95, v94, v93
.LBB2_5911:                             ;   in Loop: Header=BB2_5547 Depth=3
	s_or_b32 exec_lo, exec_lo, s73
	v_add_f32_e32 v93, v88, v93
	v_and_b32_e32 v88, 0x7f800000, v93
	v_cmp_ne_u32_e32 vcc_lo, 0x7f800000, v88
	v_mov_b32_e32 v88, 0x80
	s_and_saveexec_b32 s73, vcc_lo
	s_cbranch_execz .LBB2_5919
; %bb.5912:                             ;   in Loop: Header=BB2_5547 Depth=3
	v_mov_b32_e32 v88, 0
	s_mov_b32 s74, exec_lo
	v_cmpx_ne_u32_e32 0, v93
	s_cbranch_execz .LBB2_5918
; %bb.5913:                             ;   in Loop: Header=BB2_5547 Depth=3
	v_bfe_u32 v88, v93, 23, 8
	v_and_b32_e32 v94, 0x7fffff, v93
	v_sub_nc_u32_e32 v95, 0x70, v88
	v_cmp_gt_u32_e32 vcc_lo, 0x71, v88
	v_or_b32_e32 v104, 0x800000, v94
	v_cndmask_b32_e32 v95, 0, v95, vcc_lo
	v_cmp_eq_u32_e32 vcc_lo, 0, v88
	v_add_nc_u32_e32 v88, 0xffffff91, v88
	v_cndmask_b32_e64 v95, v95, 0x6f, vcc_lo
	v_cndmask_b32_e32 v94, v104, v94, vcc_lo
	v_cndmask_b32_e64 v88, v88, 0xffffff92, vcc_lo
	v_lshl_add_u32 v104, 0x200000, v95, -1
	v_lshrrev_b32_e32 v105, v95, v94
	v_lshlrev_b32_e64 v107, v95, 0x100000
	v_add_nc_u32_e32 v95, v95, v88
	v_and_b32_e32 v94, v104, v94
	v_bfe_u32 v106, v105, 21, 1
	v_cmp_eq_u32_e64 s17, v94, v107
	v_add_nc_u32_e32 v104, -1, v106
	v_cndmask_b32_e64 v94, 0, v104, s17
	v_lshrrev_b32_e32 v104, 23, v105
	s_mov_b32 s17, exec_lo
	v_add_nc_u32_e32 v94, v94, v105
	v_xor_b32_e32 v104, 1, v104
	v_and_b32_e32 v88, 0x1fffff, v94
	v_add_nc_u32_e32 v94, v88, v105
                                        ; implicit-def: $vgpr88
	v_cmpx_ne_u32_e64 v95, v104
	s_xor_b32 s17, exec_lo, s17
; %bb.5914:                             ;   in Loop: Header=BB2_5547 Depth=3
	v_cmp_lt_u32_e32 vcc_lo, 0xffffff, v94
	v_sub_nc_u32_e32 v88, v95, v104
	v_cndmask_b32_e64 v95, 0, 1, vcc_lo
	v_add_co_ci_u32_e64 v88, null, 0, v88, vcc_lo
	v_lshrrev_b32_e32 v94, v95, v94
; %bb.5915:                             ;   in Loop: Header=BB2_5547 Depth=3
	s_andn2_saveexec_b32 s17, s17
; %bb.5916:                             ;   in Loop: Header=BB2_5547 Depth=3
	v_bfe_u32 v88, v94, 23, 1
; %bb.5917:                             ;   in Loop: Header=BB2_5547 Depth=3
	s_or_b32 exec_lo, exec_lo, s17
	v_lshrrev_b32_e32 v94, 21, v94
	v_min_i32_e32 v95, 31, v88
	v_cmp_gt_i32_e32 vcc_lo, 32, v88
	v_and_b32_sdwa v93, v93, v98 dst_sel:DWORD dst_unused:UNUSED_PAD src0_sel:BYTE_3 src1_sel:DWORD
	v_lshlrev_b32_e32 v95, 2, v95
	v_cndmask_b32_e32 v94, 3, v94, vcc_lo
	v_and_b32_e32 v95, 0xfc, v95
	v_and_b32_e32 v104, 3, v94
	v_or_b32_e32 v88, v88, v94
	v_or3_b32 v93, v95, v93, v104
	v_cmp_ne_u32_e32 vcc_lo, 0, v88
	v_cndmask_b32_e32 v88, 0, v93, vcc_lo
.LBB2_5918:                             ;   in Loop: Header=BB2_5547 Depth=3
	s_or_b32 exec_lo, exec_lo, s74
.LBB2_5919:                             ;   in Loop: Header=BB2_5547 Depth=3
	s_or_b32 exec_lo, exec_lo, s73
	v_cmp_gt_i16_sdwa s73, v91, v97 src0_sel:BYTE_3 src1_sel:DWORD
	s_mov_b32 s17, 0
	s_and_saveexec_b32 s74, s73
	s_xor_b32 s73, exec_lo, s74
	s_cbranch_execz .LBB2_6157
; %bb.5920:                             ;   in Loop: Header=BB2_5547 Depth=3
	v_cmp_eq_u16_sdwa s75, v91, v98 src0_sel:BYTE_3 src1_sel:DWORD
	s_mov_b32 s17, -1
	s_and_saveexec_b32 s74, s75
; %bb.5921:                             ;   in Loop: Header=BB2_5547 Depth=3
	s_xor_b32 s17, exec_lo, -1
; %bb.5922:                             ;   in Loop: Header=BB2_5547 Depth=3
	s_or_b32 exec_lo, exec_lo, s74
	s_and_b32 s17, s17, exec_lo
	s_or_saveexec_b32 s73, s73
	v_mov_b32_e32 v93, 0x7f800001
	s_xor_b32 exec_lo, exec_lo, s73
	s_cbranch_execnz .LBB2_6158
.LBB2_5923:                             ;   in Loop: Header=BB2_5547 Depth=3
	s_or_b32 exec_lo, exec_lo, s73
	s_and_saveexec_b32 s73, s17
	s_cbranch_execz .LBB2_5925
.LBB2_5924:                             ;   in Loop: Header=BB2_5547 Depth=3
	v_bfe_u32 v93, v91, 24, 2
	v_bfe_u32 v104, v91, 26, 5
	v_ffbh_u32_e32 v94, v93
	v_cmp_eq_u32_e32 vcc_lo, 0, v104
	v_min_u32_e32 v94, 32, v94
	v_subrev_nc_u32_e32 v95, 29, v94
	v_sub_nc_u32_e32 v94, 30, v94
	v_lshlrev_b32_sdwa v95, v95, v91 dst_sel:DWORD dst_unused:UNUSED_PAD src0_sel:DWORD src1_sel:BYTE_3
	v_cndmask_b32_e32 v94, v104, v94, vcc_lo
	v_and_b32_e32 v91, 0x80000000, v91
	v_and_b32_e32 v95, 3, v95
	v_lshl_add_u32 v94, v94, 23, 0x37800000
	v_cndmask_b32_e32 v93, v93, v95, vcc_lo
	v_lshlrev_b32_e32 v93, 21, v93
	v_or3_b32 v93, v91, v94, v93
.LBB2_5925:                             ;   in Loop: Header=BB2_5547 Depth=3
	s_or_b32 exec_lo, exec_lo, s73
	v_cmp_gt_i16_sdwa s73, v9, v97 src0_sel:BYTE_3 src1_sel:DWORD
	s_mov_b32 s17, 0
	s_and_saveexec_b32 s74, s73
	s_xor_b32 s73, exec_lo, s74
	s_cbranch_execz .LBB2_6159
; %bb.5926:                             ;   in Loop: Header=BB2_5547 Depth=3
	v_cmp_eq_u16_sdwa s75, v9, v98 src0_sel:BYTE_3 src1_sel:DWORD
	s_mov_b32 s17, -1
	s_and_saveexec_b32 s74, s75
; %bb.5927:                             ;   in Loop: Header=BB2_5547 Depth=3
	s_xor_b32 s17, exec_lo, -1
; %bb.5928:                             ;   in Loop: Header=BB2_5547 Depth=3
	s_or_b32 exec_lo, exec_lo, s74
	s_and_b32 s17, s17, exec_lo
	s_or_saveexec_b32 s73, s73
	v_mov_b32_e32 v91, 0x7f800001
	s_xor_b32 exec_lo, exec_lo, s73
	s_cbranch_execnz .LBB2_6160
.LBB2_5929:                             ;   in Loop: Header=BB2_5547 Depth=3
	s_or_b32 exec_lo, exec_lo, s73
	s_and_saveexec_b32 s73, s17
	s_cbranch_execz .LBB2_5931
.LBB2_5930:                             ;   in Loop: Header=BB2_5547 Depth=3
	v_and_b32_sdwa v91, v9, v103 dst_sel:DWORD dst_unused:UNUSED_PAD src0_sel:BYTE_3 src1_sel:DWORD
	v_bfe_u32 v104, v9, 26, 5
	v_ffbh_u32_e32 v94, v91
	v_cmp_eq_u32_e32 vcc_lo, 0, v104
	v_min_u32_e32 v94, 32, v94
	v_subrev_nc_u32_e32 v95, 29, v94
	v_sub_nc_u32_e32 v94, 30, v94
	v_lshlrev_b32_sdwa v95, v95, v9 dst_sel:DWORD dst_unused:UNUSED_PAD src0_sel:DWORD src1_sel:BYTE_3
	v_cndmask_b32_e32 v94, v104, v94, vcc_lo
	v_and_b32_e32 v9, 0x80000000, v9
	v_and_b32_e32 v95, 3, v95
	v_lshl_add_u32 v94, v94, 23, 0x37800000
	v_cndmask_b32_e32 v91, v91, v95, vcc_lo
	v_lshlrev_b32_e32 v91, 21, v91
	v_or3_b32 v91, v9, v94, v91
.LBB2_5931:                             ;   in Loop: Header=BB2_5547 Depth=3
	s_or_b32 exec_lo, exec_lo, s73
	v_add_f32_e32 v91, v93, v91
	v_and_b32_e32 v9, 0x7f800000, v91
	v_cmp_ne_u32_e32 vcc_lo, 0x7f800000, v9
	v_mov_b32_e32 v9, 0x8000
	s_and_saveexec_b32 s73, vcc_lo
	s_cbranch_execz .LBB2_5939
; %bb.5932:                             ;   in Loop: Header=BB2_5547 Depth=3
	v_mov_b32_e32 v9, 0
	s_mov_b32 s74, exec_lo
	v_cmpx_ne_u32_e32 0, v91
	s_cbranch_execz .LBB2_5938
; %bb.5933:                             ;   in Loop: Header=BB2_5547 Depth=3
	v_bfe_u32 v9, v91, 23, 8
	v_and_b32_e32 v93, 0x7fffff, v91
	v_sub_nc_u32_e32 v94, 0x70, v9
	v_cmp_gt_u32_e32 vcc_lo, 0x71, v9
	v_or_b32_e32 v95, 0x800000, v93
	v_cndmask_b32_e32 v94, 0, v94, vcc_lo
	v_cmp_eq_u32_e32 vcc_lo, 0, v9
	v_add_nc_u32_e32 v9, 0xffffff91, v9
	v_cndmask_b32_e64 v94, v94, 0x6f, vcc_lo
	v_cndmask_b32_e32 v93, v95, v93, vcc_lo
	v_cndmask_b32_e64 v9, v9, 0xffffff92, vcc_lo
	v_lshl_add_u32 v95, 0x200000, v94, -1
	v_lshrrev_b32_e32 v104, v94, v93
	v_lshlrev_b32_e64 v106, v94, 0x100000
	v_add_nc_u32_e32 v94, v94, v9
	v_and_b32_e32 v93, v95, v93
	v_bfe_u32 v105, v104, 21, 1
	v_cmp_eq_u32_e64 s17, v93, v106
	v_add_nc_u32_e32 v95, -1, v105
	v_cndmask_b32_e64 v93, 0, v95, s17
	v_lshrrev_b32_e32 v95, 23, v104
	s_mov_b32 s17, exec_lo
	v_add_nc_u32_e32 v93, v93, v104
	v_xor_b32_e32 v95, 1, v95
	v_and_b32_e32 v9, 0x1fffff, v93
	v_add_nc_u32_e32 v93, v9, v104
                                        ; implicit-def: $vgpr9
	v_cmpx_ne_u32_e64 v94, v95
	s_xor_b32 s17, exec_lo, s17
; %bb.5934:                             ;   in Loop: Header=BB2_5547 Depth=3
	v_cmp_lt_u32_e32 vcc_lo, 0xffffff, v93
	v_sub_nc_u32_e32 v9, v94, v95
	v_cndmask_b32_e64 v94, 0, 1, vcc_lo
	v_add_co_ci_u32_e64 v9, null, 0, v9, vcc_lo
	v_lshrrev_b32_e32 v93, v94, v93
; %bb.5935:                             ;   in Loop: Header=BB2_5547 Depth=3
	s_andn2_saveexec_b32 s17, s17
; %bb.5936:                             ;   in Loop: Header=BB2_5547 Depth=3
	v_bfe_u32 v9, v93, 23, 1
; %bb.5937:                             ;   in Loop: Header=BB2_5547 Depth=3
	s_or_b32 exec_lo, exec_lo, s17
	v_lshrrev_b32_e32 v93, 21, v93
	v_min_i32_e32 v94, 31, v9
	v_cmp_gt_i32_e32 vcc_lo, 32, v9
	v_and_b32_sdwa v91, v91, v98 dst_sel:DWORD dst_unused:UNUSED_PAD src0_sel:BYTE_3 src1_sel:DWORD
	v_lshlrev_b32_e32 v94, 2, v94
	v_cndmask_b32_e32 v93, 3, v93, vcc_lo
	v_and_b32_e32 v94, 0xfc, v94
	v_and_b32_e32 v95, 3, v93
	v_or_b32_e32 v9, v9, v93
	v_or3_b32 v91, v91, v94, v95
	v_cmp_ne_u32_e32 vcc_lo, 0, v9
	v_lshlrev_b32_e32 v91, 8, v91
	v_cndmask_b32_e32 v9, 0, v91, vcc_lo
.LBB2_5938:                             ;   in Loop: Header=BB2_5547 Depth=3
	s_or_b32 exec_lo, exec_lo, s74
.LBB2_5939:                             ;   in Loop: Header=BB2_5547 Depth=3
	s_or_b32 exec_lo, exec_lo, s73
	v_or_b32_e32 v91, v89, v77
	s_mov_b32 s17, 0
	v_cmp_gt_i16_sdwa s73, v91, v97 src0_sel:BYTE_0 src1_sel:DWORD
	s_and_saveexec_b32 s74, s73
	s_xor_b32 s73, exec_lo, s74
	s_cbranch_execz .LBB2_6161
; %bb.5940:                             ;   in Loop: Header=BB2_5547 Depth=3
	v_cmp_eq_u16_sdwa s75, v91, v98 src0_sel:BYTE_0 src1_sel:DWORD
	s_mov_b32 s17, -1
	s_and_saveexec_b32 s74, s75
; %bb.5941:                             ;   in Loop: Header=BB2_5547 Depth=3
	s_xor_b32 s17, exec_lo, -1
; %bb.5942:                             ;   in Loop: Header=BB2_5547 Depth=3
	s_or_b32 exec_lo, exec_lo, s74
	s_and_b32 s17, s17, exec_lo
	s_or_saveexec_b32 s73, s73
	v_mov_b32_e32 v77, 0x7f800001
	s_xor_b32 exec_lo, exec_lo, s73
	s_cbranch_execnz .LBB2_6162
.LBB2_5943:                             ;   in Loop: Header=BB2_5547 Depth=3
	s_or_b32 exec_lo, exec_lo, s73
	s_and_saveexec_b32 s73, s17
	s_cbranch_execz .LBB2_5945
.LBB2_5944:                             ;   in Loop: Header=BB2_5547 Depth=3
	v_and_b32_e32 v77, 3, v91
	v_bfe_u32 v94, v91, 2, 5
	v_lshlrev_b32_e32 v95, 24, v91
	v_ffbh_u32_e32 v89, v77
	v_cmp_eq_u32_e32 vcc_lo, 0, v94
	v_min_u32_e32 v89, 32, v89
	v_subrev_nc_u32_e32 v93, 29, v89
	v_sub_nc_u32_e32 v89, 30, v89
	v_lshlrev_b32_e32 v93, v93, v91
	v_cndmask_b32_e32 v89, v94, v89, vcc_lo
	v_and_b32_e32 v93, 3, v93
	v_lshl_add_u32 v89, v89, 23, 0x37800000
	v_cndmask_b32_e32 v77, v77, v93, vcc_lo
	v_and_b32_e32 v93, 0x80000000, v95
	v_lshlrev_b32_e32 v77, 21, v77
	v_or3_b32 v77, v93, v89, v77
.LBB2_5945:                             ;   in Loop: Header=BB2_5547 Depth=3
	s_or_b32 exec_lo, exec_lo, s73
	v_cmp_gt_i16_sdwa s73, v10, v97 src0_sel:BYTE_0 src1_sel:DWORD
	s_mov_b32 s17, 0
	s_and_saveexec_b32 s74, s73
	s_xor_b32 s73, exec_lo, s74
	s_cbranch_execz .LBB2_6163
; %bb.5946:                             ;   in Loop: Header=BB2_5547 Depth=3
	v_cmp_eq_u16_sdwa s75, v10, v98 src0_sel:BYTE_0 src1_sel:DWORD
	s_mov_b32 s17, -1
	s_and_saveexec_b32 s74, s75
; %bb.5947:                             ;   in Loop: Header=BB2_5547 Depth=3
	s_xor_b32 s17, exec_lo, -1
; %bb.5948:                             ;   in Loop: Header=BB2_5547 Depth=3
	s_or_b32 exec_lo, exec_lo, s74
	s_and_b32 s17, s17, exec_lo
	s_or_saveexec_b32 s73, s73
	v_mov_b32_e32 v89, 0x7f800001
	s_xor_b32 exec_lo, exec_lo, s73
	s_cbranch_execnz .LBB2_6164
.LBB2_5949:                             ;   in Loop: Header=BB2_5547 Depth=3
	s_or_b32 exec_lo, exec_lo, s73
	s_and_saveexec_b32 s73, s17
	s_cbranch_execz .LBB2_5951
.LBB2_5950:                             ;   in Loop: Header=BB2_5547 Depth=3
	v_and_b32_e32 v89, 3, v10
	v_bfe_u32 v95, v10, 2, 5
	v_lshlrev_b32_e32 v104, 24, v10
	v_ffbh_u32_e32 v93, v89
	v_cmp_eq_u32_e32 vcc_lo, 0, v95
	v_min_u32_e32 v93, 32, v93
	v_subrev_nc_u32_e32 v94, 29, v93
	v_sub_nc_u32_e32 v93, 30, v93
	v_lshlrev_b32_e32 v94, v94, v10
	v_cndmask_b32_e32 v93, v95, v93, vcc_lo
	v_and_b32_e32 v94, 3, v94
	v_lshl_add_u32 v93, v93, 23, 0x37800000
	v_cndmask_b32_e32 v89, v89, v94, vcc_lo
	v_and_b32_e32 v94, 0x80000000, v104
	v_lshlrev_b32_e32 v89, 21, v89
	v_or3_b32 v89, v94, v93, v89
.LBB2_5951:                             ;   in Loop: Header=BB2_5547 Depth=3
	s_or_b32 exec_lo, exec_lo, s73
	v_add_f32_e32 v89, v77, v89
	v_and_b32_e32 v77, 0x7f800000, v89
	v_cmp_ne_u32_e32 vcc_lo, 0x7f800000, v77
	v_mov_b32_e32 v77, 0x80
	s_and_saveexec_b32 s73, vcc_lo
	s_cbranch_execz .LBB2_5959
; %bb.5952:                             ;   in Loop: Header=BB2_5547 Depth=3
	v_mov_b32_e32 v77, 0
	s_mov_b32 s74, exec_lo
	v_cmpx_ne_u32_e32 0, v89
	s_cbranch_execz .LBB2_5958
; %bb.5953:                             ;   in Loop: Header=BB2_5547 Depth=3
	v_bfe_u32 v77, v89, 23, 8
	v_and_b32_e32 v93, 0x7fffff, v89
	v_sub_nc_u32_e32 v94, 0x70, v77
	v_cmp_gt_u32_e32 vcc_lo, 0x71, v77
	v_or_b32_e32 v95, 0x800000, v93
	v_cndmask_b32_e32 v94, 0, v94, vcc_lo
	v_cmp_eq_u32_e32 vcc_lo, 0, v77
	v_add_nc_u32_e32 v77, 0xffffff91, v77
	v_cndmask_b32_e64 v94, v94, 0x6f, vcc_lo
	v_cndmask_b32_e32 v93, v95, v93, vcc_lo
	v_cndmask_b32_e64 v77, v77, 0xffffff92, vcc_lo
	v_lshl_add_u32 v95, 0x200000, v94, -1
	v_lshrrev_b32_e32 v104, v94, v93
	v_lshlrev_b32_e64 v106, v94, 0x100000
	v_add_nc_u32_e32 v94, v94, v77
	v_and_b32_e32 v93, v95, v93
	v_bfe_u32 v105, v104, 21, 1
	v_cmp_eq_u32_e64 s17, v93, v106
	v_add_nc_u32_e32 v95, -1, v105
	v_cndmask_b32_e64 v93, 0, v95, s17
	v_lshrrev_b32_e32 v95, 23, v104
	s_mov_b32 s17, exec_lo
	v_add_nc_u32_e32 v93, v93, v104
	v_xor_b32_e32 v95, 1, v95
	v_and_b32_e32 v77, 0x1fffff, v93
	v_add_nc_u32_e32 v93, v77, v104
                                        ; implicit-def: $vgpr77
	v_cmpx_ne_u32_e64 v94, v95
	s_xor_b32 s17, exec_lo, s17
; %bb.5954:                             ;   in Loop: Header=BB2_5547 Depth=3
	v_cmp_lt_u32_e32 vcc_lo, 0xffffff, v93
	v_sub_nc_u32_e32 v77, v94, v95
	v_cndmask_b32_e64 v94, 0, 1, vcc_lo
	v_add_co_ci_u32_e64 v77, null, 0, v77, vcc_lo
	v_lshrrev_b32_e32 v93, v94, v93
; %bb.5955:                             ;   in Loop: Header=BB2_5547 Depth=3
	s_andn2_saveexec_b32 s17, s17
; %bb.5956:                             ;   in Loop: Header=BB2_5547 Depth=3
	v_bfe_u32 v77, v93, 23, 1
; %bb.5957:                             ;   in Loop: Header=BB2_5547 Depth=3
	s_or_b32 exec_lo, exec_lo, s17
	v_lshrrev_b32_e32 v93, 21, v93
	v_min_i32_e32 v94, 31, v77
	v_cmp_gt_i32_e32 vcc_lo, 32, v77
	v_and_b32_sdwa v89, v89, v98 dst_sel:DWORD dst_unused:UNUSED_PAD src0_sel:BYTE_3 src1_sel:DWORD
	v_lshlrev_b32_e32 v94, 2, v94
	v_cndmask_b32_e32 v93, 3, v93, vcc_lo
	v_and_b32_e32 v94, 0xfc, v94
	v_and_b32_e32 v95, 3, v93
	v_or_b32_e32 v77, v77, v93
	v_or3_b32 v89, v94, v89, v95
	v_cmp_ne_u32_e32 vcc_lo, 0, v77
	v_cndmask_b32_e32 v77, 0, v89, vcc_lo
.LBB2_5958:                             ;   in Loop: Header=BB2_5547 Depth=3
	s_or_b32 exec_lo, exec_lo, s74
.LBB2_5959:                             ;   in Loop: Header=BB2_5547 Depth=3
	s_or_b32 exec_lo, exec_lo, s73
	v_cmp_gt_i16_sdwa s73, v91, v97 src0_sel:BYTE_1 src1_sel:DWORD
	s_mov_b32 s17, 0
	s_and_saveexec_b32 s74, s73
	s_xor_b32 s73, exec_lo, s74
	s_cbranch_execz .LBB2_6165
; %bb.5960:                             ;   in Loop: Header=BB2_5547 Depth=3
	v_cmp_eq_u16_sdwa s75, v91, v98 src0_sel:BYTE_1 src1_sel:DWORD
	s_mov_b32 s17, -1
	s_and_saveexec_b32 s74, s75
; %bb.5961:                             ;   in Loop: Header=BB2_5547 Depth=3
	s_xor_b32 s17, exec_lo, -1
; %bb.5962:                             ;   in Loop: Header=BB2_5547 Depth=3
	s_or_b32 exec_lo, exec_lo, s74
	s_and_b32 s17, s17, exec_lo
	s_or_saveexec_b32 s73, s73
	v_mov_b32_e32 v89, 0x7f800001
	s_xor_b32 exec_lo, exec_lo, s73
	s_cbranch_execnz .LBB2_6166
.LBB2_5963:                             ;   in Loop: Header=BB2_5547 Depth=3
	s_or_b32 exec_lo, exec_lo, s73
	s_and_saveexec_b32 s73, s17
	s_cbranch_execz .LBB2_5965
.LBB2_5964:                             ;   in Loop: Header=BB2_5547 Depth=3
	v_and_b32_sdwa v89, v99, v91 dst_sel:DWORD dst_unused:UNUSED_PAD src0_sel:DWORD src1_sel:BYTE_1
	v_and_b32_e32 v93, 3, v89
	v_bfe_u32 v104, v89, 2, 5
	v_ffbh_u32_e32 v94, v93
	v_cmp_eq_u32_e32 vcc_lo, 0, v104
	v_min_u32_e32 v94, 32, v94
	v_subrev_nc_u32_e32 v95, 29, v94
	v_sub_nc_u32_e32 v94, 30, v94
	v_lshlrev_b32_e32 v89, v95, v89
	v_lshlrev_b32_sdwa v95, v100, v91 dst_sel:DWORD dst_unused:UNUSED_PAD src0_sel:DWORD src1_sel:BYTE_1
	v_cndmask_b32_e32 v94, v104, v94, vcc_lo
	v_and_b32_e32 v89, 3, v89
	v_lshl_add_u32 v94, v94, 23, 0x37800000
	v_cndmask_b32_e32 v89, v93, v89, vcc_lo
	v_and_b32_e32 v93, 0x80000000, v95
	v_lshlrev_b32_e32 v89, 21, v89
	v_or3_b32 v89, v93, v94, v89
.LBB2_5965:                             ;   in Loop: Header=BB2_5547 Depth=3
	s_or_b32 exec_lo, exec_lo, s73
	v_cmp_gt_i16_sdwa s73, v10, v97 src0_sel:BYTE_1 src1_sel:DWORD
	s_mov_b32 s17, 0
	s_and_saveexec_b32 s74, s73
	s_xor_b32 s73, exec_lo, s74
	s_cbranch_execz .LBB2_6167
; %bb.5966:                             ;   in Loop: Header=BB2_5547 Depth=3
	v_cmp_eq_u16_sdwa s75, v10, v98 src0_sel:BYTE_1 src1_sel:DWORD
	s_mov_b32 s17, -1
	s_and_saveexec_b32 s74, s75
; %bb.5967:                             ;   in Loop: Header=BB2_5547 Depth=3
	s_xor_b32 s17, exec_lo, -1
; %bb.5968:                             ;   in Loop: Header=BB2_5547 Depth=3
	s_or_b32 exec_lo, exec_lo, s74
	s_and_b32 s17, s17, exec_lo
	s_or_saveexec_b32 s73, s73
	v_mov_b32_e32 v93, 0x7f800001
	s_xor_b32 exec_lo, exec_lo, s73
	s_cbranch_execnz .LBB2_6168
.LBB2_5969:                             ;   in Loop: Header=BB2_5547 Depth=3
	s_or_b32 exec_lo, exec_lo, s73
	s_and_saveexec_b32 s73, s17
	s_cbranch_execz .LBB2_5971
.LBB2_5970:                             ;   in Loop: Header=BB2_5547 Depth=3
	v_and_b32_sdwa v93, v99, v10 dst_sel:DWORD dst_unused:UNUSED_PAD src0_sel:DWORD src1_sel:BYTE_1
	v_and_b32_e32 v94, 3, v93
	v_bfe_u32 v105, v93, 2, 5
	v_ffbh_u32_e32 v95, v94
	v_cmp_eq_u32_e32 vcc_lo, 0, v105
	v_min_u32_e32 v95, 32, v95
	v_subrev_nc_u32_e32 v104, 29, v95
	v_sub_nc_u32_e32 v95, 30, v95
	v_lshlrev_b32_e32 v93, v104, v93
	v_lshlrev_b32_sdwa v104, v100, v10 dst_sel:DWORD dst_unused:UNUSED_PAD src0_sel:DWORD src1_sel:BYTE_1
	v_cndmask_b32_e32 v95, v105, v95, vcc_lo
	v_and_b32_e32 v93, 3, v93
	v_lshl_add_u32 v95, v95, 23, 0x37800000
	v_cndmask_b32_e32 v93, v94, v93, vcc_lo
	v_and_b32_e32 v94, 0x80000000, v104
	v_lshlrev_b32_e32 v93, 21, v93
	v_or3_b32 v93, v94, v95, v93
.LBB2_5971:                             ;   in Loop: Header=BB2_5547 Depth=3
	s_or_b32 exec_lo, exec_lo, s73
	v_add_f32_e32 v93, v89, v93
	v_and_b32_e32 v89, 0x7f800000, v93
	v_cmp_ne_u32_e32 vcc_lo, 0x7f800000, v89
	v_mov_b32_e32 v89, 0x8000
	s_and_saveexec_b32 s73, vcc_lo
	s_cbranch_execz .LBB2_5979
; %bb.5972:                             ;   in Loop: Header=BB2_5547 Depth=3
	v_mov_b32_e32 v89, 0
	s_mov_b32 s74, exec_lo
	v_cmpx_ne_u32_e32 0, v93
	s_cbranch_execz .LBB2_5978
; %bb.5973:                             ;   in Loop: Header=BB2_5547 Depth=3
	v_bfe_u32 v89, v93, 23, 8
	v_and_b32_e32 v94, 0x7fffff, v93
	v_sub_nc_u32_e32 v95, 0x70, v89
	v_cmp_gt_u32_e32 vcc_lo, 0x71, v89
	v_or_b32_e32 v104, 0x800000, v94
	v_cndmask_b32_e32 v95, 0, v95, vcc_lo
	v_cmp_eq_u32_e32 vcc_lo, 0, v89
	v_add_nc_u32_e32 v89, 0xffffff91, v89
	v_cndmask_b32_e64 v95, v95, 0x6f, vcc_lo
	v_cndmask_b32_e32 v94, v104, v94, vcc_lo
	v_cndmask_b32_e64 v89, v89, 0xffffff92, vcc_lo
	v_lshl_add_u32 v104, 0x200000, v95, -1
	v_lshrrev_b32_e32 v105, v95, v94
	v_lshlrev_b32_e64 v107, v95, 0x100000
	v_add_nc_u32_e32 v95, v95, v89
	v_and_b32_e32 v94, v104, v94
	v_bfe_u32 v106, v105, 21, 1
	v_cmp_eq_u32_e64 s17, v94, v107
	v_add_nc_u32_e32 v104, -1, v106
	v_cndmask_b32_e64 v94, 0, v104, s17
	v_lshrrev_b32_e32 v104, 23, v105
	s_mov_b32 s17, exec_lo
	v_add_nc_u32_e32 v94, v94, v105
	v_xor_b32_e32 v104, 1, v104
	v_and_b32_e32 v89, 0x1fffff, v94
	v_add_nc_u32_e32 v94, v89, v105
                                        ; implicit-def: $vgpr89
	v_cmpx_ne_u32_e64 v95, v104
	s_xor_b32 s17, exec_lo, s17
; %bb.5974:                             ;   in Loop: Header=BB2_5547 Depth=3
	v_cmp_lt_u32_e32 vcc_lo, 0xffffff, v94
	v_sub_nc_u32_e32 v89, v95, v104
	v_cndmask_b32_e64 v95, 0, 1, vcc_lo
	v_add_co_ci_u32_e64 v89, null, 0, v89, vcc_lo
	v_lshrrev_b32_e32 v94, v95, v94
; %bb.5975:                             ;   in Loop: Header=BB2_5547 Depth=3
	s_andn2_saveexec_b32 s17, s17
; %bb.5976:                             ;   in Loop: Header=BB2_5547 Depth=3
	v_bfe_u32 v89, v94, 23, 1
; %bb.5977:                             ;   in Loop: Header=BB2_5547 Depth=3
	s_or_b32 exec_lo, exec_lo, s17
	v_lshrrev_b32_e32 v94, 21, v94
	v_min_i32_e32 v95, 31, v89
	v_cmp_gt_i32_e32 vcc_lo, 32, v89
	v_and_b32_sdwa v93, v93, v98 dst_sel:DWORD dst_unused:UNUSED_PAD src0_sel:BYTE_3 src1_sel:DWORD
	v_lshlrev_b32_e32 v95, 2, v95
	v_cndmask_b32_e32 v94, 3, v94, vcc_lo
	v_and_b32_e32 v95, 0xfc, v95
	v_and_b32_e32 v104, 3, v94
	v_or_b32_e32 v89, v89, v94
	v_or3_b32 v93, v93, v95, v104
	v_cmp_ne_u32_e32 vcc_lo, 0, v89
	v_lshlrev_b32_e32 v93, 8, v93
	v_cndmask_b32_e32 v89, 0, v93, vcc_lo
.LBB2_5978:                             ;   in Loop: Header=BB2_5547 Depth=3
	s_or_b32 exec_lo, exec_lo, s74
.LBB2_5979:                             ;   in Loop: Header=BB2_5547 Depth=3
	s_or_b32 exec_lo, exec_lo, s73
	v_or_b32_e32 v79, v79, v75
	s_mov_b32 s17, 0
	v_cmp_gt_i16_sdwa s73, v79, v97 src0_sel:BYTE_0 src1_sel:DWORD
	s_and_saveexec_b32 s74, s73
	s_xor_b32 s73, exec_lo, s74
	s_cbranch_execz .LBB2_6169
; %bb.5980:                             ;   in Loop: Header=BB2_5547 Depth=3
	v_cmp_eq_u16_sdwa s75, v79, v98 src0_sel:BYTE_0 src1_sel:DWORD
	s_mov_b32 s17, -1
	s_and_saveexec_b32 s74, s75
; %bb.5981:                             ;   in Loop: Header=BB2_5547 Depth=3
	s_xor_b32 s17, exec_lo, -1
; %bb.5982:                             ;   in Loop: Header=BB2_5547 Depth=3
	s_or_b32 exec_lo, exec_lo, s74
	s_and_b32 s17, s17, exec_lo
	s_or_saveexec_b32 s73, s73
	v_mov_b32_e32 v75, 0x7f800001
	s_xor_b32 exec_lo, exec_lo, s73
	s_cbranch_execnz .LBB2_6170
.LBB2_5983:                             ;   in Loop: Header=BB2_5547 Depth=3
	s_or_b32 exec_lo, exec_lo, s73
	v_lshl_or_b32 v79, v79, 16, v91
	s_and_saveexec_b32 s73, s17
	s_cbranch_execz .LBB2_5985
.LBB2_5984:                             ;   in Loop: Header=BB2_5547 Depth=3
	v_bfe_u32 v75, v79, 16, 2
	v_bfe_u32 v94, v79, 18, 5
	v_lshlrev_b32_e32 v95, 8, v79
	v_ffbh_u32_e32 v91, v75
	v_cmp_eq_u32_e32 vcc_lo, 0, v94
	v_min_u32_e32 v91, 32, v91
	v_subrev_nc_u32_e32 v93, 29, v91
	v_sub_nc_u32_e32 v91, 30, v91
	v_lshlrev_b32_sdwa v93, v93, v79 dst_sel:DWORD dst_unused:UNUSED_PAD src0_sel:DWORD src1_sel:WORD_1
	v_cndmask_b32_e32 v91, v94, v91, vcc_lo
	v_and_b32_e32 v93, 3, v93
	v_lshl_add_u32 v91, v91, 23, 0x37800000
	v_cndmask_b32_e32 v75, v75, v93, vcc_lo
	v_and_b32_e32 v93, 0x80000000, v95
	v_lshlrev_b32_e32 v75, 21, v75
	v_or3_b32 v75, v93, v91, v75
.LBB2_5985:                             ;   in Loop: Header=BB2_5547 Depth=3
	s_or_b32 exec_lo, exec_lo, s73
	v_and_b32_sdwa v93, v10, v101 dst_sel:DWORD dst_unused:UNUSED_PAD src0_sel:WORD_1 src1_sel:DWORD
	s_mov_b32 s17, 0
	s_mov_b32 s73, exec_lo
	v_cmpx_lt_i16_e32 0x7f, v93
	s_xor_b32 s73, exec_lo, s73
	s_cbranch_execz .LBB2_6171
; %bb.5986:                             ;   in Loop: Header=BB2_5547 Depth=3
	s_mov_b32 s17, -1
	s_mov_b32 s74, exec_lo
	v_cmpx_eq_u16_e32 0x80, v93
; %bb.5987:                             ;   in Loop: Header=BB2_5547 Depth=3
	s_xor_b32 s17, exec_lo, -1
; %bb.5988:                             ;   in Loop: Header=BB2_5547 Depth=3
	s_or_b32 exec_lo, exec_lo, s74
	s_and_b32 s17, s17, exec_lo
                                        ; implicit-def: $vgpr93
	s_or_saveexec_b32 s73, s73
	v_mov_b32_e32 v91, 0x7f800001
	s_xor_b32 exec_lo, exec_lo, s73
	s_cbranch_execnz .LBB2_6172
.LBB2_5989:                             ;   in Loop: Header=BB2_5547 Depth=3
	s_or_b32 exec_lo, exec_lo, s73
	s_and_saveexec_b32 s73, s17
	s_cbranch_execz .LBB2_5991
.LBB2_5990:                             ;   in Loop: Header=BB2_5547 Depth=3
	v_and_b32_sdwa v91, v10, v103 dst_sel:DWORD dst_unused:UNUSED_PAD src0_sel:WORD_1 src1_sel:DWORD
	v_bfe_u32 v95, v10, 18, 5
	v_lshlrev_b32_sdwa v104, v100, v10 dst_sel:DWORD dst_unused:UNUSED_PAD src0_sel:DWORD src1_sel:WORD_1
	v_ffbh_u32_e32 v93, v91
	v_cmp_eq_u32_e32 vcc_lo, 0, v95
	v_min_u32_e32 v93, 32, v93
	v_subrev_nc_u32_e32 v94, 29, v93
	v_sub_nc_u32_e32 v93, 30, v93
	v_lshlrev_b32_sdwa v94, v94, v10 dst_sel:DWORD dst_unused:UNUSED_PAD src0_sel:DWORD src1_sel:WORD_1
	v_cndmask_b32_e32 v93, v95, v93, vcc_lo
	v_and_b32_e32 v94, 3, v94
	v_lshl_add_u32 v93, v93, 23, 0x37800000
	v_cndmask_b32_e32 v91, v91, v94, vcc_lo
	v_and_b32_e32 v94, 0x80000000, v104
	v_lshlrev_b32_e32 v91, 21, v91
	v_or3_b32 v91, v94, v93, v91
.LBB2_5991:                             ;   in Loop: Header=BB2_5547 Depth=3
	s_or_b32 exec_lo, exec_lo, s73
	v_add_f32_e32 v91, v75, v91
	v_and_b32_e32 v75, 0x7f800000, v91
	v_cmp_ne_u32_e32 vcc_lo, 0x7f800000, v75
	v_mov_b32_e32 v75, 0x80
	s_and_saveexec_b32 s73, vcc_lo
	s_cbranch_execz .LBB2_5999
; %bb.5992:                             ;   in Loop: Header=BB2_5547 Depth=3
	v_mov_b32_e32 v75, 0
	s_mov_b32 s74, exec_lo
	v_cmpx_ne_u32_e32 0, v91
	s_cbranch_execz .LBB2_5998
; %bb.5993:                             ;   in Loop: Header=BB2_5547 Depth=3
	v_bfe_u32 v75, v91, 23, 8
	v_and_b32_e32 v93, 0x7fffff, v91
	v_sub_nc_u32_e32 v94, 0x70, v75
	v_cmp_gt_u32_e32 vcc_lo, 0x71, v75
	v_or_b32_e32 v95, 0x800000, v93
	v_cndmask_b32_e32 v94, 0, v94, vcc_lo
	v_cmp_eq_u32_e32 vcc_lo, 0, v75
	v_add_nc_u32_e32 v75, 0xffffff91, v75
	v_cndmask_b32_e64 v94, v94, 0x6f, vcc_lo
	v_cndmask_b32_e32 v93, v95, v93, vcc_lo
	v_cndmask_b32_e64 v75, v75, 0xffffff92, vcc_lo
	v_lshl_add_u32 v95, 0x200000, v94, -1
	v_lshrrev_b32_e32 v104, v94, v93
	v_lshlrev_b32_e64 v106, v94, 0x100000
	v_add_nc_u32_e32 v94, v94, v75
	v_and_b32_e32 v93, v95, v93
	v_bfe_u32 v105, v104, 21, 1
	v_cmp_eq_u32_e64 s17, v93, v106
	v_add_nc_u32_e32 v95, -1, v105
	v_cndmask_b32_e64 v93, 0, v95, s17
	v_lshrrev_b32_e32 v95, 23, v104
	s_mov_b32 s17, exec_lo
	v_add_nc_u32_e32 v93, v93, v104
	v_xor_b32_e32 v95, 1, v95
	v_and_b32_e32 v75, 0x1fffff, v93
	v_add_nc_u32_e32 v93, v75, v104
                                        ; implicit-def: $vgpr75
	v_cmpx_ne_u32_e64 v94, v95
	s_xor_b32 s17, exec_lo, s17
; %bb.5994:                             ;   in Loop: Header=BB2_5547 Depth=3
	v_cmp_lt_u32_e32 vcc_lo, 0xffffff, v93
	v_sub_nc_u32_e32 v75, v94, v95
	v_cndmask_b32_e64 v94, 0, 1, vcc_lo
	v_add_co_ci_u32_e64 v75, null, 0, v75, vcc_lo
	v_lshrrev_b32_e32 v93, v94, v93
; %bb.5995:                             ;   in Loop: Header=BB2_5547 Depth=3
	s_andn2_saveexec_b32 s17, s17
; %bb.5996:                             ;   in Loop: Header=BB2_5547 Depth=3
	v_bfe_u32 v75, v93, 23, 1
; %bb.5997:                             ;   in Loop: Header=BB2_5547 Depth=3
	s_or_b32 exec_lo, exec_lo, s17
	v_lshrrev_b32_e32 v93, 21, v93
	v_min_i32_e32 v94, 31, v75
	v_cmp_gt_i32_e32 vcc_lo, 32, v75
	v_and_b32_sdwa v91, v91, v98 dst_sel:DWORD dst_unused:UNUSED_PAD src0_sel:BYTE_3 src1_sel:DWORD
	v_lshlrev_b32_e32 v94, 2, v94
	v_cndmask_b32_e32 v93, 3, v93, vcc_lo
	v_and_b32_e32 v94, 0xfc, v94
	v_and_b32_e32 v95, 3, v93
	v_or_b32_e32 v75, v75, v93
	v_or3_b32 v91, v94, v91, v95
	v_cmp_ne_u32_e32 vcc_lo, 0, v75
	v_cndmask_b32_e32 v75, 0, v91, vcc_lo
.LBB2_5998:                             ;   in Loop: Header=BB2_5547 Depth=3
	s_or_b32 exec_lo, exec_lo, s74
.LBB2_5999:                             ;   in Loop: Header=BB2_5547 Depth=3
	s_or_b32 exec_lo, exec_lo, s73
	v_cmp_gt_i16_sdwa s73, v79, v97 src0_sel:BYTE_3 src1_sel:DWORD
	s_mov_b32 s17, 0
	s_and_saveexec_b32 s74, s73
	s_xor_b32 s73, exec_lo, s74
	s_cbranch_execz .LBB2_6173
; %bb.6000:                             ;   in Loop: Header=BB2_5547 Depth=3
	v_cmp_eq_u16_sdwa s75, v79, v98 src0_sel:BYTE_3 src1_sel:DWORD
	s_mov_b32 s17, -1
	s_and_saveexec_b32 s74, s75
; %bb.6001:                             ;   in Loop: Header=BB2_5547 Depth=3
	s_xor_b32 s17, exec_lo, -1
; %bb.6002:                             ;   in Loop: Header=BB2_5547 Depth=3
	s_or_b32 exec_lo, exec_lo, s74
	s_and_b32 s17, s17, exec_lo
	s_or_saveexec_b32 s73, s73
	v_mov_b32_e32 v91, 0x7f800001
	s_xor_b32 exec_lo, exec_lo, s73
	s_cbranch_execnz .LBB2_6174
.LBB2_6003:                             ;   in Loop: Header=BB2_5547 Depth=3
	s_or_b32 exec_lo, exec_lo, s73
	s_and_saveexec_b32 s73, s17
	s_cbranch_execz .LBB2_6005
.LBB2_6004:                             ;   in Loop: Header=BB2_5547 Depth=3
	v_bfe_u32 v91, v79, 24, 2
	v_bfe_u32 v95, v79, 26, 5
	v_ffbh_u32_e32 v93, v91
	v_cmp_eq_u32_e32 vcc_lo, 0, v95
	v_min_u32_e32 v93, 32, v93
	v_subrev_nc_u32_e32 v94, 29, v93
	v_sub_nc_u32_e32 v93, 30, v93
	v_lshlrev_b32_sdwa v94, v94, v79 dst_sel:DWORD dst_unused:UNUSED_PAD src0_sel:DWORD src1_sel:BYTE_3
	v_cndmask_b32_e32 v93, v95, v93, vcc_lo
	v_and_b32_e32 v79, 0x80000000, v79
	v_and_b32_e32 v94, 3, v94
	v_lshl_add_u32 v93, v93, 23, 0x37800000
	v_cndmask_b32_e32 v91, v91, v94, vcc_lo
	v_lshlrev_b32_e32 v91, 21, v91
	v_or3_b32 v91, v79, v93, v91
.LBB2_6005:                             ;   in Loop: Header=BB2_5547 Depth=3
	s_or_b32 exec_lo, exec_lo, s73
	v_cmp_gt_i16_sdwa s73, v10, v97 src0_sel:BYTE_3 src1_sel:DWORD
	s_mov_b32 s17, 0
	s_and_saveexec_b32 s74, s73
	s_xor_b32 s73, exec_lo, s74
	s_cbranch_execz .LBB2_6175
; %bb.6006:                             ;   in Loop: Header=BB2_5547 Depth=3
	v_cmp_eq_u16_sdwa s75, v10, v98 src0_sel:BYTE_3 src1_sel:DWORD
	s_mov_b32 s17, -1
	s_and_saveexec_b32 s74, s75
; %bb.6007:                             ;   in Loop: Header=BB2_5547 Depth=3
	s_xor_b32 s17, exec_lo, -1
; %bb.6008:                             ;   in Loop: Header=BB2_5547 Depth=3
	s_or_b32 exec_lo, exec_lo, s74
	s_and_b32 s17, s17, exec_lo
	s_or_saveexec_b32 s73, s73
	v_mov_b32_e32 v79, 0x7f800001
	s_xor_b32 exec_lo, exec_lo, s73
	s_cbranch_execnz .LBB2_6176
.LBB2_6009:                             ;   in Loop: Header=BB2_5547 Depth=3
	s_or_b32 exec_lo, exec_lo, s73
	s_and_saveexec_b32 s73, s17
	s_cbranch_execz .LBB2_6011
.LBB2_6010:                             ;   in Loop: Header=BB2_5547 Depth=3
	v_and_b32_sdwa v79, v10, v103 dst_sel:DWORD dst_unused:UNUSED_PAD src0_sel:BYTE_3 src1_sel:DWORD
	v_bfe_u32 v95, v10, 26, 5
	v_ffbh_u32_e32 v93, v79
	v_cmp_eq_u32_e32 vcc_lo, 0, v95
	v_min_u32_e32 v93, 32, v93
	v_subrev_nc_u32_e32 v94, 29, v93
	v_sub_nc_u32_e32 v93, 30, v93
	v_lshlrev_b32_sdwa v94, v94, v10 dst_sel:DWORD dst_unused:UNUSED_PAD src0_sel:DWORD src1_sel:BYTE_3
	v_cndmask_b32_e32 v93, v95, v93, vcc_lo
	v_and_b32_e32 v10, 0x80000000, v10
	v_and_b32_e32 v94, 3, v94
	v_lshl_add_u32 v93, v93, 23, 0x37800000
	v_cndmask_b32_e32 v79, v79, v94, vcc_lo
	v_lshlrev_b32_e32 v79, 21, v79
	v_or3_b32 v79, v10, v93, v79
.LBB2_6011:                             ;   in Loop: Header=BB2_5547 Depth=3
	s_or_b32 exec_lo, exec_lo, s73
	v_add_f32_e32 v79, v91, v79
	v_and_b32_e32 v10, 0x7f800000, v79
	v_cmp_ne_u32_e32 vcc_lo, 0x7f800000, v10
	v_mov_b32_e32 v10, 0x8000
	s_and_saveexec_b32 s73, vcc_lo
	s_cbranch_execz .LBB2_6019
; %bb.6012:                             ;   in Loop: Header=BB2_5547 Depth=3
	v_mov_b32_e32 v10, 0
	s_mov_b32 s74, exec_lo
	v_cmpx_ne_u32_e32 0, v79
	s_cbranch_execz .LBB2_6018
; %bb.6013:                             ;   in Loop: Header=BB2_5547 Depth=3
	v_bfe_u32 v10, v79, 23, 8
	v_and_b32_e32 v91, 0x7fffff, v79
	v_sub_nc_u32_e32 v93, 0x70, v10
	v_cmp_gt_u32_e32 vcc_lo, 0x71, v10
	v_or_b32_e32 v94, 0x800000, v91
	v_cndmask_b32_e32 v93, 0, v93, vcc_lo
	v_cmp_eq_u32_e32 vcc_lo, 0, v10
	v_add_nc_u32_e32 v10, 0xffffff91, v10
	v_cndmask_b32_e64 v93, v93, 0x6f, vcc_lo
	v_cndmask_b32_e32 v91, v94, v91, vcc_lo
	v_cndmask_b32_e64 v10, v10, 0xffffff92, vcc_lo
	v_lshl_add_u32 v94, 0x200000, v93, -1
	v_lshrrev_b32_e32 v95, v93, v91
	v_lshlrev_b32_e64 v105, v93, 0x100000
	v_add_nc_u32_e32 v93, v93, v10
	v_and_b32_e32 v91, v94, v91
	v_bfe_u32 v104, v95, 21, 1
	v_cmp_eq_u32_e64 s17, v91, v105
	v_add_nc_u32_e32 v94, -1, v104
	v_cndmask_b32_e64 v91, 0, v94, s17
	v_lshrrev_b32_e32 v94, 23, v95
	s_mov_b32 s17, exec_lo
	v_add_nc_u32_e32 v91, v91, v95
	v_xor_b32_e32 v94, 1, v94
	v_and_b32_e32 v10, 0x1fffff, v91
	v_add_nc_u32_e32 v91, v10, v95
                                        ; implicit-def: $vgpr10
	v_cmpx_ne_u32_e64 v93, v94
	s_xor_b32 s17, exec_lo, s17
; %bb.6014:                             ;   in Loop: Header=BB2_5547 Depth=3
	v_cmp_lt_u32_e32 vcc_lo, 0xffffff, v91
	v_sub_nc_u32_e32 v10, v93, v94
	v_cndmask_b32_e64 v93, 0, 1, vcc_lo
	v_add_co_ci_u32_e64 v10, null, 0, v10, vcc_lo
	v_lshrrev_b32_e32 v91, v93, v91
; %bb.6015:                             ;   in Loop: Header=BB2_5547 Depth=3
	s_andn2_saveexec_b32 s17, s17
; %bb.6016:                             ;   in Loop: Header=BB2_5547 Depth=3
	v_bfe_u32 v10, v91, 23, 1
; %bb.6017:                             ;   in Loop: Header=BB2_5547 Depth=3
	s_or_b32 exec_lo, exec_lo, s17
	v_lshrrev_b32_e32 v91, 21, v91
	v_min_i32_e32 v93, 31, v10
	v_cmp_gt_i32_e32 vcc_lo, 32, v10
	v_and_b32_sdwa v79, v79, v98 dst_sel:DWORD dst_unused:UNUSED_PAD src0_sel:BYTE_3 src1_sel:DWORD
	v_lshlrev_b32_e32 v93, 2, v93
	v_cndmask_b32_e32 v91, 3, v91, vcc_lo
	v_and_b32_e32 v93, 0xfc, v93
	v_and_b32_e32 v94, 3, v91
	v_or_b32_e32 v10, v10, v91
	v_or3_b32 v79, v79, v93, v94
	v_cmp_ne_u32_e32 vcc_lo, 0, v10
	v_lshlrev_b32_e32 v79, 8, v79
	v_cndmask_b32_e32 v10, 0, v79, vcc_lo
.LBB2_6018:                             ;   in Loop: Header=BB2_5547 Depth=3
	s_or_b32 exec_lo, exec_lo, s74
.LBB2_6019:                             ;   in Loop: Header=BB2_5547 Depth=3
	s_or_b32 exec_lo, exec_lo, s73
	v_or_b32_e32 v76, v76, v72
	s_mov_b32 s17, 0
	v_cmp_gt_i16_sdwa s73, v76, v97 src0_sel:BYTE_0 src1_sel:DWORD
	s_and_saveexec_b32 s74, s73
	s_xor_b32 s73, exec_lo, s74
	s_cbranch_execz .LBB2_6177
; %bb.6020:                             ;   in Loop: Header=BB2_5547 Depth=3
	v_cmp_eq_u16_sdwa s75, v76, v98 src0_sel:BYTE_0 src1_sel:DWORD
	s_mov_b32 s17, -1
	s_and_saveexec_b32 s74, s75
; %bb.6021:                             ;   in Loop: Header=BB2_5547 Depth=3
	s_xor_b32 s17, exec_lo, -1
; %bb.6022:                             ;   in Loop: Header=BB2_5547 Depth=3
	s_or_b32 exec_lo, exec_lo, s74
	s_and_b32 s17, s17, exec_lo
	s_or_saveexec_b32 s73, s73
	v_mov_b32_e32 v72, 0x7f800001
	s_xor_b32 exec_lo, exec_lo, s73
	s_cbranch_execnz .LBB2_6178
.LBB2_6023:                             ;   in Loop: Header=BB2_5547 Depth=3
	s_or_b32 exec_lo, exec_lo, s73
	s_and_saveexec_b32 s73, s17
	s_cbranch_execz .LBB2_6025
.LBB2_6024:                             ;   in Loop: Header=BB2_5547 Depth=3
	v_and_b32_e32 v72, 3, v76
	v_bfe_u32 v93, v76, 2, 5
	v_lshlrev_b32_e32 v94, 24, v76
	v_ffbh_u32_e32 v79, v72
	v_cmp_eq_u32_e32 vcc_lo, 0, v93
	v_min_u32_e32 v79, 32, v79
	v_subrev_nc_u32_e32 v91, 29, v79
	v_sub_nc_u32_e32 v79, 30, v79
	v_lshlrev_b32_e32 v91, v91, v76
	v_cndmask_b32_e32 v79, v93, v79, vcc_lo
	v_and_b32_e32 v91, 3, v91
	v_lshl_add_u32 v79, v79, 23, 0x37800000
	v_cndmask_b32_e32 v72, v72, v91, vcc_lo
	v_and_b32_e32 v91, 0x80000000, v94
	v_lshlrev_b32_e32 v72, 21, v72
	v_or3_b32 v72, v91, v79, v72
.LBB2_6025:                             ;   in Loop: Header=BB2_5547 Depth=3
	s_or_b32 exec_lo, exec_lo, s73
	v_cmp_gt_i16_sdwa s73, v11, v97 src0_sel:BYTE_0 src1_sel:DWORD
	s_mov_b32 s17, 0
	s_and_saveexec_b32 s74, s73
	s_xor_b32 s73, exec_lo, s74
	s_cbranch_execz .LBB2_6179
; %bb.6026:                             ;   in Loop: Header=BB2_5547 Depth=3
	v_cmp_eq_u16_sdwa s75, v11, v98 src0_sel:BYTE_0 src1_sel:DWORD
	s_mov_b32 s17, -1
	s_and_saveexec_b32 s74, s75
; %bb.6027:                             ;   in Loop: Header=BB2_5547 Depth=3
	s_xor_b32 s17, exec_lo, -1
; %bb.6028:                             ;   in Loop: Header=BB2_5547 Depth=3
	s_or_b32 exec_lo, exec_lo, s74
	s_and_b32 s17, s17, exec_lo
	s_or_saveexec_b32 s73, s73
	v_mov_b32_e32 v79, 0x7f800001
	s_xor_b32 exec_lo, exec_lo, s73
	s_cbranch_execnz .LBB2_6180
.LBB2_6029:                             ;   in Loop: Header=BB2_5547 Depth=3
	s_or_b32 exec_lo, exec_lo, s73
	s_and_saveexec_b32 s73, s17
	s_cbranch_execz .LBB2_6031
.LBB2_6030:                             ;   in Loop: Header=BB2_5547 Depth=3
	v_and_b32_e32 v79, 3, v11
	v_bfe_u32 v94, v11, 2, 5
	v_lshlrev_b32_e32 v95, 24, v11
	v_ffbh_u32_e32 v91, v79
	v_cmp_eq_u32_e32 vcc_lo, 0, v94
	v_min_u32_e32 v91, 32, v91
	v_subrev_nc_u32_e32 v93, 29, v91
	v_sub_nc_u32_e32 v91, 30, v91
	v_lshlrev_b32_e32 v93, v93, v11
	v_cndmask_b32_e32 v91, v94, v91, vcc_lo
	v_and_b32_e32 v93, 3, v93
	v_lshl_add_u32 v91, v91, 23, 0x37800000
	v_cndmask_b32_e32 v79, v79, v93, vcc_lo
	v_and_b32_e32 v93, 0x80000000, v95
	v_lshlrev_b32_e32 v79, 21, v79
	v_or3_b32 v79, v93, v91, v79
.LBB2_6031:                             ;   in Loop: Header=BB2_5547 Depth=3
	s_or_b32 exec_lo, exec_lo, s73
	v_add_f32_e32 v79, v72, v79
	v_and_b32_e32 v72, 0x7f800000, v79
	v_cmp_ne_u32_e32 vcc_lo, 0x7f800000, v72
	v_mov_b32_e32 v72, 0x80
	s_and_saveexec_b32 s73, vcc_lo
	s_cbranch_execz .LBB2_6039
; %bb.6032:                             ;   in Loop: Header=BB2_5547 Depth=3
	v_mov_b32_e32 v72, 0
	s_mov_b32 s74, exec_lo
	v_cmpx_ne_u32_e32 0, v79
	s_cbranch_execz .LBB2_6038
; %bb.6033:                             ;   in Loop: Header=BB2_5547 Depth=3
	v_bfe_u32 v72, v79, 23, 8
	v_and_b32_e32 v91, 0x7fffff, v79
	v_sub_nc_u32_e32 v93, 0x70, v72
	v_cmp_gt_u32_e32 vcc_lo, 0x71, v72
	v_or_b32_e32 v94, 0x800000, v91
	v_cndmask_b32_e32 v93, 0, v93, vcc_lo
	v_cmp_eq_u32_e32 vcc_lo, 0, v72
	v_add_nc_u32_e32 v72, 0xffffff91, v72
	v_cndmask_b32_e64 v93, v93, 0x6f, vcc_lo
	v_cndmask_b32_e32 v91, v94, v91, vcc_lo
	v_cndmask_b32_e64 v72, v72, 0xffffff92, vcc_lo
	v_lshl_add_u32 v94, 0x200000, v93, -1
	v_lshrrev_b32_e32 v95, v93, v91
	v_lshlrev_b32_e64 v105, v93, 0x100000
	v_add_nc_u32_e32 v93, v93, v72
	v_and_b32_e32 v91, v94, v91
	v_bfe_u32 v104, v95, 21, 1
	v_cmp_eq_u32_e64 s17, v91, v105
	v_add_nc_u32_e32 v94, -1, v104
	v_cndmask_b32_e64 v91, 0, v94, s17
	v_lshrrev_b32_e32 v94, 23, v95
	s_mov_b32 s17, exec_lo
	v_add_nc_u32_e32 v91, v91, v95
	v_xor_b32_e32 v94, 1, v94
	v_and_b32_e32 v72, 0x1fffff, v91
	v_add_nc_u32_e32 v91, v72, v95
                                        ; implicit-def: $vgpr72
	v_cmpx_ne_u32_e64 v93, v94
	s_xor_b32 s17, exec_lo, s17
; %bb.6034:                             ;   in Loop: Header=BB2_5547 Depth=3
	v_cmp_lt_u32_e32 vcc_lo, 0xffffff, v91
	v_sub_nc_u32_e32 v72, v93, v94
	v_cndmask_b32_e64 v93, 0, 1, vcc_lo
	v_add_co_ci_u32_e64 v72, null, 0, v72, vcc_lo
	v_lshrrev_b32_e32 v91, v93, v91
; %bb.6035:                             ;   in Loop: Header=BB2_5547 Depth=3
	s_andn2_saveexec_b32 s17, s17
; %bb.6036:                             ;   in Loop: Header=BB2_5547 Depth=3
	v_bfe_u32 v72, v91, 23, 1
; %bb.6037:                             ;   in Loop: Header=BB2_5547 Depth=3
	s_or_b32 exec_lo, exec_lo, s17
	v_lshrrev_b32_e32 v91, 21, v91
	v_min_i32_e32 v93, 31, v72
	v_cmp_gt_i32_e32 vcc_lo, 32, v72
	v_and_b32_sdwa v79, v79, v98 dst_sel:DWORD dst_unused:UNUSED_PAD src0_sel:BYTE_3 src1_sel:DWORD
	v_lshlrev_b32_e32 v93, 2, v93
	v_cndmask_b32_e32 v91, 3, v91, vcc_lo
	v_and_b32_e32 v93, 0xfc, v93
	v_and_b32_e32 v94, 3, v91
	v_or_b32_e32 v72, v72, v91
	v_or3_b32 v79, v93, v79, v94
	v_cmp_ne_u32_e32 vcc_lo, 0, v72
	v_cndmask_b32_e32 v72, 0, v79, vcc_lo
.LBB2_6038:                             ;   in Loop: Header=BB2_5547 Depth=3
	s_or_b32 exec_lo, exec_lo, s74
.LBB2_6039:                             ;   in Loop: Header=BB2_5547 Depth=3
	s_or_b32 exec_lo, exec_lo, s73
	v_cmp_gt_i16_sdwa s73, v76, v97 src0_sel:BYTE_1 src1_sel:DWORD
	s_mov_b32 s17, 0
	s_and_saveexec_b32 s74, s73
	s_xor_b32 s73, exec_lo, s74
	s_cbranch_execz .LBB2_6181
; %bb.6040:                             ;   in Loop: Header=BB2_5547 Depth=3
	v_cmp_eq_u16_sdwa s75, v76, v98 src0_sel:BYTE_1 src1_sel:DWORD
	s_mov_b32 s17, -1
	s_and_saveexec_b32 s74, s75
; %bb.6041:                             ;   in Loop: Header=BB2_5547 Depth=3
	s_xor_b32 s17, exec_lo, -1
; %bb.6042:                             ;   in Loop: Header=BB2_5547 Depth=3
	s_or_b32 exec_lo, exec_lo, s74
	s_and_b32 s17, s17, exec_lo
	s_or_saveexec_b32 s73, s73
	v_mov_b32_e32 v79, 0x7f800001
	s_xor_b32 exec_lo, exec_lo, s73
	s_cbranch_execnz .LBB2_6182
.LBB2_6043:                             ;   in Loop: Header=BB2_5547 Depth=3
	s_or_b32 exec_lo, exec_lo, s73
	s_and_saveexec_b32 s73, s17
	s_cbranch_execz .LBB2_6045
.LBB2_6044:                             ;   in Loop: Header=BB2_5547 Depth=3
	v_and_b32_sdwa v79, v99, v76 dst_sel:DWORD dst_unused:UNUSED_PAD src0_sel:DWORD src1_sel:BYTE_1
	v_and_b32_e32 v91, 3, v79
	v_bfe_u32 v95, v79, 2, 5
	v_ffbh_u32_e32 v93, v91
	v_cmp_eq_u32_e32 vcc_lo, 0, v95
	v_min_u32_e32 v93, 32, v93
	v_subrev_nc_u32_e32 v94, 29, v93
	v_sub_nc_u32_e32 v93, 30, v93
	v_lshlrev_b32_e32 v79, v94, v79
	v_lshlrev_b32_sdwa v94, v100, v76 dst_sel:DWORD dst_unused:UNUSED_PAD src0_sel:DWORD src1_sel:BYTE_1
	v_cndmask_b32_e32 v93, v95, v93, vcc_lo
	v_and_b32_e32 v79, 3, v79
	v_lshl_add_u32 v93, v93, 23, 0x37800000
	v_cndmask_b32_e32 v79, v91, v79, vcc_lo
	v_and_b32_e32 v91, 0x80000000, v94
	v_lshlrev_b32_e32 v79, 21, v79
	v_or3_b32 v79, v91, v93, v79
.LBB2_6045:                             ;   in Loop: Header=BB2_5547 Depth=3
	s_or_b32 exec_lo, exec_lo, s73
	v_cmp_gt_i16_sdwa s73, v11, v97 src0_sel:BYTE_1 src1_sel:DWORD
	s_mov_b32 s17, 0
	s_and_saveexec_b32 s74, s73
	s_xor_b32 s73, exec_lo, s74
	s_cbranch_execz .LBB2_6183
; %bb.6046:                             ;   in Loop: Header=BB2_5547 Depth=3
	v_cmp_eq_u16_sdwa s75, v11, v98 src0_sel:BYTE_1 src1_sel:DWORD
	s_mov_b32 s17, -1
	s_and_saveexec_b32 s74, s75
; %bb.6047:                             ;   in Loop: Header=BB2_5547 Depth=3
	s_xor_b32 s17, exec_lo, -1
; %bb.6048:                             ;   in Loop: Header=BB2_5547 Depth=3
	s_or_b32 exec_lo, exec_lo, s74
	s_and_b32 s17, s17, exec_lo
	s_or_saveexec_b32 s73, s73
	v_mov_b32_e32 v91, 0x7f800001
	s_xor_b32 exec_lo, exec_lo, s73
	s_cbranch_execnz .LBB2_6184
.LBB2_6049:                             ;   in Loop: Header=BB2_5547 Depth=3
	s_or_b32 exec_lo, exec_lo, s73
	s_and_saveexec_b32 s73, s17
	s_cbranch_execz .LBB2_6051
.LBB2_6050:                             ;   in Loop: Header=BB2_5547 Depth=3
	v_and_b32_sdwa v91, v99, v11 dst_sel:DWORD dst_unused:UNUSED_PAD src0_sel:DWORD src1_sel:BYTE_1
	v_and_b32_e32 v93, 3, v91
	v_bfe_u32 v104, v91, 2, 5
	v_ffbh_u32_e32 v94, v93
	v_cmp_eq_u32_e32 vcc_lo, 0, v104
	v_min_u32_e32 v94, 32, v94
	v_subrev_nc_u32_e32 v95, 29, v94
	v_sub_nc_u32_e32 v94, 30, v94
	v_lshlrev_b32_e32 v91, v95, v91
	v_lshlrev_b32_sdwa v95, v100, v11 dst_sel:DWORD dst_unused:UNUSED_PAD src0_sel:DWORD src1_sel:BYTE_1
	v_cndmask_b32_e32 v94, v104, v94, vcc_lo
	v_and_b32_e32 v91, 3, v91
	v_lshl_add_u32 v94, v94, 23, 0x37800000
	v_cndmask_b32_e32 v91, v93, v91, vcc_lo
	v_and_b32_e32 v93, 0x80000000, v95
	v_lshlrev_b32_e32 v91, 21, v91
	v_or3_b32 v91, v93, v94, v91
.LBB2_6051:                             ;   in Loop: Header=BB2_5547 Depth=3
	s_or_b32 exec_lo, exec_lo, s73
	v_add_f32_e32 v91, v79, v91
	v_and_b32_e32 v79, 0x7f800000, v91
	v_cmp_ne_u32_e32 vcc_lo, 0x7f800000, v79
	v_mov_b32_e32 v79, 0x8000
	s_and_saveexec_b32 s73, vcc_lo
	s_cbranch_execz .LBB2_6059
; %bb.6052:                             ;   in Loop: Header=BB2_5547 Depth=3
	v_mov_b32_e32 v79, 0
	s_mov_b32 s74, exec_lo
	v_cmpx_ne_u32_e32 0, v91
	s_cbranch_execz .LBB2_6058
; %bb.6053:                             ;   in Loop: Header=BB2_5547 Depth=3
	v_bfe_u32 v79, v91, 23, 8
	v_and_b32_e32 v93, 0x7fffff, v91
	v_sub_nc_u32_e32 v94, 0x70, v79
	v_cmp_gt_u32_e32 vcc_lo, 0x71, v79
	v_or_b32_e32 v95, 0x800000, v93
	v_cndmask_b32_e32 v94, 0, v94, vcc_lo
	v_cmp_eq_u32_e32 vcc_lo, 0, v79
	v_add_nc_u32_e32 v79, 0xffffff91, v79
	v_cndmask_b32_e64 v94, v94, 0x6f, vcc_lo
	v_cndmask_b32_e32 v93, v95, v93, vcc_lo
	v_cndmask_b32_e64 v79, v79, 0xffffff92, vcc_lo
	v_lshl_add_u32 v95, 0x200000, v94, -1
	v_lshrrev_b32_e32 v104, v94, v93
	v_lshlrev_b32_e64 v106, v94, 0x100000
	v_add_nc_u32_e32 v94, v94, v79
	v_and_b32_e32 v93, v95, v93
	v_bfe_u32 v105, v104, 21, 1
	v_cmp_eq_u32_e64 s17, v93, v106
	v_add_nc_u32_e32 v95, -1, v105
	v_cndmask_b32_e64 v93, 0, v95, s17
	v_lshrrev_b32_e32 v95, 23, v104
	s_mov_b32 s17, exec_lo
	v_add_nc_u32_e32 v93, v93, v104
	v_xor_b32_e32 v95, 1, v95
	v_and_b32_e32 v79, 0x1fffff, v93
	v_add_nc_u32_e32 v93, v79, v104
                                        ; implicit-def: $vgpr79
	v_cmpx_ne_u32_e64 v94, v95
	s_xor_b32 s17, exec_lo, s17
; %bb.6054:                             ;   in Loop: Header=BB2_5547 Depth=3
	v_cmp_lt_u32_e32 vcc_lo, 0xffffff, v93
	v_sub_nc_u32_e32 v79, v94, v95
	v_cndmask_b32_e64 v94, 0, 1, vcc_lo
	v_add_co_ci_u32_e64 v79, null, 0, v79, vcc_lo
	v_lshrrev_b32_e32 v93, v94, v93
; %bb.6055:                             ;   in Loop: Header=BB2_5547 Depth=3
	s_andn2_saveexec_b32 s17, s17
; %bb.6056:                             ;   in Loop: Header=BB2_5547 Depth=3
	v_bfe_u32 v79, v93, 23, 1
; %bb.6057:                             ;   in Loop: Header=BB2_5547 Depth=3
	s_or_b32 exec_lo, exec_lo, s17
	v_lshrrev_b32_e32 v93, 21, v93
	v_min_i32_e32 v94, 31, v79
	v_cmp_gt_i32_e32 vcc_lo, 32, v79
	v_and_b32_sdwa v91, v91, v98 dst_sel:DWORD dst_unused:UNUSED_PAD src0_sel:BYTE_3 src1_sel:DWORD
	v_lshlrev_b32_e32 v94, 2, v94
	v_cndmask_b32_e32 v93, 3, v93, vcc_lo
	v_and_b32_e32 v94, 0xfc, v94
	v_and_b32_e32 v95, 3, v93
	v_or_b32_e32 v79, v79, v93
	v_or3_b32 v91, v91, v94, v95
	v_cmp_ne_u32_e32 vcc_lo, 0, v79
	v_lshlrev_b32_e32 v91, 8, v91
	v_cndmask_b32_e32 v79, 0, v91, vcc_lo
.LBB2_6058:                             ;   in Loop: Header=BB2_5547 Depth=3
	s_or_b32 exec_lo, exec_lo, s74
.LBB2_6059:                             ;   in Loop: Header=BB2_5547 Depth=3
	s_or_b32 exec_lo, exec_lo, s73
	v_or_b32_e32 v74, v74, v63
	s_mov_b32 s17, 0
	v_cmp_gt_i16_sdwa s73, v74, v97 src0_sel:BYTE_0 src1_sel:DWORD
	s_and_saveexec_b32 s74, s73
	s_xor_b32 s73, exec_lo, s74
	s_cbranch_execz .LBB2_6185
; %bb.6060:                             ;   in Loop: Header=BB2_5547 Depth=3
	v_cmp_eq_u16_sdwa s75, v74, v98 src0_sel:BYTE_0 src1_sel:DWORD
	s_mov_b32 s17, -1
	s_and_saveexec_b32 s74, s75
; %bb.6061:                             ;   in Loop: Header=BB2_5547 Depth=3
	s_xor_b32 s17, exec_lo, -1
; %bb.6062:                             ;   in Loop: Header=BB2_5547 Depth=3
	s_or_b32 exec_lo, exec_lo, s74
	s_and_b32 s17, s17, exec_lo
	s_or_saveexec_b32 s73, s73
	v_mov_b32_e32 v63, 0x7f800001
	s_xor_b32 exec_lo, exec_lo, s73
	s_cbranch_execnz .LBB2_6186
.LBB2_6063:                             ;   in Loop: Header=BB2_5547 Depth=3
	s_or_b32 exec_lo, exec_lo, s73
	v_lshl_or_b32 v74, v74, 16, v76
	s_and_saveexec_b32 s73, s17
	s_cbranch_execz .LBB2_6065
.LBB2_6064:                             ;   in Loop: Header=BB2_5547 Depth=3
	v_bfe_u32 v63, v74, 16, 2
	v_bfe_u32 v93, v74, 18, 5
	v_lshlrev_b32_e32 v94, 8, v74
	v_ffbh_u32_e32 v76, v63
	v_cmp_eq_u32_e32 vcc_lo, 0, v93
	v_min_u32_e32 v76, 32, v76
	v_subrev_nc_u32_e32 v91, 29, v76
	v_sub_nc_u32_e32 v76, 30, v76
	v_lshlrev_b32_sdwa v91, v91, v74 dst_sel:DWORD dst_unused:UNUSED_PAD src0_sel:DWORD src1_sel:WORD_1
	v_cndmask_b32_e32 v76, v93, v76, vcc_lo
	v_and_b32_e32 v91, 3, v91
	v_lshl_add_u32 v76, v76, 23, 0x37800000
	v_cndmask_b32_e32 v63, v63, v91, vcc_lo
	v_and_b32_e32 v91, 0x80000000, v94
	v_lshlrev_b32_e32 v63, 21, v63
	v_or3_b32 v63, v91, v76, v63
.LBB2_6065:                             ;   in Loop: Header=BB2_5547 Depth=3
	s_or_b32 exec_lo, exec_lo, s73
	v_and_b32_sdwa v91, v11, v101 dst_sel:DWORD dst_unused:UNUSED_PAD src0_sel:WORD_1 src1_sel:DWORD
	s_mov_b32 s17, 0
	s_mov_b32 s73, exec_lo
	v_cmpx_lt_i16_e32 0x7f, v91
	s_xor_b32 s73, exec_lo, s73
	s_cbranch_execz .LBB2_6187
; %bb.6066:                             ;   in Loop: Header=BB2_5547 Depth=3
	s_mov_b32 s17, -1
	s_mov_b32 s74, exec_lo
	v_cmpx_eq_u16_e32 0x80, v91
; %bb.6067:                             ;   in Loop: Header=BB2_5547 Depth=3
	s_xor_b32 s17, exec_lo, -1
; %bb.6068:                             ;   in Loop: Header=BB2_5547 Depth=3
	s_or_b32 exec_lo, exec_lo, s74
	s_and_b32 s17, s17, exec_lo
                                        ; implicit-def: $vgpr91
	s_or_saveexec_b32 s73, s73
	v_mov_b32_e32 v76, 0x7f800001
	s_xor_b32 exec_lo, exec_lo, s73
	s_cbranch_execnz .LBB2_6188
.LBB2_6069:                             ;   in Loop: Header=BB2_5547 Depth=3
	s_or_b32 exec_lo, exec_lo, s73
	s_and_saveexec_b32 s73, s17
	s_cbranch_execz .LBB2_6071
.LBB2_6070:                             ;   in Loop: Header=BB2_5547 Depth=3
	v_and_b32_sdwa v76, v11, v103 dst_sel:DWORD dst_unused:UNUSED_PAD src0_sel:WORD_1 src1_sel:DWORD
	v_bfe_u32 v94, v11, 18, 5
	v_lshlrev_b32_sdwa v95, v100, v11 dst_sel:DWORD dst_unused:UNUSED_PAD src0_sel:DWORD src1_sel:WORD_1
	v_ffbh_u32_e32 v91, v76
	v_cmp_eq_u32_e32 vcc_lo, 0, v94
	v_min_u32_e32 v91, 32, v91
	v_subrev_nc_u32_e32 v93, 29, v91
	v_sub_nc_u32_e32 v91, 30, v91
	v_lshlrev_b32_sdwa v93, v93, v11 dst_sel:DWORD dst_unused:UNUSED_PAD src0_sel:DWORD src1_sel:WORD_1
	v_cndmask_b32_e32 v91, v94, v91, vcc_lo
	v_and_b32_e32 v93, 3, v93
	v_lshl_add_u32 v91, v91, 23, 0x37800000
	v_cndmask_b32_e32 v76, v76, v93, vcc_lo
	v_and_b32_e32 v93, 0x80000000, v95
	v_lshlrev_b32_e32 v76, 21, v76
	v_or3_b32 v76, v93, v91, v76
.LBB2_6071:                             ;   in Loop: Header=BB2_5547 Depth=3
	s_or_b32 exec_lo, exec_lo, s73
	v_add_f32_e32 v76, v63, v76
	v_and_b32_e32 v63, 0x7f800000, v76
	v_cmp_ne_u32_e32 vcc_lo, 0x7f800000, v63
	v_mov_b32_e32 v63, 0x80
	s_and_saveexec_b32 s73, vcc_lo
	s_cbranch_execz .LBB2_6079
; %bb.6072:                             ;   in Loop: Header=BB2_5547 Depth=3
	v_mov_b32_e32 v63, 0
	s_mov_b32 s74, exec_lo
	v_cmpx_ne_u32_e32 0, v76
	s_cbranch_execz .LBB2_6078
; %bb.6073:                             ;   in Loop: Header=BB2_5547 Depth=3
	v_bfe_u32 v63, v76, 23, 8
	v_and_b32_e32 v91, 0x7fffff, v76
	v_sub_nc_u32_e32 v93, 0x70, v63
	v_cmp_gt_u32_e32 vcc_lo, 0x71, v63
	v_or_b32_e32 v94, 0x800000, v91
	v_cndmask_b32_e32 v93, 0, v93, vcc_lo
	v_cmp_eq_u32_e32 vcc_lo, 0, v63
	v_add_nc_u32_e32 v63, 0xffffff91, v63
	v_cndmask_b32_e64 v93, v93, 0x6f, vcc_lo
	v_cndmask_b32_e32 v91, v94, v91, vcc_lo
	v_cndmask_b32_e64 v63, v63, 0xffffff92, vcc_lo
	v_lshl_add_u32 v94, 0x200000, v93, -1
	v_lshrrev_b32_e32 v95, v93, v91
	v_lshlrev_b32_e64 v105, v93, 0x100000
	v_add_nc_u32_e32 v93, v93, v63
	v_and_b32_e32 v91, v94, v91
	v_bfe_u32 v104, v95, 21, 1
	v_cmp_eq_u32_e64 s17, v91, v105
	v_add_nc_u32_e32 v94, -1, v104
	v_cndmask_b32_e64 v91, 0, v94, s17
	v_lshrrev_b32_e32 v94, 23, v95
	s_mov_b32 s17, exec_lo
	v_add_nc_u32_e32 v91, v91, v95
	v_xor_b32_e32 v94, 1, v94
	v_and_b32_e32 v63, 0x1fffff, v91
	v_add_nc_u32_e32 v91, v63, v95
                                        ; implicit-def: $vgpr63
	v_cmpx_ne_u32_e64 v93, v94
	s_xor_b32 s17, exec_lo, s17
; %bb.6074:                             ;   in Loop: Header=BB2_5547 Depth=3
	v_cmp_lt_u32_e32 vcc_lo, 0xffffff, v91
	v_sub_nc_u32_e32 v63, v93, v94
	v_cndmask_b32_e64 v93, 0, 1, vcc_lo
	v_add_co_ci_u32_e64 v63, null, 0, v63, vcc_lo
	v_lshrrev_b32_e32 v91, v93, v91
; %bb.6075:                             ;   in Loop: Header=BB2_5547 Depth=3
	s_andn2_saveexec_b32 s17, s17
; %bb.6076:                             ;   in Loop: Header=BB2_5547 Depth=3
	v_bfe_u32 v63, v91, 23, 1
; %bb.6077:                             ;   in Loop: Header=BB2_5547 Depth=3
	s_or_b32 exec_lo, exec_lo, s17
	v_lshrrev_b32_e32 v91, 21, v91
	v_min_i32_e32 v93, 31, v63
	v_cmp_gt_i32_e32 vcc_lo, 32, v63
	v_and_b32_sdwa v76, v76, v98 dst_sel:DWORD dst_unused:UNUSED_PAD src0_sel:BYTE_3 src1_sel:DWORD
	v_lshlrev_b32_e32 v93, 2, v93
	v_cndmask_b32_e32 v91, 3, v91, vcc_lo
	v_and_b32_e32 v93, 0xfc, v93
	v_and_b32_e32 v94, 3, v91
	v_or_b32_e32 v63, v63, v91
	v_or3_b32 v76, v93, v76, v94
	v_cmp_ne_u32_e32 vcc_lo, 0, v63
	v_cndmask_b32_e32 v63, 0, v76, vcc_lo
.LBB2_6078:                             ;   in Loop: Header=BB2_5547 Depth=3
	s_or_b32 exec_lo, exec_lo, s74
.LBB2_6079:                             ;   in Loop: Header=BB2_5547 Depth=3
	s_or_b32 exec_lo, exec_lo, s73
	v_cmp_gt_i16_sdwa s73, v74, v97 src0_sel:BYTE_3 src1_sel:DWORD
	s_mov_b32 s17, 0
	s_and_saveexec_b32 s74, s73
	s_xor_b32 s73, exec_lo, s74
	s_cbranch_execz .LBB2_6189
; %bb.6080:                             ;   in Loop: Header=BB2_5547 Depth=3
	v_cmp_eq_u16_sdwa s75, v74, v98 src0_sel:BYTE_3 src1_sel:DWORD
	s_mov_b32 s17, -1
	s_and_saveexec_b32 s74, s75
; %bb.6081:                             ;   in Loop: Header=BB2_5547 Depth=3
	s_xor_b32 s17, exec_lo, -1
; %bb.6082:                             ;   in Loop: Header=BB2_5547 Depth=3
	s_or_b32 exec_lo, exec_lo, s74
	s_and_b32 s17, s17, exec_lo
	s_or_saveexec_b32 s73, s73
	v_mov_b32_e32 v76, 0x7f800001
	s_xor_b32 exec_lo, exec_lo, s73
	s_cbranch_execnz .LBB2_6190
.LBB2_6083:                             ;   in Loop: Header=BB2_5547 Depth=3
	s_or_b32 exec_lo, exec_lo, s73
	s_and_saveexec_b32 s73, s17
	s_cbranch_execz .LBB2_6085
.LBB2_6084:                             ;   in Loop: Header=BB2_5547 Depth=3
	v_bfe_u32 v76, v74, 24, 2
	v_bfe_u32 v94, v74, 26, 5
	v_ffbh_u32_e32 v91, v76
	v_cmp_eq_u32_e32 vcc_lo, 0, v94
	v_min_u32_e32 v91, 32, v91
	v_subrev_nc_u32_e32 v93, 29, v91
	v_sub_nc_u32_e32 v91, 30, v91
	v_lshlrev_b32_sdwa v93, v93, v74 dst_sel:DWORD dst_unused:UNUSED_PAD src0_sel:DWORD src1_sel:BYTE_3
	v_cndmask_b32_e32 v91, v94, v91, vcc_lo
	v_and_b32_e32 v74, 0x80000000, v74
	v_and_b32_e32 v93, 3, v93
	v_lshl_add_u32 v91, v91, 23, 0x37800000
	v_cndmask_b32_e32 v76, v76, v93, vcc_lo
	v_lshlrev_b32_e32 v76, 21, v76
	v_or3_b32 v76, v74, v91, v76
.LBB2_6085:                             ;   in Loop: Header=BB2_5547 Depth=3
	s_or_b32 exec_lo, exec_lo, s73
	v_cmp_gt_i16_sdwa s73, v11, v97 src0_sel:BYTE_3 src1_sel:DWORD
	s_mov_b32 s17, 0
	s_and_saveexec_b32 s74, s73
	s_xor_b32 s73, exec_lo, s74
	s_cbranch_execz .LBB2_6191
; %bb.6086:                             ;   in Loop: Header=BB2_5547 Depth=3
	v_cmp_eq_u16_sdwa s75, v11, v98 src0_sel:BYTE_3 src1_sel:DWORD
	s_mov_b32 s17, -1
	s_and_saveexec_b32 s74, s75
; %bb.6087:                             ;   in Loop: Header=BB2_5547 Depth=3
	s_xor_b32 s17, exec_lo, -1
; %bb.6088:                             ;   in Loop: Header=BB2_5547 Depth=3
	s_or_b32 exec_lo, exec_lo, s74
	s_and_b32 s17, s17, exec_lo
	s_or_saveexec_b32 s73, s73
	v_mov_b32_e32 v74, 0x7f800001
	s_xor_b32 exec_lo, exec_lo, s73
	s_cbranch_execnz .LBB2_6192
.LBB2_6089:                             ;   in Loop: Header=BB2_5547 Depth=3
	s_or_b32 exec_lo, exec_lo, s73
	s_and_saveexec_b32 s73, s17
	s_cbranch_execz .LBB2_6091
.LBB2_6090:                             ;   in Loop: Header=BB2_5547 Depth=3
	v_and_b32_sdwa v74, v11, v103 dst_sel:DWORD dst_unused:UNUSED_PAD src0_sel:BYTE_3 src1_sel:DWORD
	v_bfe_u32 v94, v11, 26, 5
	v_ffbh_u32_e32 v91, v74
	v_cmp_eq_u32_e32 vcc_lo, 0, v94
	v_min_u32_e32 v91, 32, v91
	v_subrev_nc_u32_e32 v93, 29, v91
	v_sub_nc_u32_e32 v91, 30, v91
	v_lshlrev_b32_sdwa v93, v93, v11 dst_sel:DWORD dst_unused:UNUSED_PAD src0_sel:DWORD src1_sel:BYTE_3
	v_cndmask_b32_e32 v91, v94, v91, vcc_lo
	v_and_b32_e32 v11, 0x80000000, v11
	v_and_b32_e32 v93, 3, v93
	v_lshl_add_u32 v91, v91, 23, 0x37800000
	v_cndmask_b32_e32 v74, v74, v93, vcc_lo
	v_lshlrev_b32_e32 v74, 21, v74
	v_or3_b32 v74, v11, v91, v74
.LBB2_6091:                             ;   in Loop: Header=BB2_5547 Depth=3
	s_or_b32 exec_lo, exec_lo, s73
	v_add_f32_e32 v11, v76, v74
	v_and_b32_e32 v74, 0x7f800000, v11
	v_cmp_ne_u32_e32 vcc_lo, 0x7f800000, v74
	v_mov_b32_e32 v74, 0x8000
	s_and_saveexec_b32 s73, vcc_lo
	s_cbranch_execz .LBB2_5546
; %bb.6092:                             ;   in Loop: Header=BB2_5547 Depth=3
	v_mov_b32_e32 v74, 0
	s_mov_b32 s74, exec_lo
	v_cmpx_ne_u32_e32 0, v11
	s_cbranch_execz .LBB2_5545
; %bb.6093:                             ;   in Loop: Header=BB2_5547 Depth=3
	v_bfe_u32 v74, v11, 23, 8
	v_and_b32_e32 v76, 0x7fffff, v11
	v_sub_nc_u32_e32 v91, 0x70, v74
	v_cmp_gt_u32_e32 vcc_lo, 0x71, v74
	v_or_b32_e32 v93, 0x800000, v76
	v_cndmask_b32_e32 v91, 0, v91, vcc_lo
	v_cmp_eq_u32_e32 vcc_lo, 0, v74
	v_add_nc_u32_e32 v74, 0xffffff91, v74
	v_cndmask_b32_e64 v91, v91, 0x6f, vcc_lo
	v_cndmask_b32_e32 v76, v93, v76, vcc_lo
	v_cndmask_b32_e64 v74, v74, 0xffffff92, vcc_lo
	v_lshl_add_u32 v93, 0x200000, v91, -1
	v_lshrrev_b32_e32 v94, v91, v76
	v_lshlrev_b32_e64 v104, v91, 0x100000
	v_add_nc_u32_e32 v91, v91, v74
	v_and_b32_e32 v76, v93, v76
	v_bfe_u32 v95, v94, 21, 1
	v_cmp_eq_u32_e64 s17, v76, v104
	v_add_nc_u32_e32 v93, -1, v95
	v_cndmask_b32_e64 v76, 0, v93, s17
	v_lshrrev_b32_e32 v93, 23, v94
	s_mov_b32 s17, exec_lo
	v_add_nc_u32_e32 v76, v76, v94
	v_xor_b32_e32 v93, 1, v93
	v_and_b32_e32 v74, 0x1fffff, v76
	v_add_nc_u32_e32 v76, v74, v94
                                        ; implicit-def: $vgpr74
	v_cmpx_ne_u32_e64 v91, v93
	s_xor_b32 s17, exec_lo, s17
; %bb.6094:                             ;   in Loop: Header=BB2_5547 Depth=3
	v_cmp_lt_u32_e32 vcc_lo, 0xffffff, v76
	v_sub_nc_u32_e32 v74, v91, v93
	v_cndmask_b32_e64 v91, 0, 1, vcc_lo
	v_add_co_ci_u32_e64 v74, null, 0, v74, vcc_lo
	v_lshrrev_b32_e32 v76, v91, v76
; %bb.6095:                             ;   in Loop: Header=BB2_5547 Depth=3
	s_andn2_saveexec_b32 s17, s17
	s_cbranch_execz .LBB2_5544
; %bb.6096:                             ;   in Loop: Header=BB2_5547 Depth=3
	v_bfe_u32 v74, v76, 23, 1
	s_branch .LBB2_5544
.LBB2_6097:                             ;   in Loop: Header=BB2_5547 Depth=3
	s_or_saveexec_b32 s74, s74
	v_mov_b32_e32 v62, 0x7f800001
	s_xor_b32 exec_lo, exec_lo, s74
	s_cbranch_execz .LBB2_5559
.LBB2_6098:                             ;   in Loop: Header=BB2_5547 Depth=3
	v_cmp_ne_u16_sdwa s75, v8, v2 src0_sel:BYTE_0 src1_sel:DWORD
	v_mov_b32_e32 v62, 0
	s_andn2_b32 s17, s17, exec_lo
	s_and_b32 s75, s75, exec_lo
	s_or_b32 s17, s17, s75
	s_or_b32 exec_lo, exec_lo, s74
	s_and_saveexec_b32 s74, s17
	s_cbranch_execnz .LBB2_5560
	s_branch .LBB2_5561
.LBB2_6099:                             ;   in Loop: Header=BB2_5547 Depth=3
	s_or_saveexec_b32 s74, s74
	v_mov_b32_e32 v63, 0x7f800001
	s_xor_b32 exec_lo, exec_lo, s74
	s_cbranch_execz .LBB2_5573
.LBB2_6100:                             ;   in Loop: Header=BB2_5547 Depth=3
	v_cmp_ne_u16_sdwa s75, v8, v2 src0_sel:BYTE_1 src1_sel:DWORD
	v_mov_b32_e32 v63, 0
	s_andn2_b32 s17, s17, exec_lo
	s_and_b32 s75, s75, exec_lo
	s_or_b32 s17, s17, s75
	s_or_b32 exec_lo, exec_lo, s74
	s_and_saveexec_b32 s74, s17
	s_cbranch_execnz .LBB2_5574
	s_branch .LBB2_5575
.LBB2_6101:                             ;   in Loop: Header=BB2_5547 Depth=3
	s_or_saveexec_b32 s74, s74
	v_mov_b32_e32 v63, 0x7f800001
	s_xor_b32 exec_lo, exec_lo, s74
	s_cbranch_execz .LBB2_5587
.LBB2_6102:                             ;   in Loop: Header=BB2_5547 Depth=3
	v_cmp_ne_u16_e32 vcc_lo, 0, v72
	v_mov_b32_e32 v63, 0
	s_andn2_b32 s17, s17, exec_lo
	s_and_b32 s75, vcc_lo, exec_lo
	s_or_b32 s17, s17, s75
	s_or_b32 exec_lo, exec_lo, s74
	s_and_saveexec_b32 s74, s17
	s_cbranch_execnz .LBB2_5588
	s_branch .LBB2_5589
.LBB2_6103:                             ;   in Loop: Header=BB2_5547 Depth=3
	s_or_saveexec_b32 s74, s74
	v_mov_b32_e32 v63, 0x7f800001
	s_xor_b32 exec_lo, exec_lo, s74
	s_cbranch_execz .LBB2_5601
.LBB2_6104:                             ;   in Loop: Header=BB2_5547 Depth=3
	v_cmp_ne_u16_sdwa s75, v8, v2 src0_sel:BYTE_3 src1_sel:DWORD
	v_mov_b32_e32 v63, 0
	s_andn2_b32 s17, s17, exec_lo
	s_and_b32 s75, s75, exec_lo
	s_or_b32 s17, s17, s75
	s_or_b32 exec_lo, exec_lo, s74
	s_and_saveexec_b32 s74, s17
	s_cbranch_execnz .LBB2_5602
	s_branch .LBB2_5603
.LBB2_6105:                             ;   in Loop: Header=BB2_5547 Depth=3
	s_or_saveexec_b32 s74, s74
	v_mov_b32_e32 v8, 0x7f800001
	s_xor_b32 exec_lo, exec_lo, s74
	s_cbranch_execz .LBB2_5615
.LBB2_6106:                             ;   in Loop: Header=BB2_5547 Depth=3
	v_cmp_ne_u16_sdwa s75, v9, v2 src0_sel:BYTE_0 src1_sel:DWORD
	v_mov_b32_e32 v8, 0
	s_andn2_b32 s17, s17, exec_lo
	s_and_b32 s75, s75, exec_lo
	s_or_b32 s17, s17, s75
	s_or_b32 exec_lo, exec_lo, s74
	s_and_saveexec_b32 s74, s17
	s_cbranch_execnz .LBB2_5616
	s_branch .LBB2_5617
.LBB2_6107:                             ;   in Loop: Header=BB2_5547 Depth=3
	s_or_saveexec_b32 s74, s74
	v_mov_b32_e32 v8, 0x7f800001
	s_xor_b32 exec_lo, exec_lo, s74
	s_cbranch_execz .LBB2_5629
.LBB2_6108:                             ;   in Loop: Header=BB2_5547 Depth=3
	v_cmp_ne_u16_sdwa s75, v9, v2 src0_sel:BYTE_1 src1_sel:DWORD
	v_mov_b32_e32 v8, 0
	s_andn2_b32 s17, s17, exec_lo
	s_and_b32 s75, s75, exec_lo
	s_or_b32 s17, s17, s75
	s_or_b32 exec_lo, exec_lo, s74
	s_and_saveexec_b32 s74, s17
	s_cbranch_execnz .LBB2_5630
	s_branch .LBB2_5631
.LBB2_6109:                             ;   in Loop: Header=BB2_5547 Depth=3
	s_or_saveexec_b32 s74, s74
	v_mov_b32_e32 v8, 0x7f800001
	s_xor_b32 exec_lo, exec_lo, s74
	s_cbranch_execz .LBB2_5643
.LBB2_6110:                             ;   in Loop: Header=BB2_5547 Depth=3
	v_cmp_ne_u16_e32 vcc_lo, 0, v63
	v_mov_b32_e32 v8, 0
	s_andn2_b32 s17, s17, exec_lo
	s_and_b32 s75, vcc_lo, exec_lo
	s_or_b32 s17, s17, s75
	s_or_b32 exec_lo, exec_lo, s74
	s_and_saveexec_b32 s74, s17
	s_cbranch_execnz .LBB2_5644
	s_branch .LBB2_5645
.LBB2_6111:                             ;   in Loop: Header=BB2_5547 Depth=3
	s_or_saveexec_b32 s74, s74
	v_mov_b32_e32 v8, 0x7f800001
	s_xor_b32 exec_lo, exec_lo, s74
	s_cbranch_execz .LBB2_5657
.LBB2_6112:                             ;   in Loop: Header=BB2_5547 Depth=3
	v_cmp_ne_u16_sdwa s75, v9, v2 src0_sel:BYTE_3 src1_sel:DWORD
	v_mov_b32_e32 v8, 0
	s_andn2_b32 s17, s17, exec_lo
	s_and_b32 s75, s75, exec_lo
	s_or_b32 s17, s17, s75
	s_or_b32 exec_lo, exec_lo, s74
	s_and_saveexec_b32 s74, s17
	s_cbranch_execnz .LBB2_5658
	s_branch .LBB2_5659
.LBB2_6113:                             ;   in Loop: Header=BB2_5547 Depth=3
	s_or_saveexec_b32 s74, s74
	v_mov_b32_e32 v8, 0x7f800001
	s_xor_b32 exec_lo, exec_lo, s74
	s_cbranch_execz .LBB2_5671
.LBB2_6114:                             ;   in Loop: Header=BB2_5547 Depth=3
	v_cmp_ne_u16_sdwa s75, v10, v2 src0_sel:BYTE_0 src1_sel:DWORD
	v_mov_b32_e32 v8, 0
	s_andn2_b32 s17, s17, exec_lo
	s_and_b32 s75, s75, exec_lo
	s_or_b32 s17, s17, s75
	s_or_b32 exec_lo, exec_lo, s74
	s_and_saveexec_b32 s74, s17
	s_cbranch_execnz .LBB2_5672
	s_branch .LBB2_5673
.LBB2_6115:                             ;   in Loop: Header=BB2_5547 Depth=3
	s_or_saveexec_b32 s74, s74
	v_mov_b32_e32 v8, 0x7f800001
	s_xor_b32 exec_lo, exec_lo, s74
	s_cbranch_execz .LBB2_5685
.LBB2_6116:                             ;   in Loop: Header=BB2_5547 Depth=3
	v_cmp_ne_u16_sdwa s75, v10, v2 src0_sel:BYTE_1 src1_sel:DWORD
	v_mov_b32_e32 v8, 0
	s_andn2_b32 s17, s17, exec_lo
	s_and_b32 s75, s75, exec_lo
	s_or_b32 s17, s17, s75
	s_or_b32 exec_lo, exec_lo, s74
	s_and_saveexec_b32 s74, s17
	s_cbranch_execnz .LBB2_5686
	s_branch .LBB2_5687
.LBB2_6117:                             ;   in Loop: Header=BB2_5547 Depth=3
	s_or_saveexec_b32 s74, s74
	v_mov_b32_e32 v8, 0x7f800001
	s_xor_b32 exec_lo, exec_lo, s74
	s_cbranch_execz .LBB2_5699
.LBB2_6118:                             ;   in Loop: Header=BB2_5547 Depth=3
	v_cmp_ne_u16_e32 vcc_lo, 0, v9
	v_mov_b32_e32 v8, 0
	s_andn2_b32 s17, s17, exec_lo
	s_and_b32 s75, vcc_lo, exec_lo
	s_or_b32 s17, s17, s75
	s_or_b32 exec_lo, exec_lo, s74
	s_and_saveexec_b32 s74, s17
	s_cbranch_execnz .LBB2_5700
	s_branch .LBB2_5701
.LBB2_6119:                             ;   in Loop: Header=BB2_5547 Depth=3
	s_or_saveexec_b32 s74, s74
	v_mov_b32_e32 v8, 0x7f800001
	s_xor_b32 exec_lo, exec_lo, s74
	s_cbranch_execz .LBB2_5713
.LBB2_6120:                             ;   in Loop: Header=BB2_5547 Depth=3
	v_cmp_ne_u16_sdwa s75, v10, v2 src0_sel:BYTE_3 src1_sel:DWORD
	v_mov_b32_e32 v8, 0
	s_andn2_b32 s17, s17, exec_lo
	s_and_b32 s75, s75, exec_lo
	s_or_b32 s17, s17, s75
	s_or_b32 exec_lo, exec_lo, s74
	s_and_saveexec_b32 s74, s17
	s_cbranch_execnz .LBB2_5714
	s_branch .LBB2_5715
.LBB2_6121:                             ;   in Loop: Header=BB2_5547 Depth=3
	s_or_saveexec_b32 s74, s74
	v_mov_b32_e32 v8, 0x7f800001
	s_xor_b32 exec_lo, exec_lo, s74
	s_cbranch_execz .LBB2_5727
.LBB2_6122:                             ;   in Loop: Header=BB2_5547 Depth=3
	v_cmp_ne_u16_sdwa s75, v11, v2 src0_sel:BYTE_0 src1_sel:DWORD
	v_mov_b32_e32 v8, 0
	s_andn2_b32 s17, s17, exec_lo
	s_and_b32 s75, s75, exec_lo
	s_or_b32 s17, s17, s75
	s_or_b32 exec_lo, exec_lo, s74
	s_and_saveexec_b32 s74, s17
	s_cbranch_execnz .LBB2_5728
	s_branch .LBB2_5729
.LBB2_6123:                             ;   in Loop: Header=BB2_5547 Depth=3
	s_or_saveexec_b32 s74, s74
	v_mov_b32_e32 v8, 0x7f800001
	s_xor_b32 exec_lo, exec_lo, s74
	s_cbranch_execz .LBB2_5741
.LBB2_6124:                             ;   in Loop: Header=BB2_5547 Depth=3
	v_cmp_ne_u16_sdwa s75, v11, v2 src0_sel:BYTE_1 src1_sel:DWORD
	v_mov_b32_e32 v8, 0
	s_andn2_b32 s17, s17, exec_lo
	s_and_b32 s75, s75, exec_lo
	s_or_b32 s17, s17, s75
	s_or_b32 exec_lo, exec_lo, s74
	s_and_saveexec_b32 s74, s17
	s_cbranch_execnz .LBB2_5742
	s_branch .LBB2_5743
.LBB2_6125:                             ;   in Loop: Header=BB2_5547 Depth=3
	s_or_saveexec_b32 s74, s74
	v_mov_b32_e32 v8, 0x7f800001
	s_xor_b32 exec_lo, exec_lo, s74
	s_cbranch_execz .LBB2_5755
.LBB2_6126:                             ;   in Loop: Header=BB2_5547 Depth=3
	v_cmp_ne_u16_e32 vcc_lo, 0, v9
	v_mov_b32_e32 v8, 0
	s_andn2_b32 s17, s17, exec_lo
	s_and_b32 s75, vcc_lo, exec_lo
	s_or_b32 s17, s17, s75
	s_or_b32 exec_lo, exec_lo, s74
	s_and_saveexec_b32 s74, s17
	s_cbranch_execnz .LBB2_5756
	s_branch .LBB2_5757
.LBB2_6127:                             ;   in Loop: Header=BB2_5547 Depth=3
	s_or_saveexec_b32 s74, s74
	v_mov_b32_e32 v8, 0x7f800001
	s_xor_b32 exec_lo, exec_lo, s74
	s_cbranch_execz .LBB2_5769
.LBB2_6128:                             ;   in Loop: Header=BB2_5547 Depth=3
	v_cmp_ne_u16_sdwa s75, v11, v2 src0_sel:BYTE_3 src1_sel:DWORD
	v_mov_b32_e32 v8, 0
	s_andn2_b32 s17, s17, exec_lo
	s_and_b32 s75, s75, exec_lo
	s_or_b32 s17, s17, s75
	s_or_b32 exec_lo, exec_lo, s74
	s_and_saveexec_b32 s74, s17
	s_cbranch_execnz .LBB2_5770
	s_branch .LBB2_5771
.LBB2_6129:                             ;   in Loop: Header=BB2_5547 Depth=3
	s_or_saveexec_b32 s73, s73
	v_mov_b32_e32 v62, 0x7f800001
	s_xor_b32 exec_lo, exec_lo, s73
	s_cbranch_execz .LBB2_5783
.LBB2_6130:                             ;   in Loop: Header=BB2_5547 Depth=3
	v_cmp_ne_u16_sdwa s74, v94, v2 src0_sel:BYTE_0 src1_sel:DWORD
	v_mov_b32_e32 v62, 0
	s_andn2_b32 s17, s17, exec_lo
	s_and_b32 s74, s74, exec_lo
	s_or_b32 s17, s17, s74
	s_or_b32 exec_lo, exec_lo, s73
	s_and_saveexec_b32 s73, s17
	s_cbranch_execnz .LBB2_5784
	s_branch .LBB2_5785
.LBB2_6131:                             ;   in Loop: Header=BB2_5547 Depth=3
	s_or_saveexec_b32 s73, s73
	v_mov_b32_e32 v73, 0x7f800001
	s_xor_b32 exec_lo, exec_lo, s73
	s_cbranch_execz .LBB2_5789
.LBB2_6132:                             ;   in Loop: Header=BB2_5547 Depth=3
	v_cmp_ne_u16_sdwa s74, v8, v2 src0_sel:BYTE_0 src1_sel:DWORD
	v_mov_b32_e32 v73, 0
	s_andn2_b32 s17, s17, exec_lo
	s_and_b32 s74, s74, exec_lo
	s_or_b32 s17, s17, s74
	s_or_b32 exec_lo, exec_lo, s73
	s_and_saveexec_b32 s73, s17
	s_cbranch_execnz .LBB2_5790
	s_branch .LBB2_5791
.LBB2_6133:                             ;   in Loop: Header=BB2_5547 Depth=3
	s_or_saveexec_b32 s73, s73
	v_mov_b32_e32 v73, 0x7f800001
	s_xor_b32 exec_lo, exec_lo, s73
	s_cbranch_execz .LBB2_5803
.LBB2_6134:                             ;   in Loop: Header=BB2_5547 Depth=3
	v_cmp_ne_u16_sdwa s74, v94, v2 src0_sel:BYTE_1 src1_sel:DWORD
	v_mov_b32_e32 v73, 0
	s_andn2_b32 s17, s17, exec_lo
	s_and_b32 s74, s74, exec_lo
	s_or_b32 s17, s17, s74
	s_or_b32 exec_lo, exec_lo, s73
	s_and_saveexec_b32 s73, s17
	s_cbranch_execnz .LBB2_5804
	s_branch .LBB2_5805
.LBB2_6135:                             ;   in Loop: Header=BB2_5547 Depth=3
	s_or_saveexec_b32 s73, s73
	v_mov_b32_e32 v95, 0x7f800001
	s_xor_b32 exec_lo, exec_lo, s73
	s_cbranch_execz .LBB2_5809
.LBB2_6136:                             ;   in Loop: Header=BB2_5547 Depth=3
	v_cmp_ne_u16_sdwa s74, v8, v2 src0_sel:BYTE_1 src1_sel:DWORD
	v_mov_b32_e32 v95, 0
	s_andn2_b32 s17, s17, exec_lo
	s_and_b32 s74, s74, exec_lo
	s_or_b32 s17, s17, s74
	s_or_b32 exec_lo, exec_lo, s73
	s_and_saveexec_b32 s73, s17
	s_cbranch_execnz .LBB2_5810
	s_branch .LBB2_5811
.LBB2_6137:                             ;   in Loop: Header=BB2_5547 Depth=3
	s_or_saveexec_b32 s73, s73
	v_mov_b32_e32 v78, 0x7f800001
	s_xor_b32 exec_lo, exec_lo, s73
	s_cbranch_execz .LBB2_5823
.LBB2_6138:                             ;   in Loop: Header=BB2_5547 Depth=3
	v_cmp_ne_u16_sdwa s74, v93, v2 src0_sel:BYTE_0 src1_sel:DWORD
	v_mov_b32_e32 v78, 0
	s_andn2_b32 s17, s17, exec_lo
	s_and_b32 s74, s74, exec_lo
	s_or_b32 s17, s17, s74
	s_or_b32 exec_lo, exec_lo, s73
	v_lshl_or_b32 v93, v93, 16, v94
	s_and_saveexec_b32 s73, s17
	s_cbranch_execnz .LBB2_5824
	s_branch .LBB2_5825
.LBB2_6139:                             ;   in Loop: Header=BB2_5547 Depth=3
	s_or_saveexec_b32 s73, s73
	v_mov_b32_e32 v94, 0x7f800001
	s_xor_b32 exec_lo, exec_lo, s73
	s_cbranch_execz .LBB2_5829
.LBB2_6140:                             ;   in Loop: Header=BB2_5547 Depth=3
	v_cmp_ne_u16_e32 vcc_lo, 0, v95
	v_mov_b32_e32 v94, 0
	s_andn2_b32 s17, s17, exec_lo
	s_and_b32 s74, vcc_lo, exec_lo
	s_or_b32 s17, s17, s74
	s_or_b32 exec_lo, exec_lo, s73
	s_and_saveexec_b32 s73, s17
	s_cbranch_execnz .LBB2_5830
	s_branch .LBB2_5831
.LBB2_6141:                             ;   in Loop: Header=BB2_5547 Depth=3
	s_or_saveexec_b32 s73, s73
	v_mov_b32_e32 v94, 0x7f800001
	s_xor_b32 exec_lo, exec_lo, s73
	s_cbranch_execz .LBB2_5843
.LBB2_6142:                             ;   in Loop: Header=BB2_5547 Depth=3
	v_cmp_ne_u16_sdwa s74, v93, v2 src0_sel:BYTE_3 src1_sel:DWORD
	v_mov_b32_e32 v94, 0
	s_andn2_b32 s17, s17, exec_lo
	s_and_b32 s74, s74, exec_lo
	s_or_b32 s17, s17, s74
	s_or_b32 exec_lo, exec_lo, s73
	s_and_saveexec_b32 s73, s17
	s_cbranch_execnz .LBB2_5844
	s_branch .LBB2_5845
.LBB2_6143:                             ;   in Loop: Header=BB2_5547 Depth=3
	s_or_saveexec_b32 s73, s73
	v_mov_b32_e32 v93, 0x7f800001
	s_xor_b32 exec_lo, exec_lo, s73
	s_cbranch_execz .LBB2_5849
.LBB2_6144:                             ;   in Loop: Header=BB2_5547 Depth=3
	v_cmp_ne_u16_sdwa s74, v8, v2 src0_sel:BYTE_3 src1_sel:DWORD
	v_mov_b32_e32 v93, 0
	s_andn2_b32 s17, s17, exec_lo
	s_and_b32 s74, s74, exec_lo
	s_or_b32 s17, s17, s74
	s_or_b32 exec_lo, exec_lo, s73
	s_and_saveexec_b32 s73, s17
	s_cbranch_execnz .LBB2_5850
	s_branch .LBB2_5851
.LBB2_6145:                             ;   in Loop: Header=BB2_5547 Depth=3
	s_or_saveexec_b32 s73, s73
	v_mov_b32_e32 v90, 0x7f800001
	s_xor_b32 exec_lo, exec_lo, s73
	s_cbranch_execz .LBB2_5863
.LBB2_6146:                             ;   in Loop: Header=BB2_5547 Depth=3
	v_cmp_ne_u16_sdwa s74, v93, v2 src0_sel:BYTE_0 src1_sel:DWORD
	v_mov_b32_e32 v90, 0
	s_andn2_b32 s17, s17, exec_lo
	s_and_b32 s74, s74, exec_lo
	s_or_b32 s17, s17, s74
	s_or_b32 exec_lo, exec_lo, s73
	s_and_saveexec_b32 s73, s17
	s_cbranch_execnz .LBB2_5864
	s_branch .LBB2_5865
.LBB2_6147:                             ;   in Loop: Header=BB2_5547 Depth=3
	s_or_saveexec_b32 s73, s73
	v_mov_b32_e32 v92, 0x7f800001
	s_xor_b32 exec_lo, exec_lo, s73
	s_cbranch_execz .LBB2_5869
.LBB2_6148:                             ;   in Loop: Header=BB2_5547 Depth=3
	v_cmp_ne_u16_sdwa s74, v9, v2 src0_sel:BYTE_0 src1_sel:DWORD
	v_mov_b32_e32 v92, 0
	s_andn2_b32 s17, s17, exec_lo
	s_and_b32 s74, s74, exec_lo
	s_or_b32 s17, s17, s74
	s_or_b32 exec_lo, exec_lo, s73
	s_and_saveexec_b32 s73, s17
	s_cbranch_execnz .LBB2_5870
	s_branch .LBB2_5871
.LBB2_6149:                             ;   in Loop: Header=BB2_5547 Depth=3
	s_or_saveexec_b32 s73, s73
	v_mov_b32_e32 v92, 0x7f800001
	s_xor_b32 exec_lo, exec_lo, s73
	s_cbranch_execz .LBB2_5883
.LBB2_6150:                             ;   in Loop: Header=BB2_5547 Depth=3
	v_cmp_ne_u16_sdwa s74, v93, v2 src0_sel:BYTE_1 src1_sel:DWORD
	v_mov_b32_e32 v92, 0
	s_andn2_b32 s17, s17, exec_lo
	s_and_b32 s74, s74, exec_lo
	s_or_b32 s17, s17, s74
	s_or_b32 exec_lo, exec_lo, s73
	s_and_saveexec_b32 s73, s17
	s_cbranch_execnz .LBB2_5884
	s_branch .LBB2_5885
.LBB2_6151:                             ;   in Loop: Header=BB2_5547 Depth=3
	s_or_saveexec_b32 s73, s73
	v_mov_b32_e32 v94, 0x7f800001
	s_xor_b32 exec_lo, exec_lo, s73
	s_cbranch_execz .LBB2_5889
.LBB2_6152:                             ;   in Loop: Header=BB2_5547 Depth=3
	v_cmp_ne_u16_sdwa s74, v9, v2 src0_sel:BYTE_1 src1_sel:DWORD
	v_mov_b32_e32 v94, 0
	s_andn2_b32 s17, s17, exec_lo
	s_and_b32 s74, s74, exec_lo
	s_or_b32 s17, s17, s74
	s_or_b32 exec_lo, exec_lo, s73
	s_and_saveexec_b32 s73, s17
	s_cbranch_execnz .LBB2_5890
	s_branch .LBB2_5891
.LBB2_6153:                             ;   in Loop: Header=BB2_5547 Depth=3
	s_or_saveexec_b32 s73, s73
	v_mov_b32_e32 v88, 0x7f800001
	s_xor_b32 exec_lo, exec_lo, s73
	s_cbranch_execz .LBB2_5903
.LBB2_6154:                             ;   in Loop: Header=BB2_5547 Depth=3
	v_cmp_ne_u16_sdwa s74, v91, v2 src0_sel:BYTE_0 src1_sel:DWORD
	v_mov_b32_e32 v88, 0
	s_andn2_b32 s17, s17, exec_lo
	s_and_b32 s74, s74, exec_lo
	s_or_b32 s17, s17, s74
	s_or_b32 exec_lo, exec_lo, s73
	v_lshl_or_b32 v91, v91, 16, v93
	s_and_saveexec_b32 s73, s17
	s_cbranch_execnz .LBB2_5904
	s_branch .LBB2_5905
.LBB2_6155:                             ;   in Loop: Header=BB2_5547 Depth=3
	s_or_saveexec_b32 s73, s73
	v_mov_b32_e32 v93, 0x7f800001
	s_xor_b32 exec_lo, exec_lo, s73
	s_cbranch_execz .LBB2_5909
.LBB2_6156:                             ;   in Loop: Header=BB2_5547 Depth=3
	v_cmp_ne_u16_e32 vcc_lo, 0, v94
	v_mov_b32_e32 v93, 0
	s_andn2_b32 s17, s17, exec_lo
	s_and_b32 s74, vcc_lo, exec_lo
	s_or_b32 s17, s17, s74
	s_or_b32 exec_lo, exec_lo, s73
	s_and_saveexec_b32 s73, s17
	s_cbranch_execnz .LBB2_5910
	s_branch .LBB2_5911
.LBB2_6157:                             ;   in Loop: Header=BB2_5547 Depth=3
	s_or_saveexec_b32 s73, s73
	v_mov_b32_e32 v93, 0x7f800001
	s_xor_b32 exec_lo, exec_lo, s73
	s_cbranch_execz .LBB2_5923
.LBB2_6158:                             ;   in Loop: Header=BB2_5547 Depth=3
	v_cmp_ne_u16_sdwa s74, v91, v2 src0_sel:BYTE_3 src1_sel:DWORD
	v_mov_b32_e32 v93, 0
	s_andn2_b32 s17, s17, exec_lo
	s_and_b32 s74, s74, exec_lo
	s_or_b32 s17, s17, s74
	s_or_b32 exec_lo, exec_lo, s73
	s_and_saveexec_b32 s73, s17
	s_cbranch_execnz .LBB2_5924
	s_branch .LBB2_5925
.LBB2_6159:                             ;   in Loop: Header=BB2_5547 Depth=3
	s_or_saveexec_b32 s73, s73
	v_mov_b32_e32 v91, 0x7f800001
	s_xor_b32 exec_lo, exec_lo, s73
	s_cbranch_execz .LBB2_5929
.LBB2_6160:                             ;   in Loop: Header=BB2_5547 Depth=3
	v_cmp_ne_u16_sdwa s74, v9, v2 src0_sel:BYTE_3 src1_sel:DWORD
	v_mov_b32_e32 v91, 0
	s_andn2_b32 s17, s17, exec_lo
	s_and_b32 s74, s74, exec_lo
	s_or_b32 s17, s17, s74
	s_or_b32 exec_lo, exec_lo, s73
	s_and_saveexec_b32 s73, s17
	s_cbranch_execnz .LBB2_5930
	s_branch .LBB2_5931
.LBB2_6161:                             ;   in Loop: Header=BB2_5547 Depth=3
	s_or_saveexec_b32 s73, s73
	v_mov_b32_e32 v77, 0x7f800001
	s_xor_b32 exec_lo, exec_lo, s73
	s_cbranch_execz .LBB2_5943
.LBB2_6162:                             ;   in Loop: Header=BB2_5547 Depth=3
	v_cmp_ne_u16_sdwa s74, v91, v2 src0_sel:BYTE_0 src1_sel:DWORD
	v_mov_b32_e32 v77, 0
	s_andn2_b32 s17, s17, exec_lo
	s_and_b32 s74, s74, exec_lo
	s_or_b32 s17, s17, s74
	s_or_b32 exec_lo, exec_lo, s73
	s_and_saveexec_b32 s73, s17
	s_cbranch_execnz .LBB2_5944
	s_branch .LBB2_5945
.LBB2_6163:                             ;   in Loop: Header=BB2_5547 Depth=3
	s_or_saveexec_b32 s73, s73
	v_mov_b32_e32 v89, 0x7f800001
	s_xor_b32 exec_lo, exec_lo, s73
	s_cbranch_execz .LBB2_5949
.LBB2_6164:                             ;   in Loop: Header=BB2_5547 Depth=3
	v_cmp_ne_u16_sdwa s74, v10, v2 src0_sel:BYTE_0 src1_sel:DWORD
	v_mov_b32_e32 v89, 0
	s_andn2_b32 s17, s17, exec_lo
	s_and_b32 s74, s74, exec_lo
	s_or_b32 s17, s17, s74
	s_or_b32 exec_lo, exec_lo, s73
	s_and_saveexec_b32 s73, s17
	s_cbranch_execnz .LBB2_5950
	s_branch .LBB2_5951
.LBB2_6165:                             ;   in Loop: Header=BB2_5547 Depth=3
	s_or_saveexec_b32 s73, s73
	v_mov_b32_e32 v89, 0x7f800001
	s_xor_b32 exec_lo, exec_lo, s73
	s_cbranch_execz .LBB2_5963
.LBB2_6166:                             ;   in Loop: Header=BB2_5547 Depth=3
	v_cmp_ne_u16_sdwa s74, v91, v2 src0_sel:BYTE_1 src1_sel:DWORD
	v_mov_b32_e32 v89, 0
	s_andn2_b32 s17, s17, exec_lo
	s_and_b32 s74, s74, exec_lo
	s_or_b32 s17, s17, s74
	s_or_b32 exec_lo, exec_lo, s73
	s_and_saveexec_b32 s73, s17
	s_cbranch_execnz .LBB2_5964
	s_branch .LBB2_5965
.LBB2_6167:                             ;   in Loop: Header=BB2_5547 Depth=3
	s_or_saveexec_b32 s73, s73
	v_mov_b32_e32 v93, 0x7f800001
	s_xor_b32 exec_lo, exec_lo, s73
	s_cbranch_execz .LBB2_5969
.LBB2_6168:                             ;   in Loop: Header=BB2_5547 Depth=3
	v_cmp_ne_u16_sdwa s74, v10, v2 src0_sel:BYTE_1 src1_sel:DWORD
	v_mov_b32_e32 v93, 0
	s_andn2_b32 s17, s17, exec_lo
	s_and_b32 s74, s74, exec_lo
	s_or_b32 s17, s17, s74
	s_or_b32 exec_lo, exec_lo, s73
	s_and_saveexec_b32 s73, s17
	s_cbranch_execnz .LBB2_5970
	s_branch .LBB2_5971
.LBB2_6169:                             ;   in Loop: Header=BB2_5547 Depth=3
	s_or_saveexec_b32 s73, s73
	v_mov_b32_e32 v75, 0x7f800001
	s_xor_b32 exec_lo, exec_lo, s73
	s_cbranch_execz .LBB2_5983
.LBB2_6170:                             ;   in Loop: Header=BB2_5547 Depth=3
	v_cmp_ne_u16_sdwa s74, v79, v2 src0_sel:BYTE_0 src1_sel:DWORD
	v_mov_b32_e32 v75, 0
	s_andn2_b32 s17, s17, exec_lo
	s_and_b32 s74, s74, exec_lo
	s_or_b32 s17, s17, s74
	s_or_b32 exec_lo, exec_lo, s73
	v_lshl_or_b32 v79, v79, 16, v91
	s_and_saveexec_b32 s73, s17
	s_cbranch_execnz .LBB2_5984
	s_branch .LBB2_5985
.LBB2_6171:                             ;   in Loop: Header=BB2_5547 Depth=3
	s_or_saveexec_b32 s73, s73
	v_mov_b32_e32 v91, 0x7f800001
	s_xor_b32 exec_lo, exec_lo, s73
	s_cbranch_execz .LBB2_5989
.LBB2_6172:                             ;   in Loop: Header=BB2_5547 Depth=3
	v_cmp_ne_u16_e32 vcc_lo, 0, v93
	v_mov_b32_e32 v91, 0
	s_andn2_b32 s17, s17, exec_lo
	s_and_b32 s74, vcc_lo, exec_lo
	s_or_b32 s17, s17, s74
	s_or_b32 exec_lo, exec_lo, s73
	s_and_saveexec_b32 s73, s17
	s_cbranch_execnz .LBB2_5990
	s_branch .LBB2_5991
.LBB2_6173:                             ;   in Loop: Header=BB2_5547 Depth=3
	s_or_saveexec_b32 s73, s73
	v_mov_b32_e32 v91, 0x7f800001
	s_xor_b32 exec_lo, exec_lo, s73
	s_cbranch_execz .LBB2_6003
.LBB2_6174:                             ;   in Loop: Header=BB2_5547 Depth=3
	v_cmp_ne_u16_sdwa s74, v79, v2 src0_sel:BYTE_3 src1_sel:DWORD
	v_mov_b32_e32 v91, 0
	s_andn2_b32 s17, s17, exec_lo
	s_and_b32 s74, s74, exec_lo
	s_or_b32 s17, s17, s74
	s_or_b32 exec_lo, exec_lo, s73
	s_and_saveexec_b32 s73, s17
	s_cbranch_execnz .LBB2_6004
	s_branch .LBB2_6005
.LBB2_6175:                             ;   in Loop: Header=BB2_5547 Depth=3
	s_or_saveexec_b32 s73, s73
	v_mov_b32_e32 v79, 0x7f800001
	s_xor_b32 exec_lo, exec_lo, s73
	s_cbranch_execz .LBB2_6009
.LBB2_6176:                             ;   in Loop: Header=BB2_5547 Depth=3
	v_cmp_ne_u16_sdwa s74, v10, v2 src0_sel:BYTE_3 src1_sel:DWORD
	v_mov_b32_e32 v79, 0
	s_andn2_b32 s17, s17, exec_lo
	s_and_b32 s74, s74, exec_lo
	s_or_b32 s17, s17, s74
	s_or_b32 exec_lo, exec_lo, s73
	s_and_saveexec_b32 s73, s17
	s_cbranch_execnz .LBB2_6010
	s_branch .LBB2_6011
.LBB2_6177:                             ;   in Loop: Header=BB2_5547 Depth=3
	s_or_saveexec_b32 s73, s73
	v_mov_b32_e32 v72, 0x7f800001
	s_xor_b32 exec_lo, exec_lo, s73
	s_cbranch_execz .LBB2_6023
.LBB2_6178:                             ;   in Loop: Header=BB2_5547 Depth=3
	v_cmp_ne_u16_sdwa s74, v76, v2 src0_sel:BYTE_0 src1_sel:DWORD
	v_mov_b32_e32 v72, 0
	s_andn2_b32 s17, s17, exec_lo
	s_and_b32 s74, s74, exec_lo
	s_or_b32 s17, s17, s74
	s_or_b32 exec_lo, exec_lo, s73
	s_and_saveexec_b32 s73, s17
	s_cbranch_execnz .LBB2_6024
	s_branch .LBB2_6025
.LBB2_6179:                             ;   in Loop: Header=BB2_5547 Depth=3
	s_or_saveexec_b32 s73, s73
	v_mov_b32_e32 v79, 0x7f800001
	s_xor_b32 exec_lo, exec_lo, s73
	s_cbranch_execz .LBB2_6029
.LBB2_6180:                             ;   in Loop: Header=BB2_5547 Depth=3
	v_cmp_ne_u16_sdwa s74, v11, v2 src0_sel:BYTE_0 src1_sel:DWORD
	v_mov_b32_e32 v79, 0
	s_andn2_b32 s17, s17, exec_lo
	s_and_b32 s74, s74, exec_lo
	s_or_b32 s17, s17, s74
	s_or_b32 exec_lo, exec_lo, s73
	s_and_saveexec_b32 s73, s17
	s_cbranch_execnz .LBB2_6030
	s_branch .LBB2_6031
.LBB2_6181:                             ;   in Loop: Header=BB2_5547 Depth=3
	s_or_saveexec_b32 s73, s73
	v_mov_b32_e32 v79, 0x7f800001
	s_xor_b32 exec_lo, exec_lo, s73
	s_cbranch_execz .LBB2_6043
.LBB2_6182:                             ;   in Loop: Header=BB2_5547 Depth=3
	v_cmp_ne_u16_sdwa s74, v76, v2 src0_sel:BYTE_1 src1_sel:DWORD
	v_mov_b32_e32 v79, 0
	s_andn2_b32 s17, s17, exec_lo
	s_and_b32 s74, s74, exec_lo
	s_or_b32 s17, s17, s74
	s_or_b32 exec_lo, exec_lo, s73
	s_and_saveexec_b32 s73, s17
	s_cbranch_execnz .LBB2_6044
	s_branch .LBB2_6045
.LBB2_6183:                             ;   in Loop: Header=BB2_5547 Depth=3
	s_or_saveexec_b32 s73, s73
	v_mov_b32_e32 v91, 0x7f800001
	s_xor_b32 exec_lo, exec_lo, s73
	s_cbranch_execz .LBB2_6049
.LBB2_6184:                             ;   in Loop: Header=BB2_5547 Depth=3
	v_cmp_ne_u16_sdwa s74, v11, v2 src0_sel:BYTE_1 src1_sel:DWORD
	v_mov_b32_e32 v91, 0
	s_andn2_b32 s17, s17, exec_lo
	s_and_b32 s74, s74, exec_lo
	s_or_b32 s17, s17, s74
	s_or_b32 exec_lo, exec_lo, s73
	s_and_saveexec_b32 s73, s17
	s_cbranch_execnz .LBB2_6050
	s_branch .LBB2_6051
.LBB2_6185:                             ;   in Loop: Header=BB2_5547 Depth=3
	s_or_saveexec_b32 s73, s73
	v_mov_b32_e32 v63, 0x7f800001
	s_xor_b32 exec_lo, exec_lo, s73
	s_cbranch_execz .LBB2_6063
.LBB2_6186:                             ;   in Loop: Header=BB2_5547 Depth=3
	v_cmp_ne_u16_sdwa s74, v74, v2 src0_sel:BYTE_0 src1_sel:DWORD
	v_mov_b32_e32 v63, 0
	s_andn2_b32 s17, s17, exec_lo
	s_and_b32 s74, s74, exec_lo
	s_or_b32 s17, s17, s74
	s_or_b32 exec_lo, exec_lo, s73
	v_lshl_or_b32 v74, v74, 16, v76
	s_and_saveexec_b32 s73, s17
	s_cbranch_execnz .LBB2_6064
	s_branch .LBB2_6065
.LBB2_6187:                             ;   in Loop: Header=BB2_5547 Depth=3
	s_or_saveexec_b32 s73, s73
	v_mov_b32_e32 v76, 0x7f800001
	s_xor_b32 exec_lo, exec_lo, s73
	s_cbranch_execz .LBB2_6069
.LBB2_6188:                             ;   in Loop: Header=BB2_5547 Depth=3
	v_cmp_ne_u16_e32 vcc_lo, 0, v91
	v_mov_b32_e32 v76, 0
	s_andn2_b32 s17, s17, exec_lo
	s_and_b32 s74, vcc_lo, exec_lo
	s_or_b32 s17, s17, s74
	s_or_b32 exec_lo, exec_lo, s73
	s_and_saveexec_b32 s73, s17
	s_cbranch_execnz .LBB2_6070
	s_branch .LBB2_6071
.LBB2_6189:                             ;   in Loop: Header=BB2_5547 Depth=3
	s_or_saveexec_b32 s73, s73
	v_mov_b32_e32 v76, 0x7f800001
	s_xor_b32 exec_lo, exec_lo, s73
	s_cbranch_execz .LBB2_6083
.LBB2_6190:                             ;   in Loop: Header=BB2_5547 Depth=3
	v_cmp_ne_u16_sdwa s74, v74, v2 src0_sel:BYTE_3 src1_sel:DWORD
	v_mov_b32_e32 v76, 0
	s_andn2_b32 s17, s17, exec_lo
	s_and_b32 s74, s74, exec_lo
	s_or_b32 s17, s17, s74
	s_or_b32 exec_lo, exec_lo, s73
	s_and_saveexec_b32 s73, s17
	s_cbranch_execnz .LBB2_6084
	s_branch .LBB2_6085
.LBB2_6191:                             ;   in Loop: Header=BB2_5547 Depth=3
	s_or_saveexec_b32 s73, s73
	v_mov_b32_e32 v74, 0x7f800001
	s_xor_b32 exec_lo, exec_lo, s73
	s_cbranch_execz .LBB2_6089
.LBB2_6192:                             ;   in Loop: Header=BB2_5547 Depth=3
	v_cmp_ne_u16_sdwa s74, v11, v2 src0_sel:BYTE_3 src1_sel:DWORD
	v_mov_b32_e32 v74, 0
	s_andn2_b32 s17, s17, exec_lo
	s_and_b32 s74, s74, exec_lo
	s_or_b32 s17, s17, s74
	s_or_b32 exec_lo, exec_lo, s73
	s_and_saveexec_b32 s73, s17
	s_cbranch_execnz .LBB2_6090
	s_branch .LBB2_6091
.LBB2_6193:                             ;   in Loop: Header=BB2_3107 Depth=2
	s_or_b32 exec_lo, exec_lo, s22
.LBB2_6194:                             ;   in Loop: Header=BB2_3107 Depth=2
	s_or_b32 exec_lo, exec_lo, s19
	v_and_b32_e32 v8, 15, v56
	v_cmp_lt_i32_e32 vcc_lo, 0, v60
	v_sub_nc_u32_e32 v9, v57, v8
	v_cndmask_b32_e32 v10, 0, v83, vcc_lo
	v_cndmask_b32_e64 v65, v57, v8, s16
	v_cndmask_b32_e64 v8, 0, v9, s16
	v_sub_nc_u32_e32 v9, v10, v60
	v_cmp_ne_u32_e32 vcc_lo, 0, v65
	v_add3_u32 v64, v59, v47, v8
	v_lshl_add_u32 v66, v9, 5, v58
	s_and_b32 s19, vcc_lo, exec_lo
.LBB2_6195:                             ;   in Loop: Header=BB2_3107 Depth=2
	s_or_b32 exec_lo, exec_lo, s18
	s_and_saveexec_b32 s17, s19
	s_cbranch_execz .LBB2_6580
.LBB2_6196:                             ;   in Loop: Header=BB2_3107 Depth=2
	v_ashrrev_i32_e32 v8, 31, v66
	v_ashrrev_i32_e32 v9, 31, v65
	s_mov_b32 s18, exec_lo
	v_lshrrev_b32_e32 v8, 27, v8
	v_add_nc_u32_sdwa v9, v65, v9 dst_sel:DWORD dst_unused:UNUSED_PAD src0_sel:DWORD src1_sel:BYTE_3
	v_add_nc_u32_e32 v8, v66, v8
	v_ashrrev_i32_e32 v69, 8, v9
	v_ashrrev_i32_e32 v67, 5, v8
	v_sub_nc_u32_e32 v68, v69, v67
	v_cmpx_lt_i32_e32 0, v68
	s_cbranch_execz .LBB2_6528
; %bb.6197:                             ;   in Loop: Header=BB2_3107 Depth=2
	v_and_b32_e32 v8, 0xffffffe0, v8
	s_trap 2
	ds_read_b64 v[10:11], v0
	v_lshlrev_b32_e32 v9, 8, v67
	v_add_co_u32 v53, vcc_lo, 0xe0, v53
	v_sub_nc_u32_e32 v8, v66, v8
	v_add_co_ci_u32_e64 v54, null, 0, v54, vcc_lo
	s_mov_b32 s19, 0
	v_add3_u32 v47, v64, v8, v9
	v_ashrrev_i32_e32 v56, 31, v47
	v_add_co_u32 v8, vcc_lo, v47, v51
	v_add_co_ci_u32_e64 v9, null, v56, v52, vcc_lo
	s_waitcnt lgkmcnt(0)
	v_add_co_u32 v10, vcc_lo, v10, v47
	v_add_co_ci_u32_e64 v11, null, v11, v56, vcc_lo
	v_add_co_u32 v51, vcc_lo, v53, v47
	v_add_co_ci_u32_e64 v52, null, v54, v56, vcc_lo
	s_branch .LBB2_6201
.LBB2_6198:                             ;   in Loop: Header=BB2_6201 Depth=3
	s_or_b32 exec_lo, exec_lo, s16
	v_lshrrev_b32_e32 v58, 21, v58
	v_cmp_gt_i32_e32 vcc_lo, 32, v54
	v_min_i32_e32 v63, 31, v54
	v_and_b32_sdwa v53, v53, v98 dst_sel:DWORD dst_unused:UNUSED_PAD src0_sel:BYTE_3 src1_sel:DWORD
	v_cndmask_b32_e32 v58, 3, v58, vcc_lo
	v_lshlrev_b32_e32 v63, 2, v63
	v_and_b32_e32 v72, 3, v58
	v_or_b32_e32 v54, v54, v58
	v_or3_b32 v53, v63, v53, v72
	v_cmp_ne_u32_e32 vcc_lo, 0, v54
	v_cndmask_b32_e32 v54, 0, v53, vcc_lo
.LBB2_6199:                             ;   in Loop: Header=BB2_6201 Depth=3
	s_or_b32 exec_lo, exec_lo, s23
.LBB2_6200:                             ;   in Loop: Header=BB2_6201 Depth=3
	s_or_b32 exec_lo, exec_lo, s22
	v_add_co_u32 v72, vcc_lo, 0xffffff20, v51
	v_add_co_ci_u32_e64 v73, null, -1, v52, vcc_lo
	v_add_co_u32 v74, vcc_lo, 0xffffff40, v51
	v_add_co_ci_u32_e64 v75, null, -1, v52, vcc_lo
	flat_store_byte v[72:73], v47 glc slc
	flat_store_byte v[74:75], v61 glc slc
	v_add_co_u32 v72, vcc_lo, 0xffffff60, v51
	v_add_co_ci_u32_e64 v73, null, -1, v52, vcc_lo
	v_add_co_u32 v74, vcc_lo, 0xffffff80, v51
	v_add_co_ci_u32_e64 v75, null, -1, v52, vcc_lo
	;; [unrolled: 2-line block ×4, first 2 shown]
	v_add_co_u32 v88, vcc_lo, 0xffffffe0, v51
	v_sub_nc_u32_e32 v68, v68, v83
	v_add_co_ci_u32_e64 v89, null, -1, v52, vcc_lo
	v_add_co_u32 v8, vcc_lo, v8, v115
	v_add_co_ci_u32_e64 v9, null, 0, v9, vcc_lo
	v_add_co_u32 v10, vcc_lo, v10, v115
	flat_store_byte v[72:73], v62 glc slc
	flat_store_byte v[74:75], v60 glc slc
	;; [unrolled: 1-line block ×6, first 2 shown]
	v_add_co_ci_u32_e64 v11, null, 0, v11, vcc_lo
	v_cmp_gt_i32_e32 vcc_lo, 1, v68
	v_add_co_u32 v51, s16, v51, v115
	v_add_co_ci_u32_e64 v52, null, 0, v52, s16
	s_or_b32 s19, vcc_lo, s19
	s_andn2_b32 exec_lo, exec_lo, s19
	s_cbranch_execz .LBB2_6527
.LBB2_6201:                             ;   Parent Loop BB2_47 Depth=1
                                        ;     Parent Loop BB2_3107 Depth=2
                                        ; =>    This Inner Loop Header: Depth=3
	s_trap 2
	ds_read_b64 v[53:54], v0
	s_waitcnt lgkmcnt(0)
	v_readfirstlane_b32 s16, v53
	s_and_b32 s22, s16, 0xff
	s_cmpk_lt_i32 s22, 0x80
	s_cbranch_scc1 .LBB2_6205
; %bb.6202:                             ;   in Loop: Header=BB2_6201 Depth=3
	s_and_b32 s23, 0xffff, s22
	s_cmpk_eq_i32 s23, 0x80
	s_mov_b32 s23, -1
	s_cbranch_scc0 .LBB2_6204
; %bb.6203:                             ;   in Loop: Header=BB2_6201 Depth=3
	s_mov_b32 s23, 0
.LBB2_6204:                             ;   in Loop: Header=BB2_6201 Depth=3
	s_mov_b32 s72, 0x7f800001
	s_branch .LBB2_6207
.LBB2_6205:                             ;   in Loop: Header=BB2_6201 Depth=3
	s_mov_b32 s23, 0
	s_mov_b32 s72, 0x7f800001
	s_cbranch_execz .LBB2_6207
; %bb.6206:                             ;   in Loop: Header=BB2_6201 Depth=3
	s_and_b32 s22, 0xffff, s22
	s_mov_b32 s72, 0
	s_cmp_lg_u32 s22, 0
	s_cselect_b32 s23, -1, 0
.LBB2_6207:                             ;   in Loop: Header=BB2_6201 Depth=3
	v_mov_b32_e32 v54, s72
	s_andn2_b32 vcc_lo, exec_lo, s23
	s_cbranch_vccnz .LBB2_6209
; %bb.6208:                             ;   in Loop: Header=BB2_6201 Depth=3
	s_and_b32 s22, s16, 3
	s_bfe_u32 s72, s16, 0x50002
	s_flbit_i32_b32 s23, s22
	v_lshlrev_b32_e32 v53, 24, v53
	s_min_u32 s23, s23, 32
	s_sub_i32 s73, s23, 29
	s_sub_i32 s23, 30, s23
	s_lshl_b32 s16, s16, s73
	v_and_b32_e32 v53, 0x80000000, v53
	s_and_b32 s16, s16, 3
	s_cmp_eq_u32 s72, 0
	s_cselect_b32 s23, s23, s72
	s_cselect_b32 s16, s16, s22
	s_lshl_b32 s22, s23, 23
	s_lshl_b32 s16, s16, 21
	s_add_i32 s22, s22, 0x37800000
	v_or_b32_e32 v53, s22, v53
	v_or_b32_e32 v54, s16, v53
.LBB2_6209:                             ;   in Loop: Header=BB2_6201 Depth=3
	flat_load_ubyte v53, v[8:9] slc
	s_mov_b32 s16, 0
	s_mov_b32 s22, exec_lo
	s_waitcnt vmcnt(0) lgkmcnt(0)
	v_cmpx_lt_i16_e32 0x7f, v53
	s_xor_b32 s22, exec_lo, s22
	s_cbranch_execz .LBB2_6479
; %bb.6210:                             ;   in Loop: Header=BB2_6201 Depth=3
	s_mov_b32 s16, -1
	s_mov_b32 s23, exec_lo
	v_cmpx_eq_u16_e32 0x80, v53
; %bb.6211:                             ;   in Loop: Header=BB2_6201 Depth=3
	s_xor_b32 s16, exec_lo, -1
; %bb.6212:                             ;   in Loop: Header=BB2_6201 Depth=3
	s_or_b32 exec_lo, exec_lo, s23
	s_and_b32 s16, s16, exec_lo
	s_or_saveexec_b32 s22, s22
	v_mov_b32_e32 v47, 0x7f800001
	s_xor_b32 exec_lo, exec_lo, s22
	s_cbranch_execnz .LBB2_6480
.LBB2_6213:                             ;   in Loop: Header=BB2_6201 Depth=3
	s_or_b32 exec_lo, exec_lo, s22
	s_and_saveexec_b32 s22, s16
	s_cbranch_execz .LBB2_6215
.LBB2_6214:                             ;   in Loop: Header=BB2_6201 Depth=3
	v_and_b32_e32 v47, 0xffff, v53
	v_lshlrev_b32_e32 v53, 24, v53
	v_and_b32_e32 v56, 3, v47
	v_bfe_u32 v59, v47, 2, 5
	v_and_b32_e32 v53, 0x80000000, v53
	v_ffbh_u32_e32 v57, v56
	v_cmp_eq_u32_e32 vcc_lo, 0, v59
	v_min_u32_e32 v57, 32, v57
	v_subrev_nc_u32_e32 v58, 29, v57
	v_sub_nc_u32_e32 v57, 30, v57
	v_lshlrev_b32_e32 v47, v58, v47
	v_cndmask_b32_e32 v57, v59, v57, vcc_lo
	v_and_b32_e32 v47, 3, v47
	v_cndmask_b32_e32 v47, v56, v47, vcc_lo
	v_lshl_add_u32 v56, v57, 23, 0x37800000
	v_lshlrev_b32_e32 v47, 21, v47
	v_or3_b32 v47, v53, v56, v47
.LBB2_6215:                             ;   in Loop: Header=BB2_6201 Depth=3
	s_or_b32 exec_lo, exec_lo, s22
	v_mul_f32_e32 v53, v54, v47
	v_and_b32_e32 v47, 0x7f800000, v53
	v_cmp_ne_u32_e32 vcc_lo, 0x7f800000, v47
	v_mov_b32_e32 v47, 0x80
	s_and_saveexec_b32 s22, vcc_lo
	s_cbranch_execz .LBB2_6223
; %bb.6216:                             ;   in Loop: Header=BB2_6201 Depth=3
	v_mov_b32_e32 v47, 0
	s_mov_b32 s23, exec_lo
	v_cmpx_ne_u32_e32 0, v53
	s_cbranch_execz .LBB2_6222
; %bb.6217:                             ;   in Loop: Header=BB2_6201 Depth=3
	v_bfe_u32 v47, v53, 23, 8
	v_and_b32_e32 v56, 0x7fffff, v53
	v_sub_nc_u32_e32 v57, 0x70, v47
	v_cmp_gt_u32_e32 vcc_lo, 0x71, v47
	v_or_b32_e32 v58, 0x800000, v56
	v_cndmask_b32_e32 v57, 0, v57, vcc_lo
	v_cmp_eq_u32_e32 vcc_lo, 0, v47
	v_add_nc_u32_e32 v47, 0xffffff91, v47
	v_cndmask_b32_e64 v57, v57, 0x6f, vcc_lo
	v_cndmask_b32_e32 v56, v58, v56, vcc_lo
	v_cndmask_b32_e64 v47, v47, 0xffffff92, vcc_lo
	v_lshl_add_u32 v58, 0x200000, v57, -1
	v_lshrrev_b32_e32 v59, v57, v56
	v_lshlrev_b32_e64 v61, v57, 0x100000
	v_add_nc_u32_e32 v57, v57, v47
	v_and_b32_e32 v56, v58, v56
	v_bfe_u32 v60, v59, 21, 1
	v_cmp_eq_u32_e64 s16, v56, v61
	v_add_nc_u32_e32 v58, -1, v60
	v_cndmask_b32_e64 v56, 0, v58, s16
	v_lshrrev_b32_e32 v58, 23, v59
	s_mov_b32 s16, exec_lo
	v_add_nc_u32_e32 v56, v56, v59
	v_xor_b32_e32 v58, 1, v58
	v_and_b32_e32 v47, 0x1fffff, v56
	v_add_nc_u32_e32 v56, v47, v59
                                        ; implicit-def: $vgpr47
	v_cmpx_ne_u32_e64 v57, v58
	s_xor_b32 s16, exec_lo, s16
; %bb.6218:                             ;   in Loop: Header=BB2_6201 Depth=3
	v_cmp_lt_u32_e32 vcc_lo, 0xffffff, v56
	v_sub_nc_u32_e32 v47, v57, v58
	v_cndmask_b32_e64 v57, 0, 1, vcc_lo
	v_add_co_ci_u32_e64 v47, null, 0, v47, vcc_lo
	v_lshrrev_b32_e32 v56, v57, v56
; %bb.6219:                             ;   in Loop: Header=BB2_6201 Depth=3
	s_andn2_saveexec_b32 s16, s16
; %bb.6220:                             ;   in Loop: Header=BB2_6201 Depth=3
	v_bfe_u32 v47, v56, 23, 1
; %bb.6221:                             ;   in Loop: Header=BB2_6201 Depth=3
	s_or_b32 exec_lo, exec_lo, s16
	v_lshrrev_b32_e32 v56, 21, v56
	v_cmp_gt_i32_e32 vcc_lo, 32, v47
	v_min_i32_e32 v57, 31, v47
	v_and_b32_sdwa v53, v53, v98 dst_sel:DWORD dst_unused:UNUSED_PAD src0_sel:BYTE_3 src1_sel:DWORD
	v_cndmask_b32_e32 v56, 3, v56, vcc_lo
	v_lshlrev_b32_e32 v57, 2, v57
	v_and_b32_e32 v58, 3, v56
	v_or_b32_e32 v47, v47, v56
	v_or3_b32 v53, v57, v53, v58
	v_cmp_ne_u32_e32 vcc_lo, 0, v47
	v_cndmask_b32_e32 v47, 0, v53, vcc_lo
.LBB2_6222:                             ;   in Loop: Header=BB2_6201 Depth=3
	s_or_b32 exec_lo, exec_lo, s23
.LBB2_6223:                             ;   in Loop: Header=BB2_6201 Depth=3
	s_or_b32 exec_lo, exec_lo, s22
	flat_load_ubyte v53, v[8:9] offset:32 slc
	s_mov_b32 s16, 0
	s_mov_b32 s22, exec_lo
	s_waitcnt vmcnt(0) lgkmcnt(0)
	v_cmpx_lt_i16_e32 0x7f, v53
	s_xor_b32 s22, exec_lo, s22
	s_cbranch_execz .LBB2_6481
; %bb.6224:                             ;   in Loop: Header=BB2_6201 Depth=3
	s_mov_b32 s16, -1
	s_mov_b32 s23, exec_lo
	v_cmpx_eq_u16_e32 0x80, v53
; %bb.6225:                             ;   in Loop: Header=BB2_6201 Depth=3
	s_xor_b32 s16, exec_lo, -1
; %bb.6226:                             ;   in Loop: Header=BB2_6201 Depth=3
	s_or_b32 exec_lo, exec_lo, s23
	s_and_b32 s16, s16, exec_lo
	s_or_saveexec_b32 s22, s22
	v_mov_b32_e32 v56, 0x7f800001
	s_xor_b32 exec_lo, exec_lo, s22
	s_cbranch_execnz .LBB2_6482
.LBB2_6227:                             ;   in Loop: Header=BB2_6201 Depth=3
	s_or_b32 exec_lo, exec_lo, s22
	s_and_saveexec_b32 s22, s16
	s_cbranch_execz .LBB2_6229
.LBB2_6228:                             ;   in Loop: Header=BB2_6201 Depth=3
	v_and_b32_e32 v56, 0xffff, v53
	v_lshlrev_b32_e32 v53, 24, v53
	v_and_b32_e32 v57, 3, v56
	v_bfe_u32 v60, v56, 2, 5
	v_and_b32_e32 v53, 0x80000000, v53
	v_ffbh_u32_e32 v58, v57
	v_cmp_eq_u32_e32 vcc_lo, 0, v60
	v_min_u32_e32 v58, 32, v58
	v_subrev_nc_u32_e32 v59, 29, v58
	v_sub_nc_u32_e32 v58, 30, v58
	v_lshlrev_b32_e32 v56, v59, v56
	v_cndmask_b32_e32 v58, v60, v58, vcc_lo
	v_and_b32_e32 v56, 3, v56
	v_cndmask_b32_e32 v56, v57, v56, vcc_lo
	v_lshl_add_u32 v57, v58, 23, 0x37800000
	v_lshlrev_b32_e32 v56, 21, v56
	v_or3_b32 v56, v53, v57, v56
.LBB2_6229:                             ;   in Loop: Header=BB2_6201 Depth=3
	s_or_b32 exec_lo, exec_lo, s22
	v_mul_f32_e32 v53, v54, v56
	v_mov_b32_e32 v61, 0x80
	s_mov_b32 s22, exec_lo
	v_and_b32_e32 v56, 0x7f800000, v53
	v_cmpx_ne_u32_e32 0x7f800000, v56
	s_cbranch_execz .LBB2_6237
; %bb.6230:                             ;   in Loop: Header=BB2_6201 Depth=3
	v_mov_b32_e32 v61, 0
	s_mov_b32 s23, exec_lo
	v_cmpx_ne_u32_e32 0, v53
	s_cbranch_execz .LBB2_6236
; %bb.6231:                             ;   in Loop: Header=BB2_6201 Depth=3
	v_bfe_u32 v56, v53, 23, 8
	v_and_b32_e32 v57, 0x7fffff, v53
	v_sub_nc_u32_e32 v58, 0x70, v56
	v_cmp_gt_u32_e32 vcc_lo, 0x71, v56
	v_or_b32_e32 v59, 0x800000, v57
	v_cndmask_b32_e32 v58, 0, v58, vcc_lo
	v_cmp_eq_u32_e32 vcc_lo, 0, v56
	v_add_nc_u32_e32 v56, 0xffffff91, v56
	v_cndmask_b32_e64 v58, v58, 0x6f, vcc_lo
	v_cndmask_b32_e32 v57, v59, v57, vcc_lo
	v_cndmask_b32_e64 v56, v56, 0xffffff92, vcc_lo
	v_lshl_add_u32 v59, 0x200000, v58, -1
	v_lshrrev_b32_e32 v60, v58, v57
	v_lshlrev_b32_e64 v62, v58, 0x100000
	v_add_nc_u32_e32 v58, v58, v56
	v_and_b32_e32 v57, v59, v57
	v_bfe_u32 v61, v60, 21, 1
	v_cmp_eq_u32_e64 s16, v57, v62
	v_add_nc_u32_e32 v59, -1, v61
	v_cndmask_b32_e64 v57, 0, v59, s16
	v_lshrrev_b32_e32 v59, 23, v60
	s_mov_b32 s16, exec_lo
	v_add_nc_u32_e32 v57, v57, v60
	v_xor_b32_e32 v59, 1, v59
	v_and_b32_e32 v56, 0x1fffff, v57
	v_add_nc_u32_e32 v57, v56, v60
                                        ; implicit-def: $vgpr56
	v_cmpx_ne_u32_e64 v58, v59
	s_xor_b32 s16, exec_lo, s16
; %bb.6232:                             ;   in Loop: Header=BB2_6201 Depth=3
	v_cmp_lt_u32_e32 vcc_lo, 0xffffff, v57
	v_sub_nc_u32_e32 v56, v58, v59
	v_cndmask_b32_e64 v58, 0, 1, vcc_lo
	v_add_co_ci_u32_e64 v56, null, 0, v56, vcc_lo
	v_lshrrev_b32_e32 v57, v58, v57
; %bb.6233:                             ;   in Loop: Header=BB2_6201 Depth=3
	s_andn2_saveexec_b32 s16, s16
; %bb.6234:                             ;   in Loop: Header=BB2_6201 Depth=3
	v_bfe_u32 v56, v57, 23, 1
; %bb.6235:                             ;   in Loop: Header=BB2_6201 Depth=3
	s_or_b32 exec_lo, exec_lo, s16
	v_lshrrev_b32_e32 v57, 21, v57
	v_cmp_gt_i32_e32 vcc_lo, 32, v56
	v_min_i32_e32 v58, 31, v56
	v_and_b32_sdwa v53, v53, v98 dst_sel:DWORD dst_unused:UNUSED_PAD src0_sel:BYTE_3 src1_sel:DWORD
	v_cndmask_b32_e32 v57, 3, v57, vcc_lo
	v_lshlrev_b32_e32 v58, 2, v58
	v_and_b32_e32 v59, 3, v57
	v_or_b32_e32 v56, v56, v57
	v_or3_b32 v53, v58, v53, v59
	v_cmp_ne_u32_e32 vcc_lo, 0, v56
	v_cndmask_b32_e32 v61, 0, v53, vcc_lo
.LBB2_6236:                             ;   in Loop: Header=BB2_6201 Depth=3
	s_or_b32 exec_lo, exec_lo, s23
.LBB2_6237:                             ;   in Loop: Header=BB2_6201 Depth=3
	s_or_b32 exec_lo, exec_lo, s22
	flat_load_ubyte v53, v[8:9] offset:64 slc
	s_mov_b32 s16, 0
	s_mov_b32 s22, exec_lo
	s_waitcnt vmcnt(0) lgkmcnt(0)
	v_cmpx_lt_i16_e32 0x7f, v53
	s_xor_b32 s22, exec_lo, s22
	s_cbranch_execz .LBB2_6483
; %bb.6238:                             ;   in Loop: Header=BB2_6201 Depth=3
	s_mov_b32 s16, -1
	s_mov_b32 s23, exec_lo
	v_cmpx_eq_u16_e32 0x80, v53
; %bb.6239:                             ;   in Loop: Header=BB2_6201 Depth=3
	s_xor_b32 s16, exec_lo, -1
; %bb.6240:                             ;   in Loop: Header=BB2_6201 Depth=3
	s_or_b32 exec_lo, exec_lo, s23
	s_and_b32 s16, s16, exec_lo
	s_or_saveexec_b32 s22, s22
	v_mov_b32_e32 v56, 0x7f800001
	s_xor_b32 exec_lo, exec_lo, s22
	s_cbranch_execnz .LBB2_6484
.LBB2_6241:                             ;   in Loop: Header=BB2_6201 Depth=3
	s_or_b32 exec_lo, exec_lo, s22
	s_and_saveexec_b32 s22, s16
	s_cbranch_execz .LBB2_6243
.LBB2_6242:                             ;   in Loop: Header=BB2_6201 Depth=3
	v_and_b32_e32 v56, 0xffff, v53
	v_lshlrev_b32_e32 v53, 24, v53
	v_and_b32_e32 v57, 3, v56
	v_bfe_u32 v60, v56, 2, 5
	v_and_b32_e32 v53, 0x80000000, v53
	v_ffbh_u32_e32 v58, v57
	v_cmp_eq_u32_e32 vcc_lo, 0, v60
	v_min_u32_e32 v58, 32, v58
	v_subrev_nc_u32_e32 v59, 29, v58
	v_sub_nc_u32_e32 v58, 30, v58
	v_lshlrev_b32_e32 v56, v59, v56
	v_cndmask_b32_e32 v58, v60, v58, vcc_lo
	v_and_b32_e32 v56, 3, v56
	v_cndmask_b32_e32 v56, v57, v56, vcc_lo
	v_lshl_add_u32 v57, v58, 23, 0x37800000
	v_lshlrev_b32_e32 v56, 21, v56
	v_or3_b32 v56, v53, v57, v56
.LBB2_6243:                             ;   in Loop: Header=BB2_6201 Depth=3
	s_or_b32 exec_lo, exec_lo, s22
	v_mul_f32_e32 v53, v54, v56
	v_mov_b32_e32 v62, 0x80
	s_mov_b32 s22, exec_lo
	v_and_b32_e32 v56, 0x7f800000, v53
	v_cmpx_ne_u32_e32 0x7f800000, v56
	s_cbranch_execz .LBB2_6251
; %bb.6244:                             ;   in Loop: Header=BB2_6201 Depth=3
	v_mov_b32_e32 v62, 0
	s_mov_b32 s23, exec_lo
	v_cmpx_ne_u32_e32 0, v53
	s_cbranch_execz .LBB2_6250
; %bb.6245:                             ;   in Loop: Header=BB2_6201 Depth=3
	v_bfe_u32 v56, v53, 23, 8
	v_and_b32_e32 v57, 0x7fffff, v53
	v_sub_nc_u32_e32 v58, 0x70, v56
	v_cmp_gt_u32_e32 vcc_lo, 0x71, v56
	v_or_b32_e32 v59, 0x800000, v57
	v_cndmask_b32_e32 v58, 0, v58, vcc_lo
	v_cmp_eq_u32_e32 vcc_lo, 0, v56
	v_add_nc_u32_e32 v56, 0xffffff91, v56
	v_cndmask_b32_e64 v58, v58, 0x6f, vcc_lo
	v_cndmask_b32_e32 v57, v59, v57, vcc_lo
	v_cndmask_b32_e64 v56, v56, 0xffffff92, vcc_lo
	v_lshl_add_u32 v59, 0x200000, v58, -1
	v_lshrrev_b32_e32 v60, v58, v57
	v_lshlrev_b32_e64 v63, v58, 0x100000
	v_add_nc_u32_e32 v58, v58, v56
	v_and_b32_e32 v57, v59, v57
	v_bfe_u32 v62, v60, 21, 1
	v_cmp_eq_u32_e64 s16, v57, v63
	v_add_nc_u32_e32 v59, -1, v62
	v_cndmask_b32_e64 v57, 0, v59, s16
	v_lshrrev_b32_e32 v59, 23, v60
	s_mov_b32 s16, exec_lo
	v_add_nc_u32_e32 v57, v57, v60
	v_xor_b32_e32 v59, 1, v59
	v_and_b32_e32 v56, 0x1fffff, v57
	v_add_nc_u32_e32 v57, v56, v60
                                        ; implicit-def: $vgpr56
	v_cmpx_ne_u32_e64 v58, v59
	s_xor_b32 s16, exec_lo, s16
; %bb.6246:                             ;   in Loop: Header=BB2_6201 Depth=3
	v_cmp_lt_u32_e32 vcc_lo, 0xffffff, v57
	v_sub_nc_u32_e32 v56, v58, v59
	v_cndmask_b32_e64 v58, 0, 1, vcc_lo
	v_add_co_ci_u32_e64 v56, null, 0, v56, vcc_lo
	v_lshrrev_b32_e32 v57, v58, v57
; %bb.6247:                             ;   in Loop: Header=BB2_6201 Depth=3
	s_andn2_saveexec_b32 s16, s16
; %bb.6248:                             ;   in Loop: Header=BB2_6201 Depth=3
	v_bfe_u32 v56, v57, 23, 1
; %bb.6249:                             ;   in Loop: Header=BB2_6201 Depth=3
	s_or_b32 exec_lo, exec_lo, s16
	v_lshrrev_b32_e32 v57, 21, v57
	v_cmp_gt_i32_e32 vcc_lo, 32, v56
	v_min_i32_e32 v58, 31, v56
	v_and_b32_sdwa v53, v53, v98 dst_sel:DWORD dst_unused:UNUSED_PAD src0_sel:BYTE_3 src1_sel:DWORD
	v_cndmask_b32_e32 v57, 3, v57, vcc_lo
	v_lshlrev_b32_e32 v58, 2, v58
	v_and_b32_e32 v59, 3, v57
	v_or_b32_e32 v56, v56, v57
	v_or3_b32 v53, v58, v53, v59
	v_cmp_ne_u32_e32 vcc_lo, 0, v56
	v_cndmask_b32_e32 v62, 0, v53, vcc_lo
.LBB2_6250:                             ;   in Loop: Header=BB2_6201 Depth=3
	s_or_b32 exec_lo, exec_lo, s23
.LBB2_6251:                             ;   in Loop: Header=BB2_6201 Depth=3
	s_or_b32 exec_lo, exec_lo, s22
	flat_load_ubyte v53, v[8:9] offset:96 slc
	s_mov_b32 s16, 0
	s_mov_b32 s22, exec_lo
	s_waitcnt vmcnt(0) lgkmcnt(0)
	v_cmpx_lt_i16_e32 0x7f, v53
	s_xor_b32 s22, exec_lo, s22
	s_cbranch_execz .LBB2_6485
; %bb.6252:                             ;   in Loop: Header=BB2_6201 Depth=3
	s_mov_b32 s16, -1
	s_mov_b32 s23, exec_lo
	v_cmpx_eq_u16_e32 0x80, v53
; %bb.6253:                             ;   in Loop: Header=BB2_6201 Depth=3
	s_xor_b32 s16, exec_lo, -1
; %bb.6254:                             ;   in Loop: Header=BB2_6201 Depth=3
	s_or_b32 exec_lo, exec_lo, s23
	s_and_b32 s16, s16, exec_lo
	s_or_saveexec_b32 s22, s22
	v_mov_b32_e32 v56, 0x7f800001
	s_xor_b32 exec_lo, exec_lo, s22
	s_cbranch_execnz .LBB2_6486
.LBB2_6255:                             ;   in Loop: Header=BB2_6201 Depth=3
	s_or_b32 exec_lo, exec_lo, s22
	s_and_saveexec_b32 s22, s16
	s_cbranch_execz .LBB2_6257
.LBB2_6256:                             ;   in Loop: Header=BB2_6201 Depth=3
	v_and_b32_e32 v56, 0xffff, v53
	v_lshlrev_b32_e32 v53, 24, v53
	v_and_b32_e32 v57, 3, v56
	v_bfe_u32 v60, v56, 2, 5
	v_and_b32_e32 v53, 0x80000000, v53
	v_ffbh_u32_e32 v58, v57
	v_cmp_eq_u32_e32 vcc_lo, 0, v60
	v_min_u32_e32 v58, 32, v58
	v_subrev_nc_u32_e32 v59, 29, v58
	v_sub_nc_u32_e32 v58, 30, v58
	v_lshlrev_b32_e32 v56, v59, v56
	v_cndmask_b32_e32 v58, v60, v58, vcc_lo
	v_and_b32_e32 v56, 3, v56
	v_cndmask_b32_e32 v56, v57, v56, vcc_lo
	v_lshl_add_u32 v57, v58, 23, 0x37800000
	v_lshlrev_b32_e32 v56, 21, v56
	v_or3_b32 v56, v53, v57, v56
.LBB2_6257:                             ;   in Loop: Header=BB2_6201 Depth=3
	s_or_b32 exec_lo, exec_lo, s22
	v_mul_f32_e32 v53, v54, v56
	v_mov_b32_e32 v60, 0x80
	s_mov_b32 s22, exec_lo
	v_and_b32_e32 v56, 0x7f800000, v53
	v_cmpx_ne_u32_e32 0x7f800000, v56
	s_cbranch_execz .LBB2_6265
; %bb.6258:                             ;   in Loop: Header=BB2_6201 Depth=3
	v_mov_b32_e32 v60, 0
	s_mov_b32 s23, exec_lo
	v_cmpx_ne_u32_e32 0, v53
	s_cbranch_execz .LBB2_6264
; %bb.6259:                             ;   in Loop: Header=BB2_6201 Depth=3
	v_bfe_u32 v56, v53, 23, 8
	v_and_b32_e32 v57, 0x7fffff, v53
	v_sub_nc_u32_e32 v58, 0x70, v56
	v_cmp_gt_u32_e32 vcc_lo, 0x71, v56
	v_or_b32_e32 v59, 0x800000, v57
	v_cndmask_b32_e32 v58, 0, v58, vcc_lo
	v_cmp_eq_u32_e32 vcc_lo, 0, v56
	v_add_nc_u32_e32 v56, 0xffffff91, v56
	v_cndmask_b32_e64 v58, v58, 0x6f, vcc_lo
	v_cndmask_b32_e32 v57, v59, v57, vcc_lo
	v_cndmask_b32_e64 v56, v56, 0xffffff92, vcc_lo
	v_lshl_add_u32 v59, 0x200000, v58, -1
	v_lshrrev_b32_e32 v60, v58, v57
	v_lshlrev_b32_e64 v72, v58, 0x100000
	v_add_nc_u32_e32 v58, v58, v56
	v_and_b32_e32 v57, v59, v57
	v_bfe_u32 v63, v60, 21, 1
	v_cmp_eq_u32_e64 s16, v57, v72
	v_add_nc_u32_e32 v59, -1, v63
	v_cndmask_b32_e64 v57, 0, v59, s16
	v_lshrrev_b32_e32 v59, 23, v60
	s_mov_b32 s16, exec_lo
	v_add_nc_u32_e32 v57, v57, v60
	v_xor_b32_e32 v59, 1, v59
	v_and_b32_e32 v56, 0x1fffff, v57
	v_add_nc_u32_e32 v57, v56, v60
                                        ; implicit-def: $vgpr56
	v_cmpx_ne_u32_e64 v58, v59
	s_xor_b32 s16, exec_lo, s16
; %bb.6260:                             ;   in Loop: Header=BB2_6201 Depth=3
	v_cmp_lt_u32_e32 vcc_lo, 0xffffff, v57
	v_sub_nc_u32_e32 v56, v58, v59
	v_cndmask_b32_e64 v58, 0, 1, vcc_lo
	v_add_co_ci_u32_e64 v56, null, 0, v56, vcc_lo
	v_lshrrev_b32_e32 v57, v58, v57
; %bb.6261:                             ;   in Loop: Header=BB2_6201 Depth=3
	s_andn2_saveexec_b32 s16, s16
; %bb.6262:                             ;   in Loop: Header=BB2_6201 Depth=3
	v_bfe_u32 v56, v57, 23, 1
; %bb.6263:                             ;   in Loop: Header=BB2_6201 Depth=3
	s_or_b32 exec_lo, exec_lo, s16
	v_lshrrev_b32_e32 v57, 21, v57
	v_cmp_gt_i32_e32 vcc_lo, 32, v56
	v_min_i32_e32 v58, 31, v56
	v_and_b32_sdwa v53, v53, v98 dst_sel:DWORD dst_unused:UNUSED_PAD src0_sel:BYTE_3 src1_sel:DWORD
	v_cndmask_b32_e32 v57, 3, v57, vcc_lo
	v_lshlrev_b32_e32 v58, 2, v58
	v_and_b32_e32 v59, 3, v57
	v_or_b32_e32 v56, v56, v57
	v_or3_b32 v53, v58, v53, v59
	v_cmp_ne_u32_e32 vcc_lo, 0, v56
	v_cndmask_b32_e32 v60, 0, v53, vcc_lo
.LBB2_6264:                             ;   in Loop: Header=BB2_6201 Depth=3
	s_or_b32 exec_lo, exec_lo, s23
.LBB2_6265:                             ;   in Loop: Header=BB2_6201 Depth=3
	s_or_b32 exec_lo, exec_lo, s22
	flat_load_ubyte v53, v[8:9] offset:128 slc
	s_mov_b32 s16, 0
	s_mov_b32 s22, exec_lo
	s_waitcnt vmcnt(0) lgkmcnt(0)
	v_cmpx_lt_i16_e32 0x7f, v53
	s_xor_b32 s22, exec_lo, s22
	s_cbranch_execz .LBB2_6487
; %bb.6266:                             ;   in Loop: Header=BB2_6201 Depth=3
	s_mov_b32 s16, -1
	s_mov_b32 s23, exec_lo
	v_cmpx_eq_u16_e32 0x80, v53
; %bb.6267:                             ;   in Loop: Header=BB2_6201 Depth=3
	s_xor_b32 s16, exec_lo, -1
; %bb.6268:                             ;   in Loop: Header=BB2_6201 Depth=3
	s_or_b32 exec_lo, exec_lo, s23
	s_and_b32 s16, s16, exec_lo
	s_or_saveexec_b32 s22, s22
	v_mov_b32_e32 v56, 0x7f800001
	s_xor_b32 exec_lo, exec_lo, s22
	s_cbranch_execnz .LBB2_6488
.LBB2_6269:                             ;   in Loop: Header=BB2_6201 Depth=3
	s_or_b32 exec_lo, exec_lo, s22
	s_and_saveexec_b32 s22, s16
	s_cbranch_execz .LBB2_6271
.LBB2_6270:                             ;   in Loop: Header=BB2_6201 Depth=3
	v_and_b32_e32 v56, 0xffff, v53
	v_lshlrev_b32_e32 v53, 24, v53
	v_and_b32_e32 v57, 3, v56
	v_bfe_u32 v63, v56, 2, 5
	v_and_b32_e32 v53, 0x80000000, v53
	v_ffbh_u32_e32 v58, v57
	v_cmp_eq_u32_e32 vcc_lo, 0, v63
	v_min_u32_e32 v58, 32, v58
	v_subrev_nc_u32_e32 v59, 29, v58
	v_sub_nc_u32_e32 v58, 30, v58
	v_lshlrev_b32_e32 v56, v59, v56
	v_cndmask_b32_e32 v58, v63, v58, vcc_lo
	v_and_b32_e32 v56, 3, v56
	v_cndmask_b32_e32 v56, v57, v56, vcc_lo
	v_lshl_add_u32 v57, v58, 23, 0x37800000
	v_lshlrev_b32_e32 v56, 21, v56
	v_or3_b32 v56, v53, v57, v56
.LBB2_6271:                             ;   in Loop: Header=BB2_6201 Depth=3
	s_or_b32 exec_lo, exec_lo, s22
	v_mul_f32_e32 v53, v54, v56
	v_mov_b32_e32 v59, 0x80
	s_mov_b32 s22, exec_lo
	v_and_b32_e32 v56, 0x7f800000, v53
	v_cmpx_ne_u32_e32 0x7f800000, v56
	s_cbranch_execz .LBB2_6279
; %bb.6272:                             ;   in Loop: Header=BB2_6201 Depth=3
	v_mov_b32_e32 v59, 0
	s_mov_b32 s23, exec_lo
	v_cmpx_ne_u32_e32 0, v53
	s_cbranch_execz .LBB2_6278
; %bb.6273:                             ;   in Loop: Header=BB2_6201 Depth=3
	v_bfe_u32 v56, v53, 23, 8
	v_and_b32_e32 v57, 0x7fffff, v53
	v_sub_nc_u32_e32 v58, 0x70, v56
	v_cmp_gt_u32_e32 vcc_lo, 0x71, v56
	v_or_b32_e32 v59, 0x800000, v57
	v_cndmask_b32_e32 v58, 0, v58, vcc_lo
	v_cmp_eq_u32_e32 vcc_lo, 0, v56
	v_add_nc_u32_e32 v56, 0xffffff91, v56
	v_cndmask_b32_e64 v58, v58, 0x6f, vcc_lo
	v_cndmask_b32_e32 v57, v59, v57, vcc_lo
	v_cndmask_b32_e64 v56, v56, 0xffffff92, vcc_lo
	v_lshl_add_u32 v59, 0x200000, v58, -1
	v_lshrrev_b32_e32 v63, v58, v57
	v_lshlrev_b32_e64 v73, v58, 0x100000
	v_add_nc_u32_e32 v58, v58, v56
	v_and_b32_e32 v57, v59, v57
	v_bfe_u32 v72, v63, 21, 1
	v_cmp_eq_u32_e64 s16, v57, v73
	v_add_nc_u32_e32 v59, -1, v72
	v_cndmask_b32_e64 v57, 0, v59, s16
	v_lshrrev_b32_e32 v59, 23, v63
	s_mov_b32 s16, exec_lo
	v_add_nc_u32_e32 v57, v57, v63
	v_xor_b32_e32 v59, 1, v59
	v_and_b32_e32 v56, 0x1fffff, v57
	v_add_nc_u32_e32 v57, v56, v63
                                        ; implicit-def: $vgpr56
	v_cmpx_ne_u32_e64 v58, v59
	s_xor_b32 s16, exec_lo, s16
; %bb.6274:                             ;   in Loop: Header=BB2_6201 Depth=3
	v_cmp_lt_u32_e32 vcc_lo, 0xffffff, v57
	v_sub_nc_u32_e32 v56, v58, v59
	v_cndmask_b32_e64 v58, 0, 1, vcc_lo
	v_add_co_ci_u32_e64 v56, null, 0, v56, vcc_lo
	v_lshrrev_b32_e32 v57, v58, v57
; %bb.6275:                             ;   in Loop: Header=BB2_6201 Depth=3
	s_andn2_saveexec_b32 s16, s16
; %bb.6276:                             ;   in Loop: Header=BB2_6201 Depth=3
	v_bfe_u32 v56, v57, 23, 1
; %bb.6277:                             ;   in Loop: Header=BB2_6201 Depth=3
	s_or_b32 exec_lo, exec_lo, s16
	v_lshrrev_b32_e32 v57, 21, v57
	v_cmp_gt_i32_e32 vcc_lo, 32, v56
	v_min_i32_e32 v58, 31, v56
	v_and_b32_sdwa v53, v53, v98 dst_sel:DWORD dst_unused:UNUSED_PAD src0_sel:BYTE_3 src1_sel:DWORD
	v_cndmask_b32_e32 v57, 3, v57, vcc_lo
	v_lshlrev_b32_e32 v58, 2, v58
	v_and_b32_e32 v59, 3, v57
	v_or_b32_e32 v56, v56, v57
	v_or3_b32 v53, v58, v53, v59
	v_cmp_ne_u32_e32 vcc_lo, 0, v56
	v_cndmask_b32_e32 v59, 0, v53, vcc_lo
.LBB2_6278:                             ;   in Loop: Header=BB2_6201 Depth=3
	s_or_b32 exec_lo, exec_lo, s23
.LBB2_6279:                             ;   in Loop: Header=BB2_6201 Depth=3
	s_or_b32 exec_lo, exec_lo, s22
	flat_load_ubyte v53, v[8:9] offset:160 slc
	s_mov_b32 s16, 0
	s_mov_b32 s22, exec_lo
	s_waitcnt vmcnt(0) lgkmcnt(0)
	v_cmpx_lt_i16_e32 0x7f, v53
	s_xor_b32 s22, exec_lo, s22
	s_cbranch_execz .LBB2_6489
; %bb.6280:                             ;   in Loop: Header=BB2_6201 Depth=3
	s_mov_b32 s16, -1
	s_mov_b32 s23, exec_lo
	v_cmpx_eq_u16_e32 0x80, v53
; %bb.6281:                             ;   in Loop: Header=BB2_6201 Depth=3
	s_xor_b32 s16, exec_lo, -1
; %bb.6282:                             ;   in Loop: Header=BB2_6201 Depth=3
	s_or_b32 exec_lo, exec_lo, s23
	s_and_b32 s16, s16, exec_lo
	s_or_saveexec_b32 s22, s22
	v_mov_b32_e32 v56, 0x7f800001
	s_xor_b32 exec_lo, exec_lo, s22
	s_cbranch_execnz .LBB2_6490
.LBB2_6283:                             ;   in Loop: Header=BB2_6201 Depth=3
	s_or_b32 exec_lo, exec_lo, s22
	s_and_saveexec_b32 s22, s16
	s_cbranch_execz .LBB2_6285
.LBB2_6284:                             ;   in Loop: Header=BB2_6201 Depth=3
	v_and_b32_e32 v56, 0xffff, v53
	v_lshlrev_b32_e32 v53, 24, v53
	v_and_b32_e32 v57, 3, v56
	v_bfe_u32 v72, v56, 2, 5
	v_and_b32_e32 v53, 0x80000000, v53
	v_ffbh_u32_e32 v58, v57
	v_cmp_eq_u32_e32 vcc_lo, 0, v72
	v_min_u32_e32 v58, 32, v58
	v_subrev_nc_u32_e32 v63, 29, v58
	v_sub_nc_u32_e32 v58, 30, v58
	v_lshlrev_b32_e32 v56, v63, v56
	v_cndmask_b32_e32 v58, v72, v58, vcc_lo
	v_and_b32_e32 v56, 3, v56
	v_cndmask_b32_e32 v56, v57, v56, vcc_lo
	v_lshl_add_u32 v57, v58, 23, 0x37800000
	v_lshlrev_b32_e32 v56, 21, v56
	v_or3_b32 v56, v53, v57, v56
.LBB2_6285:                             ;   in Loop: Header=BB2_6201 Depth=3
	s_or_b32 exec_lo, exec_lo, s22
	v_mul_f32_e32 v53, v54, v56
	v_mov_b32_e32 v57, 0x80
	s_mov_b32 s22, exec_lo
	v_and_b32_e32 v56, 0x7f800000, v53
	v_cmpx_ne_u32_e32 0x7f800000, v56
	s_cbranch_execz .LBB2_6293
; %bb.6286:                             ;   in Loop: Header=BB2_6201 Depth=3
	v_mov_b32_e32 v57, 0
	s_mov_b32 s23, exec_lo
	v_cmpx_ne_u32_e32 0, v53
	s_cbranch_execz .LBB2_6292
; %bb.6287:                             ;   in Loop: Header=BB2_6201 Depth=3
	v_bfe_u32 v56, v53, 23, 8
	v_and_b32_e32 v57, 0x7fffff, v53
	v_sub_nc_u32_e32 v58, 0x70, v56
	v_cmp_gt_u32_e32 vcc_lo, 0x71, v56
	v_or_b32_e32 v63, 0x800000, v57
	v_cndmask_b32_e32 v58, 0, v58, vcc_lo
	v_cmp_eq_u32_e32 vcc_lo, 0, v56
	v_add_nc_u32_e32 v56, 0xffffff91, v56
	v_cndmask_b32_e64 v58, v58, 0x6f, vcc_lo
	v_cndmask_b32_e32 v57, v63, v57, vcc_lo
	v_cndmask_b32_e64 v56, v56, 0xffffff92, vcc_lo
	v_lshl_add_u32 v63, 0x200000, v58, -1
	v_lshrrev_b32_e32 v72, v58, v57
	v_lshlrev_b32_e64 v74, v58, 0x100000
	v_add_nc_u32_e32 v58, v58, v56
	v_and_b32_e32 v57, v63, v57
	v_bfe_u32 v73, v72, 21, 1
	v_cmp_eq_u32_e64 s16, v57, v74
	v_add_nc_u32_e32 v63, -1, v73
	v_cndmask_b32_e64 v57, 0, v63, s16
	v_lshrrev_b32_e32 v63, 23, v72
	s_mov_b32 s16, exec_lo
	v_add_nc_u32_e32 v57, v57, v72
	v_xor_b32_e32 v63, 1, v63
	v_and_b32_e32 v56, 0x1fffff, v57
	v_add_nc_u32_e32 v57, v56, v72
                                        ; implicit-def: $vgpr56
	v_cmpx_ne_u32_e64 v58, v63
	s_xor_b32 s16, exec_lo, s16
; %bb.6288:                             ;   in Loop: Header=BB2_6201 Depth=3
	v_cmp_lt_u32_e32 vcc_lo, 0xffffff, v57
	v_sub_nc_u32_e32 v56, v58, v63
	v_cndmask_b32_e64 v58, 0, 1, vcc_lo
	v_add_co_ci_u32_e64 v56, null, 0, v56, vcc_lo
	v_lshrrev_b32_e32 v57, v58, v57
; %bb.6289:                             ;   in Loop: Header=BB2_6201 Depth=3
	s_andn2_saveexec_b32 s16, s16
; %bb.6290:                             ;   in Loop: Header=BB2_6201 Depth=3
	v_bfe_u32 v56, v57, 23, 1
; %bb.6291:                             ;   in Loop: Header=BB2_6201 Depth=3
	s_or_b32 exec_lo, exec_lo, s16
	v_lshrrev_b32_e32 v57, 21, v57
	v_cmp_gt_i32_e32 vcc_lo, 32, v56
	v_min_i32_e32 v58, 31, v56
	v_and_b32_sdwa v53, v53, v98 dst_sel:DWORD dst_unused:UNUSED_PAD src0_sel:BYTE_3 src1_sel:DWORD
	v_cndmask_b32_e32 v57, 3, v57, vcc_lo
	v_lshlrev_b32_e32 v58, 2, v58
	v_and_b32_e32 v63, 3, v57
	v_or_b32_e32 v56, v56, v57
	v_or3_b32 v53, v58, v53, v63
	v_cmp_ne_u32_e32 vcc_lo, 0, v56
	v_cndmask_b32_e32 v57, 0, v53, vcc_lo
.LBB2_6292:                             ;   in Loop: Header=BB2_6201 Depth=3
	s_or_b32 exec_lo, exec_lo, s23
.LBB2_6293:                             ;   in Loop: Header=BB2_6201 Depth=3
	s_or_b32 exec_lo, exec_lo, s22
	flat_load_ubyte v53, v[8:9] offset:192 slc
	s_mov_b32 s16, 0
	s_mov_b32 s22, exec_lo
	s_waitcnt vmcnt(0) lgkmcnt(0)
	v_cmpx_lt_i16_e32 0x7f, v53
	s_xor_b32 s22, exec_lo, s22
	s_cbranch_execz .LBB2_6491
; %bb.6294:                             ;   in Loop: Header=BB2_6201 Depth=3
	s_mov_b32 s16, -1
	s_mov_b32 s23, exec_lo
	v_cmpx_eq_u16_e32 0x80, v53
; %bb.6295:                             ;   in Loop: Header=BB2_6201 Depth=3
	s_xor_b32 s16, exec_lo, -1
; %bb.6296:                             ;   in Loop: Header=BB2_6201 Depth=3
	s_or_b32 exec_lo, exec_lo, s23
	s_and_b32 s16, s16, exec_lo
	s_or_saveexec_b32 s22, s22
	v_mov_b32_e32 v56, 0x7f800001
	s_xor_b32 exec_lo, exec_lo, s22
	s_cbranch_execnz .LBB2_6492
.LBB2_6297:                             ;   in Loop: Header=BB2_6201 Depth=3
	s_or_b32 exec_lo, exec_lo, s22
	s_and_saveexec_b32 s22, s16
	s_cbranch_execz .LBB2_6299
.LBB2_6298:                             ;   in Loop: Header=BB2_6201 Depth=3
	v_and_b32_e32 v56, 0xffff, v53
	v_lshlrev_b32_e32 v53, 24, v53
	v_and_b32_e32 v58, 3, v56
	v_bfe_u32 v73, v56, 2, 5
	v_and_b32_e32 v53, 0x80000000, v53
	v_ffbh_u32_e32 v63, v58
	v_cmp_eq_u32_e32 vcc_lo, 0, v73
	v_min_u32_e32 v63, 32, v63
	v_subrev_nc_u32_e32 v72, 29, v63
	v_sub_nc_u32_e32 v63, 30, v63
	v_lshlrev_b32_e32 v56, v72, v56
	v_cndmask_b32_e32 v63, v73, v63, vcc_lo
	v_and_b32_e32 v56, 3, v56
	v_cndmask_b32_e32 v56, v58, v56, vcc_lo
	v_lshl_add_u32 v58, v63, 23, 0x37800000
	v_lshlrev_b32_e32 v56, 21, v56
	v_or3_b32 v56, v53, v58, v56
.LBB2_6299:                             ;   in Loop: Header=BB2_6201 Depth=3
	s_or_b32 exec_lo, exec_lo, s22
	v_mul_f32_e32 v53, v54, v56
	v_and_b32_e32 v56, 0x7f800000, v53
	v_cmp_ne_u32_e32 vcc_lo, 0x7f800000, v56
	v_mov_b32_e32 v56, 0x80
	s_and_saveexec_b32 s22, vcc_lo
	s_cbranch_execz .LBB2_6307
; %bb.6300:                             ;   in Loop: Header=BB2_6201 Depth=3
	v_mov_b32_e32 v56, 0
	s_mov_b32 s23, exec_lo
	v_cmpx_ne_u32_e32 0, v53
	s_cbranch_execz .LBB2_6306
; %bb.6301:                             ;   in Loop: Header=BB2_6201 Depth=3
	v_bfe_u32 v56, v53, 23, 8
	v_and_b32_e32 v58, 0x7fffff, v53
	v_sub_nc_u32_e32 v63, 0x70, v56
	v_cmp_gt_u32_e32 vcc_lo, 0x71, v56
	v_or_b32_e32 v72, 0x800000, v58
	v_cndmask_b32_e32 v63, 0, v63, vcc_lo
	v_cmp_eq_u32_e32 vcc_lo, 0, v56
	v_add_nc_u32_e32 v56, 0xffffff91, v56
	v_cndmask_b32_e64 v63, v63, 0x6f, vcc_lo
	v_cndmask_b32_e32 v58, v72, v58, vcc_lo
	v_cndmask_b32_e64 v56, v56, 0xffffff92, vcc_lo
	v_lshl_add_u32 v72, 0x200000, v63, -1
	v_lshrrev_b32_e32 v73, v63, v58
	v_lshlrev_b32_e64 v75, v63, 0x100000
	v_add_nc_u32_e32 v63, v63, v56
	v_and_b32_e32 v58, v72, v58
	v_bfe_u32 v74, v73, 21, 1
	v_cmp_eq_u32_e64 s16, v58, v75
	v_add_nc_u32_e32 v72, -1, v74
	v_cndmask_b32_e64 v58, 0, v72, s16
	v_lshrrev_b32_e32 v72, 23, v73
	s_mov_b32 s16, exec_lo
	v_add_nc_u32_e32 v58, v58, v73
	v_xor_b32_e32 v72, 1, v72
	v_and_b32_e32 v56, 0x1fffff, v58
	v_add_nc_u32_e32 v58, v56, v73
                                        ; implicit-def: $vgpr56
	v_cmpx_ne_u32_e64 v63, v72
	s_xor_b32 s16, exec_lo, s16
; %bb.6302:                             ;   in Loop: Header=BB2_6201 Depth=3
	v_cmp_lt_u32_e32 vcc_lo, 0xffffff, v58
	v_sub_nc_u32_e32 v56, v63, v72
	v_cndmask_b32_e64 v63, 0, 1, vcc_lo
	v_add_co_ci_u32_e64 v56, null, 0, v56, vcc_lo
	v_lshrrev_b32_e32 v58, v63, v58
; %bb.6303:                             ;   in Loop: Header=BB2_6201 Depth=3
	s_andn2_saveexec_b32 s16, s16
; %bb.6304:                             ;   in Loop: Header=BB2_6201 Depth=3
	v_bfe_u32 v56, v58, 23, 1
; %bb.6305:                             ;   in Loop: Header=BB2_6201 Depth=3
	s_or_b32 exec_lo, exec_lo, s16
	v_lshrrev_b32_e32 v58, 21, v58
	v_cmp_gt_i32_e32 vcc_lo, 32, v56
	v_min_i32_e32 v63, 31, v56
	v_and_b32_sdwa v53, v53, v98 dst_sel:DWORD dst_unused:UNUSED_PAD src0_sel:BYTE_3 src1_sel:DWORD
	v_cndmask_b32_e32 v58, 3, v58, vcc_lo
	v_lshlrev_b32_e32 v63, 2, v63
	v_and_b32_e32 v72, 3, v58
	v_or_b32_e32 v56, v56, v58
	v_or3_b32 v53, v63, v53, v72
	v_cmp_ne_u32_e32 vcc_lo, 0, v56
	v_cndmask_b32_e32 v56, 0, v53, vcc_lo
.LBB2_6306:                             ;   in Loop: Header=BB2_6201 Depth=3
	s_or_b32 exec_lo, exec_lo, s23
.LBB2_6307:                             ;   in Loop: Header=BB2_6201 Depth=3
	s_or_b32 exec_lo, exec_lo, s22
	flat_load_ubyte v53, v[8:9] offset:224 slc
	s_mov_b32 s16, 0
	s_mov_b32 s22, exec_lo
	s_waitcnt vmcnt(0) lgkmcnt(0)
	v_cmpx_lt_i16_e32 0x7f, v53
	s_xor_b32 s22, exec_lo, s22
	s_cbranch_execz .LBB2_6493
; %bb.6308:                             ;   in Loop: Header=BB2_6201 Depth=3
	s_mov_b32 s16, -1
	s_mov_b32 s23, exec_lo
	v_cmpx_eq_u16_e32 0x80, v53
; %bb.6309:                             ;   in Loop: Header=BB2_6201 Depth=3
	s_xor_b32 s16, exec_lo, -1
; %bb.6310:                             ;   in Loop: Header=BB2_6201 Depth=3
	s_or_b32 exec_lo, exec_lo, s23
	s_and_b32 s16, s16, exec_lo
	s_or_saveexec_b32 s22, s22
	v_mov_b32_e32 v58, 0x7f800001
	s_xor_b32 exec_lo, exec_lo, s22
	s_cbranch_execnz .LBB2_6494
.LBB2_6311:                             ;   in Loop: Header=BB2_6201 Depth=3
	s_or_b32 exec_lo, exec_lo, s22
	s_and_saveexec_b32 s22, s16
	s_cbranch_execz .LBB2_6313
.LBB2_6312:                             ;   in Loop: Header=BB2_6201 Depth=3
	v_and_b32_e32 v58, 0xffff, v53
	v_lshlrev_b32_e32 v53, 24, v53
	v_and_b32_e32 v63, 3, v58
	v_bfe_u32 v74, v58, 2, 5
	v_and_b32_e32 v53, 0x80000000, v53
	v_ffbh_u32_e32 v72, v63
	v_cmp_eq_u32_e32 vcc_lo, 0, v74
	v_min_u32_e32 v72, 32, v72
	v_subrev_nc_u32_e32 v73, 29, v72
	v_sub_nc_u32_e32 v72, 30, v72
	v_lshlrev_b32_e32 v58, v73, v58
	v_cndmask_b32_e32 v72, v74, v72, vcc_lo
	v_and_b32_e32 v58, 3, v58
	v_cndmask_b32_e32 v58, v63, v58, vcc_lo
	v_lshl_add_u32 v63, v72, 23, 0x37800000
	v_lshlrev_b32_e32 v58, 21, v58
	v_or3_b32 v58, v53, v63, v58
.LBB2_6313:                             ;   in Loop: Header=BB2_6201 Depth=3
	s_or_b32 exec_lo, exec_lo, s22
	v_mul_f32_e32 v53, v54, v58
	v_and_b32_e32 v54, 0x7f800000, v53
	v_cmp_ne_u32_e32 vcc_lo, 0x7f800000, v54
	v_mov_b32_e32 v54, 0x80
	s_and_saveexec_b32 s22, vcc_lo
	s_cbranch_execz .LBB2_6321
; %bb.6314:                             ;   in Loop: Header=BB2_6201 Depth=3
	v_mov_b32_e32 v54, 0
	s_mov_b32 s23, exec_lo
	v_cmpx_ne_u32_e32 0, v53
	s_cbranch_execz .LBB2_6320
; %bb.6315:                             ;   in Loop: Header=BB2_6201 Depth=3
	v_bfe_u32 v54, v53, 23, 8
	v_and_b32_e32 v58, 0x7fffff, v53
	v_sub_nc_u32_e32 v63, 0x70, v54
	v_cmp_gt_u32_e32 vcc_lo, 0x71, v54
	v_or_b32_e32 v72, 0x800000, v58
	v_cndmask_b32_e32 v63, 0, v63, vcc_lo
	v_cmp_eq_u32_e32 vcc_lo, 0, v54
	v_add_nc_u32_e32 v54, 0xffffff91, v54
	v_cndmask_b32_e64 v63, v63, 0x6f, vcc_lo
	v_cndmask_b32_e32 v58, v72, v58, vcc_lo
	v_cndmask_b32_e64 v54, v54, 0xffffff92, vcc_lo
	v_lshl_add_u32 v72, 0x200000, v63, -1
	v_lshrrev_b32_e32 v73, v63, v58
	v_lshlrev_b32_e64 v75, v63, 0x100000
	v_add_nc_u32_e32 v63, v63, v54
	v_and_b32_e32 v58, v72, v58
	v_bfe_u32 v74, v73, 21, 1
	v_cmp_eq_u32_e64 s16, v58, v75
	v_add_nc_u32_e32 v72, -1, v74
	v_cndmask_b32_e64 v58, 0, v72, s16
	v_lshrrev_b32_e32 v72, 23, v73
	s_mov_b32 s16, exec_lo
	v_add_nc_u32_e32 v58, v58, v73
	v_xor_b32_e32 v72, 1, v72
	v_and_b32_e32 v54, 0x1fffff, v58
	v_add_nc_u32_e32 v58, v54, v73
                                        ; implicit-def: $vgpr54
	v_cmpx_ne_u32_e64 v63, v72
	s_xor_b32 s16, exec_lo, s16
; %bb.6316:                             ;   in Loop: Header=BB2_6201 Depth=3
	v_cmp_lt_u32_e32 vcc_lo, 0xffffff, v58
	v_sub_nc_u32_e32 v54, v63, v72
	v_cndmask_b32_e64 v63, 0, 1, vcc_lo
	v_add_co_ci_u32_e64 v54, null, 0, v54, vcc_lo
	v_lshrrev_b32_e32 v58, v63, v58
; %bb.6317:                             ;   in Loop: Header=BB2_6201 Depth=3
	s_andn2_saveexec_b32 s16, s16
; %bb.6318:                             ;   in Loop: Header=BB2_6201 Depth=3
	v_bfe_u32 v54, v58, 23, 1
; %bb.6319:                             ;   in Loop: Header=BB2_6201 Depth=3
	s_or_b32 exec_lo, exec_lo, s16
	v_lshrrev_b32_e32 v58, 21, v58
	v_cmp_gt_i32_e32 vcc_lo, 32, v54
	v_min_i32_e32 v63, 31, v54
	v_and_b32_sdwa v53, v53, v98 dst_sel:DWORD dst_unused:UNUSED_PAD src0_sel:BYTE_3 src1_sel:DWORD
	v_cndmask_b32_e32 v58, 3, v58, vcc_lo
	v_lshlrev_b32_e32 v63, 2, v63
	v_and_b32_e32 v72, 3, v58
	v_or_b32_e32 v54, v54, v58
	v_or3_b32 v53, v63, v53, v72
	v_cmp_ne_u32_e32 vcc_lo, 0, v54
	v_cndmask_b32_e32 v54, 0, v53, vcc_lo
.LBB2_6320:                             ;   in Loop: Header=BB2_6201 Depth=3
	s_or_b32 exec_lo, exec_lo, s23
.LBB2_6321:                             ;   in Loop: Header=BB2_6201 Depth=3
	s_or_b32 exec_lo, exec_lo, s22
	s_clause 0x7
	flat_load_ubyte v76, v[10:11] slc
	flat_load_ubyte v75, v[10:11] offset:32 slc
	flat_load_ubyte v74, v[10:11] offset:64 slc
	;; [unrolled: 1-line block ×7, first 2 shown]
	v_cmp_gt_i16_sdwa s22, v47, v97 src0_sel:BYTE_0 src1_sel:DWORD
	s_mov_b32 s16, 0
	s_and_saveexec_b32 s23, s22
	s_xor_b32 s22, exec_lo, s23
	s_cbranch_execz .LBB2_6495
; %bb.6322:                             ;   in Loop: Header=BB2_6201 Depth=3
	v_cmp_eq_u16_sdwa s72, v47, v98 src0_sel:BYTE_0 src1_sel:DWORD
	s_mov_b32 s16, -1
	s_and_saveexec_b32 s23, s72
; %bb.6323:                             ;   in Loop: Header=BB2_6201 Depth=3
	s_xor_b32 s16, exec_lo, -1
; %bb.6324:                             ;   in Loop: Header=BB2_6201 Depth=3
	s_or_b32 exec_lo, exec_lo, s23
	s_and_b32 s16, s16, exec_lo
	s_or_saveexec_b32 s22, s22
	v_mov_b32_e32 v77, 0x7f800001
	s_xor_b32 exec_lo, exec_lo, s22
	s_cbranch_execnz .LBB2_6496
.LBB2_6325:                             ;   in Loop: Header=BB2_6201 Depth=3
	s_or_b32 exec_lo, exec_lo, s22
	s_and_saveexec_b32 s22, s16
	s_cbranch_execz .LBB2_6327
.LBB2_6326:                             ;   in Loop: Header=BB2_6201 Depth=3
	v_and_b32_e32 v77, 3, v47
	v_lshrrev_b16 v79, 2, v47
	v_ffbh_u32_e32 v78, v77
	v_and_b32_e32 v79, 31, v79
	v_min_u32_e32 v78, 32, v78
	v_cmp_eq_u32_e32 vcc_lo, 0, v79
	v_subrev_nc_u32_e32 v88, 29, v78
	v_sub_nc_u32_e32 v78, 30, v78
	v_lshlrev_b32_e32 v88, v88, v47
	v_lshlrev_b32_e32 v47, 24, v47
	v_cndmask_b32_e32 v78, v79, v78, vcc_lo
	v_and_b32_e32 v88, 3, v88
	v_and_b32_e32 v47, 0x80000000, v47
	v_lshl_add_u32 v78, v78, 23, 0x37800000
	v_cndmask_b32_e32 v77, v77, v88, vcc_lo
	v_lshlrev_b32_e32 v77, 21, v77
	v_or3_b32 v77, v47, v78, v77
.LBB2_6327:                             ;   in Loop: Header=BB2_6201 Depth=3
	s_or_b32 exec_lo, exec_lo, s22
	s_waitcnt vmcnt(7) lgkmcnt(7)
	v_cmp_gt_i16_sdwa s22, v76, v97 src0_sel:BYTE_0 src1_sel:DWORD
	s_mov_b32 s16, 0
	s_and_saveexec_b32 s23, s22
	s_xor_b32 s22, exec_lo, s23
	s_cbranch_execz .LBB2_6497
; %bb.6328:                             ;   in Loop: Header=BB2_6201 Depth=3
	v_cmp_eq_u16_sdwa s72, v76, v98 src0_sel:BYTE_0 src1_sel:DWORD
	s_mov_b32 s16, -1
	s_and_saveexec_b32 s23, s72
; %bb.6329:                             ;   in Loop: Header=BB2_6201 Depth=3
	s_xor_b32 s16, exec_lo, -1
; %bb.6330:                             ;   in Loop: Header=BB2_6201 Depth=3
	s_or_b32 exec_lo, exec_lo, s23
	s_and_b32 s16, s16, exec_lo
	s_or_saveexec_b32 s22, s22
	v_mov_b32_e32 v47, 0x7f800001
	s_xor_b32 exec_lo, exec_lo, s22
	s_cbranch_execnz .LBB2_6498
.LBB2_6331:                             ;   in Loop: Header=BB2_6201 Depth=3
	s_or_b32 exec_lo, exec_lo, s22
	s_and_saveexec_b32 s22, s16
	s_cbranch_execz .LBB2_6333
.LBB2_6332:                             ;   in Loop: Header=BB2_6201 Depth=3
	v_and_b32_e32 v47, 3, v76
	v_lshrrev_b16 v79, 2, v76
	v_ffbh_u32_e32 v78, v47
	v_and_b32_e32 v79, 31, v79
	v_min_u32_e32 v78, 32, v78
	v_cmp_eq_u32_e32 vcc_lo, 0, v79
	v_subrev_nc_u32_e32 v88, 29, v78
	v_sub_nc_u32_e32 v78, 30, v78
	v_lshlrev_b32_e32 v88, v88, v76
	v_lshlrev_b32_e32 v76, 24, v76
	v_cndmask_b32_e32 v78, v79, v78, vcc_lo
	v_and_b32_e32 v88, 3, v88
	v_and_b32_e32 v76, 0x80000000, v76
	v_lshl_add_u32 v78, v78, 23, 0x37800000
	v_cndmask_b32_e32 v47, v47, v88, vcc_lo
	v_lshlrev_b32_e32 v47, 21, v47
	v_or3_b32 v47, v76, v78, v47
.LBB2_6333:                             ;   in Loop: Header=BB2_6201 Depth=3
	s_or_b32 exec_lo, exec_lo, s22
	v_add_f32_e32 v76, v77, v47
	v_and_b32_e32 v47, 0x7f800000, v76
	v_cmp_ne_u32_e32 vcc_lo, 0x7f800000, v47
	v_mov_b32_e32 v47, 0x80
	s_and_saveexec_b32 s22, vcc_lo
	s_cbranch_execz .LBB2_6341
; %bb.6334:                             ;   in Loop: Header=BB2_6201 Depth=3
	v_mov_b32_e32 v47, 0
	s_mov_b32 s23, exec_lo
	v_cmpx_ne_u32_e32 0, v76
	s_cbranch_execz .LBB2_6340
; %bb.6335:                             ;   in Loop: Header=BB2_6201 Depth=3
	v_bfe_u32 v47, v76, 23, 8
	v_and_b32_e32 v77, 0x7fffff, v76
	v_sub_nc_u32_e32 v78, 0x70, v47
	v_cmp_gt_u32_e32 vcc_lo, 0x71, v47
	v_or_b32_e32 v79, 0x800000, v77
	v_cndmask_b32_e32 v78, 0, v78, vcc_lo
	v_cmp_eq_u32_e32 vcc_lo, 0, v47
	v_add_nc_u32_e32 v47, 0xffffff91, v47
	v_cndmask_b32_e64 v78, v78, 0x6f, vcc_lo
	v_cndmask_b32_e32 v77, v79, v77, vcc_lo
	v_cndmask_b32_e64 v47, v47, 0xffffff92, vcc_lo
	v_lshl_add_u32 v79, 0x200000, v78, -1
	v_lshrrev_b32_e32 v88, v78, v77
	v_lshlrev_b32_e64 v90, v78, 0x100000
	v_add_nc_u32_e32 v78, v78, v47
	v_and_b32_e32 v77, v79, v77
	v_bfe_u32 v89, v88, 21, 1
	v_cmp_eq_u32_e64 s16, v77, v90
	v_add_nc_u32_e32 v79, -1, v89
	v_cndmask_b32_e64 v77, 0, v79, s16
	v_lshrrev_b32_e32 v79, 23, v88
	s_mov_b32 s16, exec_lo
	v_add_nc_u32_e32 v77, v77, v88
	v_xor_b32_e32 v79, 1, v79
	v_and_b32_e32 v47, 0x1fffff, v77
	v_add_nc_u32_e32 v77, v47, v88
                                        ; implicit-def: $vgpr47
	v_cmpx_ne_u32_e64 v78, v79
	s_xor_b32 s16, exec_lo, s16
; %bb.6336:                             ;   in Loop: Header=BB2_6201 Depth=3
	v_cmp_lt_u32_e32 vcc_lo, 0xffffff, v77
	v_sub_nc_u32_e32 v47, v78, v79
	v_cndmask_b32_e64 v78, 0, 1, vcc_lo
	v_add_co_ci_u32_e64 v47, null, 0, v47, vcc_lo
	v_lshrrev_b32_e32 v77, v78, v77
; %bb.6337:                             ;   in Loop: Header=BB2_6201 Depth=3
	s_andn2_saveexec_b32 s16, s16
; %bb.6338:                             ;   in Loop: Header=BB2_6201 Depth=3
	v_bfe_u32 v47, v77, 23, 1
; %bb.6339:                             ;   in Loop: Header=BB2_6201 Depth=3
	s_or_b32 exec_lo, exec_lo, s16
	v_lshrrev_b32_e32 v77, 21, v77
	v_cmp_gt_i32_e32 vcc_lo, 32, v47
	v_min_i32_e32 v78, 31, v47
	v_and_b32_sdwa v76, v76, v98 dst_sel:DWORD dst_unused:UNUSED_PAD src0_sel:BYTE_3 src1_sel:DWORD
	v_cndmask_b32_e32 v77, 3, v77, vcc_lo
	v_lshlrev_b32_e32 v78, 2, v78
	v_and_b32_e32 v79, 3, v77
	v_or_b32_e32 v47, v47, v77
	v_or3_b32 v76, v78, v76, v79
	v_cmp_ne_u32_e32 vcc_lo, 0, v47
	v_cndmask_b32_e32 v47, 0, v76, vcc_lo
.LBB2_6340:                             ;   in Loop: Header=BB2_6201 Depth=3
	s_or_b32 exec_lo, exec_lo, s23
.LBB2_6341:                             ;   in Loop: Header=BB2_6201 Depth=3
	s_or_b32 exec_lo, exec_lo, s22
	v_cmp_gt_i16_sdwa s22, v61, v97 src0_sel:BYTE_0 src1_sel:DWORD
	s_mov_b32 s16, 0
	s_and_saveexec_b32 s23, s22
	s_xor_b32 s22, exec_lo, s23
	s_cbranch_execz .LBB2_6499
; %bb.6342:                             ;   in Loop: Header=BB2_6201 Depth=3
	v_cmp_eq_u16_sdwa s72, v61, v98 src0_sel:BYTE_0 src1_sel:DWORD
	s_mov_b32 s16, -1
	s_and_saveexec_b32 s23, s72
; %bb.6343:                             ;   in Loop: Header=BB2_6201 Depth=3
	s_xor_b32 s16, exec_lo, -1
; %bb.6344:                             ;   in Loop: Header=BB2_6201 Depth=3
	s_or_b32 exec_lo, exec_lo, s23
	s_and_b32 s16, s16, exec_lo
	s_or_saveexec_b32 s22, s22
	v_mov_b32_e32 v76, 0x7f800001
	s_xor_b32 exec_lo, exec_lo, s22
	s_cbranch_execnz .LBB2_6500
.LBB2_6345:                             ;   in Loop: Header=BB2_6201 Depth=3
	s_or_b32 exec_lo, exec_lo, s22
	s_and_saveexec_b32 s22, s16
	s_cbranch_execz .LBB2_6347
.LBB2_6346:                             ;   in Loop: Header=BB2_6201 Depth=3
	v_and_b32_e32 v76, 3, v61
	v_lshrrev_b16 v78, 2, v61
	v_ffbh_u32_e32 v77, v76
	v_and_b32_e32 v78, 31, v78
	v_min_u32_e32 v77, 32, v77
	v_cmp_eq_u32_e32 vcc_lo, 0, v78
	v_subrev_nc_u32_e32 v79, 29, v77
	v_sub_nc_u32_e32 v77, 30, v77
	v_lshlrev_b32_e32 v79, v79, v61
	v_lshlrev_b32_e32 v61, 24, v61
	v_cndmask_b32_e32 v77, v78, v77, vcc_lo
	v_and_b32_e32 v79, 3, v79
	v_and_b32_e32 v61, 0x80000000, v61
	v_lshl_add_u32 v77, v77, 23, 0x37800000
	v_cndmask_b32_e32 v76, v76, v79, vcc_lo
	v_lshlrev_b32_e32 v76, 21, v76
	v_or3_b32 v76, v61, v77, v76
.LBB2_6347:                             ;   in Loop: Header=BB2_6201 Depth=3
	s_or_b32 exec_lo, exec_lo, s22
	s_waitcnt vmcnt(6) lgkmcnt(6)
	v_cmp_gt_i16_sdwa s22, v75, v97 src0_sel:BYTE_0 src1_sel:DWORD
	s_mov_b32 s16, 0
	s_and_saveexec_b32 s23, s22
	s_xor_b32 s22, exec_lo, s23
	s_cbranch_execz .LBB2_6501
; %bb.6348:                             ;   in Loop: Header=BB2_6201 Depth=3
	v_cmp_eq_u16_sdwa s72, v75, v98 src0_sel:BYTE_0 src1_sel:DWORD
	s_mov_b32 s16, -1
	s_and_saveexec_b32 s23, s72
; %bb.6349:                             ;   in Loop: Header=BB2_6201 Depth=3
	s_xor_b32 s16, exec_lo, -1
; %bb.6350:                             ;   in Loop: Header=BB2_6201 Depth=3
	s_or_b32 exec_lo, exec_lo, s23
	s_and_b32 s16, s16, exec_lo
	s_or_saveexec_b32 s22, s22
	v_mov_b32_e32 v61, 0x7f800001
	s_xor_b32 exec_lo, exec_lo, s22
	s_cbranch_execnz .LBB2_6502
.LBB2_6351:                             ;   in Loop: Header=BB2_6201 Depth=3
	s_or_b32 exec_lo, exec_lo, s22
	s_and_saveexec_b32 s22, s16
	s_cbranch_execz .LBB2_6353
.LBB2_6352:                             ;   in Loop: Header=BB2_6201 Depth=3
	v_and_b32_e32 v61, 3, v75
	v_lshrrev_b16 v78, 2, v75
	v_ffbh_u32_e32 v77, v61
	v_and_b32_e32 v78, 31, v78
	v_min_u32_e32 v77, 32, v77
	v_cmp_eq_u32_e32 vcc_lo, 0, v78
	v_subrev_nc_u32_e32 v79, 29, v77
	v_sub_nc_u32_e32 v77, 30, v77
	v_lshlrev_b32_e32 v79, v79, v75
	v_lshlrev_b32_e32 v75, 24, v75
	v_cndmask_b32_e32 v77, v78, v77, vcc_lo
	v_and_b32_e32 v79, 3, v79
	v_and_b32_e32 v75, 0x80000000, v75
	v_lshl_add_u32 v77, v77, 23, 0x37800000
	v_cndmask_b32_e32 v61, v61, v79, vcc_lo
	v_lshlrev_b32_e32 v61, 21, v61
	v_or3_b32 v61, v75, v77, v61
.LBB2_6353:                             ;   in Loop: Header=BB2_6201 Depth=3
	s_or_b32 exec_lo, exec_lo, s22
	v_add_f32_e32 v75, v76, v61
	v_and_b32_e32 v61, 0x7f800000, v75
	v_cmp_ne_u32_e32 vcc_lo, 0x7f800000, v61
	v_mov_b32_e32 v61, 0x80
	s_and_saveexec_b32 s22, vcc_lo
	s_cbranch_execz .LBB2_6361
; %bb.6354:                             ;   in Loop: Header=BB2_6201 Depth=3
	v_mov_b32_e32 v61, 0
	s_mov_b32 s23, exec_lo
	v_cmpx_ne_u32_e32 0, v75
	s_cbranch_execz .LBB2_6360
; %bb.6355:                             ;   in Loop: Header=BB2_6201 Depth=3
	v_bfe_u32 v61, v75, 23, 8
	v_and_b32_e32 v76, 0x7fffff, v75
	v_sub_nc_u32_e32 v77, 0x70, v61
	v_cmp_gt_u32_e32 vcc_lo, 0x71, v61
	v_or_b32_e32 v78, 0x800000, v76
	v_cndmask_b32_e32 v77, 0, v77, vcc_lo
	v_cmp_eq_u32_e32 vcc_lo, 0, v61
	v_add_nc_u32_e32 v61, 0xffffff91, v61
	v_cndmask_b32_e64 v77, v77, 0x6f, vcc_lo
	v_cndmask_b32_e32 v76, v78, v76, vcc_lo
	v_cndmask_b32_e64 v61, v61, 0xffffff92, vcc_lo
	v_lshl_add_u32 v78, 0x200000, v77, -1
	v_lshrrev_b32_e32 v79, v77, v76
	v_lshlrev_b32_e64 v89, v77, 0x100000
	v_add_nc_u32_e32 v77, v77, v61
	v_and_b32_e32 v76, v78, v76
	v_bfe_u32 v88, v79, 21, 1
	v_cmp_eq_u32_e64 s16, v76, v89
	v_add_nc_u32_e32 v78, -1, v88
	v_cndmask_b32_e64 v76, 0, v78, s16
	v_lshrrev_b32_e32 v78, 23, v79
	s_mov_b32 s16, exec_lo
	v_add_nc_u32_e32 v76, v76, v79
	v_xor_b32_e32 v78, 1, v78
	v_and_b32_e32 v61, 0x1fffff, v76
	v_add_nc_u32_e32 v76, v61, v79
                                        ; implicit-def: $vgpr61
	v_cmpx_ne_u32_e64 v77, v78
	s_xor_b32 s16, exec_lo, s16
; %bb.6356:                             ;   in Loop: Header=BB2_6201 Depth=3
	v_cmp_lt_u32_e32 vcc_lo, 0xffffff, v76
	v_sub_nc_u32_e32 v61, v77, v78
	v_cndmask_b32_e64 v77, 0, 1, vcc_lo
	v_add_co_ci_u32_e64 v61, null, 0, v61, vcc_lo
	v_lshrrev_b32_e32 v76, v77, v76
; %bb.6357:                             ;   in Loop: Header=BB2_6201 Depth=3
	s_andn2_saveexec_b32 s16, s16
; %bb.6358:                             ;   in Loop: Header=BB2_6201 Depth=3
	v_bfe_u32 v61, v76, 23, 1
; %bb.6359:                             ;   in Loop: Header=BB2_6201 Depth=3
	s_or_b32 exec_lo, exec_lo, s16
	v_lshrrev_b32_e32 v76, 21, v76
	v_cmp_gt_i32_e32 vcc_lo, 32, v61
	v_min_i32_e32 v77, 31, v61
	v_and_b32_sdwa v75, v75, v98 dst_sel:DWORD dst_unused:UNUSED_PAD src0_sel:BYTE_3 src1_sel:DWORD
	v_cndmask_b32_e32 v76, 3, v76, vcc_lo
	v_lshlrev_b32_e32 v77, 2, v77
	v_and_b32_e32 v78, 3, v76
	v_or_b32_e32 v61, v61, v76
	v_or3_b32 v75, v77, v75, v78
	v_cmp_ne_u32_e32 vcc_lo, 0, v61
	v_cndmask_b32_e32 v61, 0, v75, vcc_lo
.LBB2_6360:                             ;   in Loop: Header=BB2_6201 Depth=3
	s_or_b32 exec_lo, exec_lo, s23
.LBB2_6361:                             ;   in Loop: Header=BB2_6201 Depth=3
	s_or_b32 exec_lo, exec_lo, s22
	v_cmp_gt_i16_sdwa s22, v62, v97 src0_sel:BYTE_0 src1_sel:DWORD
	s_mov_b32 s16, 0
	s_and_saveexec_b32 s23, s22
	s_xor_b32 s22, exec_lo, s23
	s_cbranch_execz .LBB2_6503
; %bb.6362:                             ;   in Loop: Header=BB2_6201 Depth=3
	v_cmp_eq_u16_sdwa s72, v62, v98 src0_sel:BYTE_0 src1_sel:DWORD
	s_mov_b32 s16, -1
	s_and_saveexec_b32 s23, s72
; %bb.6363:                             ;   in Loop: Header=BB2_6201 Depth=3
	s_xor_b32 s16, exec_lo, -1
; %bb.6364:                             ;   in Loop: Header=BB2_6201 Depth=3
	s_or_b32 exec_lo, exec_lo, s23
	s_and_b32 s16, s16, exec_lo
	s_or_saveexec_b32 s22, s22
	v_mov_b32_e32 v75, 0x7f800001
	s_xor_b32 exec_lo, exec_lo, s22
	s_cbranch_execnz .LBB2_6504
.LBB2_6365:                             ;   in Loop: Header=BB2_6201 Depth=3
	s_or_b32 exec_lo, exec_lo, s22
	s_and_saveexec_b32 s22, s16
	s_cbranch_execz .LBB2_6367
.LBB2_6366:                             ;   in Loop: Header=BB2_6201 Depth=3
	v_and_b32_e32 v75, 3, v62
	v_lshrrev_b16 v77, 2, v62
	v_ffbh_u32_e32 v76, v75
	v_and_b32_e32 v77, 31, v77
	v_min_u32_e32 v76, 32, v76
	v_cmp_eq_u32_e32 vcc_lo, 0, v77
	v_subrev_nc_u32_e32 v78, 29, v76
	v_sub_nc_u32_e32 v76, 30, v76
	v_lshlrev_b32_e32 v78, v78, v62
	v_lshlrev_b32_e32 v62, 24, v62
	v_cndmask_b32_e32 v76, v77, v76, vcc_lo
	v_and_b32_e32 v78, 3, v78
	v_and_b32_e32 v62, 0x80000000, v62
	v_lshl_add_u32 v76, v76, 23, 0x37800000
	v_cndmask_b32_e32 v75, v75, v78, vcc_lo
	v_lshlrev_b32_e32 v75, 21, v75
	v_or3_b32 v75, v62, v76, v75
.LBB2_6367:                             ;   in Loop: Header=BB2_6201 Depth=3
	s_or_b32 exec_lo, exec_lo, s22
	s_waitcnt vmcnt(5) lgkmcnt(5)
	v_cmp_gt_i16_sdwa s22, v74, v97 src0_sel:BYTE_0 src1_sel:DWORD
	s_mov_b32 s16, 0
	s_and_saveexec_b32 s23, s22
	s_xor_b32 s22, exec_lo, s23
	s_cbranch_execz .LBB2_6505
; %bb.6368:                             ;   in Loop: Header=BB2_6201 Depth=3
	v_cmp_eq_u16_sdwa s72, v74, v98 src0_sel:BYTE_0 src1_sel:DWORD
	s_mov_b32 s16, -1
	s_and_saveexec_b32 s23, s72
; %bb.6369:                             ;   in Loop: Header=BB2_6201 Depth=3
	s_xor_b32 s16, exec_lo, -1
; %bb.6370:                             ;   in Loop: Header=BB2_6201 Depth=3
	s_or_b32 exec_lo, exec_lo, s23
	s_and_b32 s16, s16, exec_lo
	s_or_saveexec_b32 s22, s22
	v_mov_b32_e32 v62, 0x7f800001
	s_xor_b32 exec_lo, exec_lo, s22
	s_cbranch_execnz .LBB2_6506
.LBB2_6371:                             ;   in Loop: Header=BB2_6201 Depth=3
	s_or_b32 exec_lo, exec_lo, s22
	s_and_saveexec_b32 s22, s16
	s_cbranch_execz .LBB2_6373
.LBB2_6372:                             ;   in Loop: Header=BB2_6201 Depth=3
	v_and_b32_e32 v62, 3, v74
	v_lshrrev_b16 v77, 2, v74
	v_ffbh_u32_e32 v76, v62
	v_and_b32_e32 v77, 31, v77
	v_min_u32_e32 v76, 32, v76
	v_cmp_eq_u32_e32 vcc_lo, 0, v77
	v_subrev_nc_u32_e32 v78, 29, v76
	v_sub_nc_u32_e32 v76, 30, v76
	v_lshlrev_b32_e32 v78, v78, v74
	v_lshlrev_b32_e32 v74, 24, v74
	v_cndmask_b32_e32 v76, v77, v76, vcc_lo
	v_and_b32_e32 v78, 3, v78
	v_and_b32_e32 v74, 0x80000000, v74
	v_lshl_add_u32 v76, v76, 23, 0x37800000
	v_cndmask_b32_e32 v62, v62, v78, vcc_lo
	v_lshlrev_b32_e32 v62, 21, v62
	v_or3_b32 v62, v74, v76, v62
.LBB2_6373:                             ;   in Loop: Header=BB2_6201 Depth=3
	s_or_b32 exec_lo, exec_lo, s22
	v_add_f32_e32 v74, v75, v62
	v_and_b32_e32 v62, 0x7f800000, v74
	v_cmp_ne_u32_e32 vcc_lo, 0x7f800000, v62
	v_mov_b32_e32 v62, 0x80
	s_and_saveexec_b32 s22, vcc_lo
	s_cbranch_execz .LBB2_6381
; %bb.6374:                             ;   in Loop: Header=BB2_6201 Depth=3
	v_mov_b32_e32 v62, 0
	s_mov_b32 s23, exec_lo
	v_cmpx_ne_u32_e32 0, v74
	s_cbranch_execz .LBB2_6380
; %bb.6375:                             ;   in Loop: Header=BB2_6201 Depth=3
	v_bfe_u32 v62, v74, 23, 8
	v_and_b32_e32 v75, 0x7fffff, v74
	v_sub_nc_u32_e32 v76, 0x70, v62
	v_cmp_gt_u32_e32 vcc_lo, 0x71, v62
	v_or_b32_e32 v77, 0x800000, v75
	v_cndmask_b32_e32 v76, 0, v76, vcc_lo
	v_cmp_eq_u32_e32 vcc_lo, 0, v62
	v_add_nc_u32_e32 v62, 0xffffff91, v62
	v_cndmask_b32_e64 v76, v76, 0x6f, vcc_lo
	v_cndmask_b32_e32 v75, v77, v75, vcc_lo
	v_cndmask_b32_e64 v62, v62, 0xffffff92, vcc_lo
	v_lshl_add_u32 v77, 0x200000, v76, -1
	v_lshrrev_b32_e32 v78, v76, v75
	v_lshlrev_b32_e64 v88, v76, 0x100000
	v_add_nc_u32_e32 v76, v76, v62
	v_and_b32_e32 v75, v77, v75
	v_bfe_u32 v79, v78, 21, 1
	v_cmp_eq_u32_e64 s16, v75, v88
	v_add_nc_u32_e32 v77, -1, v79
	v_cndmask_b32_e64 v75, 0, v77, s16
	v_lshrrev_b32_e32 v77, 23, v78
	s_mov_b32 s16, exec_lo
	v_add_nc_u32_e32 v75, v75, v78
	v_xor_b32_e32 v77, 1, v77
	v_and_b32_e32 v62, 0x1fffff, v75
	v_add_nc_u32_e32 v75, v62, v78
                                        ; implicit-def: $vgpr62
	v_cmpx_ne_u32_e64 v76, v77
	s_xor_b32 s16, exec_lo, s16
; %bb.6376:                             ;   in Loop: Header=BB2_6201 Depth=3
	v_cmp_lt_u32_e32 vcc_lo, 0xffffff, v75
	v_sub_nc_u32_e32 v62, v76, v77
	v_cndmask_b32_e64 v76, 0, 1, vcc_lo
	v_add_co_ci_u32_e64 v62, null, 0, v62, vcc_lo
	v_lshrrev_b32_e32 v75, v76, v75
; %bb.6377:                             ;   in Loop: Header=BB2_6201 Depth=3
	s_andn2_saveexec_b32 s16, s16
; %bb.6378:                             ;   in Loop: Header=BB2_6201 Depth=3
	v_bfe_u32 v62, v75, 23, 1
; %bb.6379:                             ;   in Loop: Header=BB2_6201 Depth=3
	s_or_b32 exec_lo, exec_lo, s16
	v_lshrrev_b32_e32 v75, 21, v75
	v_cmp_gt_i32_e32 vcc_lo, 32, v62
	v_min_i32_e32 v76, 31, v62
	v_and_b32_sdwa v74, v74, v98 dst_sel:DWORD dst_unused:UNUSED_PAD src0_sel:BYTE_3 src1_sel:DWORD
	v_cndmask_b32_e32 v75, 3, v75, vcc_lo
	v_lshlrev_b32_e32 v76, 2, v76
	v_and_b32_e32 v77, 3, v75
	v_or_b32_e32 v62, v62, v75
	v_or3_b32 v74, v76, v74, v77
	v_cmp_ne_u32_e32 vcc_lo, 0, v62
	v_cndmask_b32_e32 v62, 0, v74, vcc_lo
.LBB2_6380:                             ;   in Loop: Header=BB2_6201 Depth=3
	s_or_b32 exec_lo, exec_lo, s23
.LBB2_6381:                             ;   in Loop: Header=BB2_6201 Depth=3
	s_or_b32 exec_lo, exec_lo, s22
	v_cmp_gt_i16_sdwa s22, v60, v97 src0_sel:BYTE_0 src1_sel:DWORD
	s_mov_b32 s16, 0
	s_and_saveexec_b32 s23, s22
	s_xor_b32 s22, exec_lo, s23
	s_cbranch_execz .LBB2_6507
; %bb.6382:                             ;   in Loop: Header=BB2_6201 Depth=3
	v_cmp_eq_u16_sdwa s72, v60, v98 src0_sel:BYTE_0 src1_sel:DWORD
	s_mov_b32 s16, -1
	s_and_saveexec_b32 s23, s72
; %bb.6383:                             ;   in Loop: Header=BB2_6201 Depth=3
	s_xor_b32 s16, exec_lo, -1
; %bb.6384:                             ;   in Loop: Header=BB2_6201 Depth=3
	s_or_b32 exec_lo, exec_lo, s23
	s_and_b32 s16, s16, exec_lo
	s_or_saveexec_b32 s22, s22
	v_mov_b32_e32 v74, 0x7f800001
	s_xor_b32 exec_lo, exec_lo, s22
	s_cbranch_execnz .LBB2_6508
.LBB2_6385:                             ;   in Loop: Header=BB2_6201 Depth=3
	s_or_b32 exec_lo, exec_lo, s22
	s_and_saveexec_b32 s22, s16
	s_cbranch_execz .LBB2_6387
.LBB2_6386:                             ;   in Loop: Header=BB2_6201 Depth=3
	v_and_b32_e32 v74, 3, v60
	v_lshrrev_b16 v76, 2, v60
	v_ffbh_u32_e32 v75, v74
	v_and_b32_e32 v76, 31, v76
	v_min_u32_e32 v75, 32, v75
	v_cmp_eq_u32_e32 vcc_lo, 0, v76
	v_subrev_nc_u32_e32 v77, 29, v75
	v_sub_nc_u32_e32 v75, 30, v75
	v_lshlrev_b32_e32 v77, v77, v60
	v_lshlrev_b32_e32 v60, 24, v60
	v_cndmask_b32_e32 v75, v76, v75, vcc_lo
	v_and_b32_e32 v77, 3, v77
	v_and_b32_e32 v60, 0x80000000, v60
	v_lshl_add_u32 v75, v75, 23, 0x37800000
	v_cndmask_b32_e32 v74, v74, v77, vcc_lo
	v_lshlrev_b32_e32 v74, 21, v74
	v_or3_b32 v74, v60, v75, v74
.LBB2_6387:                             ;   in Loop: Header=BB2_6201 Depth=3
	s_or_b32 exec_lo, exec_lo, s22
	s_waitcnt vmcnt(4) lgkmcnt(4)
	v_cmp_gt_i16_sdwa s22, v73, v97 src0_sel:BYTE_0 src1_sel:DWORD
	s_mov_b32 s16, 0
	s_and_saveexec_b32 s23, s22
	s_xor_b32 s22, exec_lo, s23
	s_cbranch_execz .LBB2_6509
; %bb.6388:                             ;   in Loop: Header=BB2_6201 Depth=3
	v_cmp_eq_u16_sdwa s72, v73, v98 src0_sel:BYTE_0 src1_sel:DWORD
	s_mov_b32 s16, -1
	s_and_saveexec_b32 s23, s72
; %bb.6389:                             ;   in Loop: Header=BB2_6201 Depth=3
	s_xor_b32 s16, exec_lo, -1
; %bb.6390:                             ;   in Loop: Header=BB2_6201 Depth=3
	s_or_b32 exec_lo, exec_lo, s23
	s_and_b32 s16, s16, exec_lo
	s_or_saveexec_b32 s22, s22
	v_mov_b32_e32 v60, 0x7f800001
	s_xor_b32 exec_lo, exec_lo, s22
	s_cbranch_execnz .LBB2_6510
.LBB2_6391:                             ;   in Loop: Header=BB2_6201 Depth=3
	s_or_b32 exec_lo, exec_lo, s22
	s_and_saveexec_b32 s22, s16
	s_cbranch_execz .LBB2_6393
.LBB2_6392:                             ;   in Loop: Header=BB2_6201 Depth=3
	v_and_b32_e32 v60, 3, v73
	v_lshrrev_b16 v76, 2, v73
	v_ffbh_u32_e32 v75, v60
	v_and_b32_e32 v76, 31, v76
	v_min_u32_e32 v75, 32, v75
	v_cmp_eq_u32_e32 vcc_lo, 0, v76
	v_subrev_nc_u32_e32 v77, 29, v75
	v_sub_nc_u32_e32 v75, 30, v75
	v_lshlrev_b32_e32 v77, v77, v73
	v_lshlrev_b32_e32 v73, 24, v73
	v_cndmask_b32_e32 v75, v76, v75, vcc_lo
	v_and_b32_e32 v77, 3, v77
	v_and_b32_e32 v73, 0x80000000, v73
	v_lshl_add_u32 v75, v75, 23, 0x37800000
	v_cndmask_b32_e32 v60, v60, v77, vcc_lo
	v_lshlrev_b32_e32 v60, 21, v60
	v_or3_b32 v60, v73, v75, v60
.LBB2_6393:                             ;   in Loop: Header=BB2_6201 Depth=3
	s_or_b32 exec_lo, exec_lo, s22
	v_add_f32_e32 v73, v74, v60
	v_and_b32_e32 v60, 0x7f800000, v73
	v_cmp_ne_u32_e32 vcc_lo, 0x7f800000, v60
	v_mov_b32_e32 v60, 0x80
	s_and_saveexec_b32 s22, vcc_lo
	s_cbranch_execz .LBB2_6401
; %bb.6394:                             ;   in Loop: Header=BB2_6201 Depth=3
	v_mov_b32_e32 v60, 0
	s_mov_b32 s23, exec_lo
	v_cmpx_ne_u32_e32 0, v73
	s_cbranch_execz .LBB2_6400
; %bb.6395:                             ;   in Loop: Header=BB2_6201 Depth=3
	v_bfe_u32 v60, v73, 23, 8
	v_and_b32_e32 v74, 0x7fffff, v73
	v_sub_nc_u32_e32 v75, 0x70, v60
	v_cmp_gt_u32_e32 vcc_lo, 0x71, v60
	v_or_b32_e32 v76, 0x800000, v74
	v_cndmask_b32_e32 v75, 0, v75, vcc_lo
	v_cmp_eq_u32_e32 vcc_lo, 0, v60
	v_add_nc_u32_e32 v60, 0xffffff91, v60
	v_cndmask_b32_e64 v75, v75, 0x6f, vcc_lo
	v_cndmask_b32_e32 v74, v76, v74, vcc_lo
	v_cndmask_b32_e64 v60, v60, 0xffffff92, vcc_lo
	v_lshl_add_u32 v76, 0x200000, v75, -1
	v_lshrrev_b32_e32 v77, v75, v74
	v_lshlrev_b32_e64 v79, v75, 0x100000
	v_add_nc_u32_e32 v75, v75, v60
	v_and_b32_e32 v74, v76, v74
	v_bfe_u32 v78, v77, 21, 1
	v_cmp_eq_u32_e64 s16, v74, v79
	v_add_nc_u32_e32 v76, -1, v78
	v_cndmask_b32_e64 v74, 0, v76, s16
	v_lshrrev_b32_e32 v76, 23, v77
	s_mov_b32 s16, exec_lo
	v_add_nc_u32_e32 v74, v74, v77
	v_xor_b32_e32 v76, 1, v76
	v_and_b32_e32 v60, 0x1fffff, v74
	v_add_nc_u32_e32 v74, v60, v77
                                        ; implicit-def: $vgpr60
	v_cmpx_ne_u32_e64 v75, v76
	s_xor_b32 s16, exec_lo, s16
; %bb.6396:                             ;   in Loop: Header=BB2_6201 Depth=3
	v_cmp_lt_u32_e32 vcc_lo, 0xffffff, v74
	v_sub_nc_u32_e32 v60, v75, v76
	v_cndmask_b32_e64 v75, 0, 1, vcc_lo
	v_add_co_ci_u32_e64 v60, null, 0, v60, vcc_lo
	v_lshrrev_b32_e32 v74, v75, v74
; %bb.6397:                             ;   in Loop: Header=BB2_6201 Depth=3
	s_andn2_saveexec_b32 s16, s16
; %bb.6398:                             ;   in Loop: Header=BB2_6201 Depth=3
	v_bfe_u32 v60, v74, 23, 1
; %bb.6399:                             ;   in Loop: Header=BB2_6201 Depth=3
	s_or_b32 exec_lo, exec_lo, s16
	v_lshrrev_b32_e32 v74, 21, v74
	v_cmp_gt_i32_e32 vcc_lo, 32, v60
	v_min_i32_e32 v75, 31, v60
	v_and_b32_sdwa v73, v73, v98 dst_sel:DWORD dst_unused:UNUSED_PAD src0_sel:BYTE_3 src1_sel:DWORD
	v_cndmask_b32_e32 v74, 3, v74, vcc_lo
	v_lshlrev_b32_e32 v75, 2, v75
	v_and_b32_e32 v76, 3, v74
	v_or_b32_e32 v60, v60, v74
	v_or3_b32 v73, v75, v73, v76
	v_cmp_ne_u32_e32 vcc_lo, 0, v60
	v_cndmask_b32_e32 v60, 0, v73, vcc_lo
.LBB2_6400:                             ;   in Loop: Header=BB2_6201 Depth=3
	s_or_b32 exec_lo, exec_lo, s23
.LBB2_6401:                             ;   in Loop: Header=BB2_6201 Depth=3
	s_or_b32 exec_lo, exec_lo, s22
	v_cmp_gt_i16_sdwa s22, v59, v97 src0_sel:BYTE_0 src1_sel:DWORD
	s_mov_b32 s16, 0
	s_and_saveexec_b32 s23, s22
	s_xor_b32 s22, exec_lo, s23
	s_cbranch_execz .LBB2_6511
; %bb.6402:                             ;   in Loop: Header=BB2_6201 Depth=3
	v_cmp_eq_u16_sdwa s72, v59, v98 src0_sel:BYTE_0 src1_sel:DWORD
	s_mov_b32 s16, -1
	s_and_saveexec_b32 s23, s72
; %bb.6403:                             ;   in Loop: Header=BB2_6201 Depth=3
	s_xor_b32 s16, exec_lo, -1
; %bb.6404:                             ;   in Loop: Header=BB2_6201 Depth=3
	s_or_b32 exec_lo, exec_lo, s23
	s_and_b32 s16, s16, exec_lo
	s_or_saveexec_b32 s22, s22
	v_mov_b32_e32 v73, 0x7f800001
	s_xor_b32 exec_lo, exec_lo, s22
	s_cbranch_execnz .LBB2_6512
.LBB2_6405:                             ;   in Loop: Header=BB2_6201 Depth=3
	s_or_b32 exec_lo, exec_lo, s22
	s_and_saveexec_b32 s22, s16
	s_cbranch_execz .LBB2_6407
.LBB2_6406:                             ;   in Loop: Header=BB2_6201 Depth=3
	v_and_b32_e32 v73, 3, v59
	v_lshrrev_b16 v75, 2, v59
	v_ffbh_u32_e32 v74, v73
	v_and_b32_e32 v75, 31, v75
	v_min_u32_e32 v74, 32, v74
	v_cmp_eq_u32_e32 vcc_lo, 0, v75
	v_subrev_nc_u32_e32 v76, 29, v74
	v_sub_nc_u32_e32 v74, 30, v74
	v_lshlrev_b32_e32 v76, v76, v59
	v_lshlrev_b32_e32 v59, 24, v59
	v_cndmask_b32_e32 v74, v75, v74, vcc_lo
	v_and_b32_e32 v76, 3, v76
	v_and_b32_e32 v59, 0x80000000, v59
	v_lshl_add_u32 v74, v74, 23, 0x37800000
	v_cndmask_b32_e32 v73, v73, v76, vcc_lo
	v_lshlrev_b32_e32 v73, 21, v73
	v_or3_b32 v73, v59, v74, v73
.LBB2_6407:                             ;   in Loop: Header=BB2_6201 Depth=3
	s_or_b32 exec_lo, exec_lo, s22
	s_waitcnt vmcnt(3) lgkmcnt(3)
	v_cmp_gt_i16_sdwa s22, v72, v97 src0_sel:BYTE_0 src1_sel:DWORD
	s_mov_b32 s16, 0
	s_and_saveexec_b32 s23, s22
	s_xor_b32 s22, exec_lo, s23
	s_cbranch_execz .LBB2_6513
; %bb.6408:                             ;   in Loop: Header=BB2_6201 Depth=3
	v_cmp_eq_u16_sdwa s72, v72, v98 src0_sel:BYTE_0 src1_sel:DWORD
	s_mov_b32 s16, -1
	s_and_saveexec_b32 s23, s72
; %bb.6409:                             ;   in Loop: Header=BB2_6201 Depth=3
	s_xor_b32 s16, exec_lo, -1
; %bb.6410:                             ;   in Loop: Header=BB2_6201 Depth=3
	s_or_b32 exec_lo, exec_lo, s23
	s_and_b32 s16, s16, exec_lo
	s_or_saveexec_b32 s22, s22
	v_mov_b32_e32 v59, 0x7f800001
	s_xor_b32 exec_lo, exec_lo, s22
	s_cbranch_execnz .LBB2_6514
.LBB2_6411:                             ;   in Loop: Header=BB2_6201 Depth=3
	s_or_b32 exec_lo, exec_lo, s22
	s_and_saveexec_b32 s22, s16
	s_cbranch_execz .LBB2_6413
.LBB2_6412:                             ;   in Loop: Header=BB2_6201 Depth=3
	v_and_b32_e32 v59, 3, v72
	v_lshrrev_b16 v75, 2, v72
	v_ffbh_u32_e32 v74, v59
	v_and_b32_e32 v75, 31, v75
	v_min_u32_e32 v74, 32, v74
	v_cmp_eq_u32_e32 vcc_lo, 0, v75
	v_subrev_nc_u32_e32 v76, 29, v74
	v_sub_nc_u32_e32 v74, 30, v74
	v_lshlrev_b32_e32 v76, v76, v72
	v_lshlrev_b32_e32 v72, 24, v72
	v_cndmask_b32_e32 v74, v75, v74, vcc_lo
	v_and_b32_e32 v76, 3, v76
	v_and_b32_e32 v72, 0x80000000, v72
	v_lshl_add_u32 v74, v74, 23, 0x37800000
	v_cndmask_b32_e32 v59, v59, v76, vcc_lo
	v_lshlrev_b32_e32 v59, 21, v59
	v_or3_b32 v59, v72, v74, v59
.LBB2_6413:                             ;   in Loop: Header=BB2_6201 Depth=3
	s_or_b32 exec_lo, exec_lo, s22
	v_add_f32_e32 v72, v73, v59
	v_and_b32_e32 v59, 0x7f800000, v72
	v_cmp_ne_u32_e32 vcc_lo, 0x7f800000, v59
	v_mov_b32_e32 v59, 0x80
	s_and_saveexec_b32 s22, vcc_lo
	s_cbranch_execz .LBB2_6421
; %bb.6414:                             ;   in Loop: Header=BB2_6201 Depth=3
	v_mov_b32_e32 v59, 0
	s_mov_b32 s23, exec_lo
	v_cmpx_ne_u32_e32 0, v72
	s_cbranch_execz .LBB2_6420
; %bb.6415:                             ;   in Loop: Header=BB2_6201 Depth=3
	v_bfe_u32 v59, v72, 23, 8
	v_and_b32_e32 v73, 0x7fffff, v72
	v_sub_nc_u32_e32 v74, 0x70, v59
	v_cmp_gt_u32_e32 vcc_lo, 0x71, v59
	v_or_b32_e32 v75, 0x800000, v73
	v_cndmask_b32_e32 v74, 0, v74, vcc_lo
	v_cmp_eq_u32_e32 vcc_lo, 0, v59
	v_add_nc_u32_e32 v59, 0xffffff91, v59
	v_cndmask_b32_e64 v74, v74, 0x6f, vcc_lo
	v_cndmask_b32_e32 v73, v75, v73, vcc_lo
	v_cndmask_b32_e64 v59, v59, 0xffffff92, vcc_lo
	v_lshl_add_u32 v75, 0x200000, v74, -1
	v_lshrrev_b32_e32 v76, v74, v73
	v_lshlrev_b32_e64 v78, v74, 0x100000
	v_add_nc_u32_e32 v74, v74, v59
	v_and_b32_e32 v73, v75, v73
	v_bfe_u32 v77, v76, 21, 1
	v_cmp_eq_u32_e64 s16, v73, v78
	v_add_nc_u32_e32 v75, -1, v77
	v_cndmask_b32_e64 v73, 0, v75, s16
	v_lshrrev_b32_e32 v75, 23, v76
	s_mov_b32 s16, exec_lo
	v_add_nc_u32_e32 v73, v73, v76
	v_xor_b32_e32 v75, 1, v75
	v_and_b32_e32 v59, 0x1fffff, v73
	v_add_nc_u32_e32 v73, v59, v76
                                        ; implicit-def: $vgpr59
	v_cmpx_ne_u32_e64 v74, v75
	s_xor_b32 s16, exec_lo, s16
; %bb.6416:                             ;   in Loop: Header=BB2_6201 Depth=3
	v_cmp_lt_u32_e32 vcc_lo, 0xffffff, v73
	v_sub_nc_u32_e32 v59, v74, v75
	v_cndmask_b32_e64 v74, 0, 1, vcc_lo
	v_add_co_ci_u32_e64 v59, null, 0, v59, vcc_lo
	v_lshrrev_b32_e32 v73, v74, v73
; %bb.6417:                             ;   in Loop: Header=BB2_6201 Depth=3
	s_andn2_saveexec_b32 s16, s16
; %bb.6418:                             ;   in Loop: Header=BB2_6201 Depth=3
	v_bfe_u32 v59, v73, 23, 1
; %bb.6419:                             ;   in Loop: Header=BB2_6201 Depth=3
	s_or_b32 exec_lo, exec_lo, s16
	v_lshrrev_b32_e32 v73, 21, v73
	v_cmp_gt_i32_e32 vcc_lo, 32, v59
	v_min_i32_e32 v74, 31, v59
	v_and_b32_sdwa v72, v72, v98 dst_sel:DWORD dst_unused:UNUSED_PAD src0_sel:BYTE_3 src1_sel:DWORD
	v_cndmask_b32_e32 v73, 3, v73, vcc_lo
	v_lshlrev_b32_e32 v74, 2, v74
	v_and_b32_e32 v75, 3, v73
	v_or_b32_e32 v59, v59, v73
	v_or3_b32 v72, v74, v72, v75
	v_cmp_ne_u32_e32 vcc_lo, 0, v59
	v_cndmask_b32_e32 v59, 0, v72, vcc_lo
.LBB2_6420:                             ;   in Loop: Header=BB2_6201 Depth=3
	s_or_b32 exec_lo, exec_lo, s23
.LBB2_6421:                             ;   in Loop: Header=BB2_6201 Depth=3
	s_or_b32 exec_lo, exec_lo, s22
	v_cmp_gt_i16_sdwa s22, v57, v97 src0_sel:BYTE_0 src1_sel:DWORD
	s_mov_b32 s16, 0
	s_and_saveexec_b32 s23, s22
	s_xor_b32 s22, exec_lo, s23
	s_cbranch_execz .LBB2_6515
; %bb.6422:                             ;   in Loop: Header=BB2_6201 Depth=3
	v_cmp_eq_u16_sdwa s72, v57, v98 src0_sel:BYTE_0 src1_sel:DWORD
	s_mov_b32 s16, -1
	s_and_saveexec_b32 s23, s72
; %bb.6423:                             ;   in Loop: Header=BB2_6201 Depth=3
	s_xor_b32 s16, exec_lo, -1
; %bb.6424:                             ;   in Loop: Header=BB2_6201 Depth=3
	s_or_b32 exec_lo, exec_lo, s23
	s_and_b32 s16, s16, exec_lo
	s_or_saveexec_b32 s22, s22
	v_mov_b32_e32 v72, 0x7f800001
	s_xor_b32 exec_lo, exec_lo, s22
	s_cbranch_execnz .LBB2_6516
.LBB2_6425:                             ;   in Loop: Header=BB2_6201 Depth=3
	s_or_b32 exec_lo, exec_lo, s22
	s_and_saveexec_b32 s22, s16
	s_cbranch_execz .LBB2_6427
.LBB2_6426:                             ;   in Loop: Header=BB2_6201 Depth=3
	v_and_b32_e32 v72, 3, v57
	v_lshrrev_b16 v74, 2, v57
	v_ffbh_u32_e32 v73, v72
	v_and_b32_e32 v74, 31, v74
	v_min_u32_e32 v73, 32, v73
	v_cmp_eq_u32_e32 vcc_lo, 0, v74
	v_subrev_nc_u32_e32 v75, 29, v73
	v_sub_nc_u32_e32 v73, 30, v73
	v_lshlrev_b32_e32 v75, v75, v57
	v_lshlrev_b32_e32 v57, 24, v57
	v_cndmask_b32_e32 v73, v74, v73, vcc_lo
	v_and_b32_e32 v75, 3, v75
	v_and_b32_e32 v57, 0x80000000, v57
	v_lshl_add_u32 v73, v73, 23, 0x37800000
	v_cndmask_b32_e32 v72, v72, v75, vcc_lo
	v_lshlrev_b32_e32 v72, 21, v72
	v_or3_b32 v72, v57, v73, v72
.LBB2_6427:                             ;   in Loop: Header=BB2_6201 Depth=3
	s_or_b32 exec_lo, exec_lo, s22
	s_waitcnt vmcnt(2) lgkmcnt(2)
	v_cmp_gt_i16_sdwa s22, v63, v97 src0_sel:BYTE_0 src1_sel:DWORD
	s_mov_b32 s16, 0
	s_and_saveexec_b32 s23, s22
	s_xor_b32 s22, exec_lo, s23
	s_cbranch_execz .LBB2_6517
; %bb.6428:                             ;   in Loop: Header=BB2_6201 Depth=3
	v_cmp_eq_u16_sdwa s72, v63, v98 src0_sel:BYTE_0 src1_sel:DWORD
	s_mov_b32 s16, -1
	s_and_saveexec_b32 s23, s72
; %bb.6429:                             ;   in Loop: Header=BB2_6201 Depth=3
	s_xor_b32 s16, exec_lo, -1
; %bb.6430:                             ;   in Loop: Header=BB2_6201 Depth=3
	s_or_b32 exec_lo, exec_lo, s23
	s_and_b32 s16, s16, exec_lo
	s_or_saveexec_b32 s22, s22
	v_mov_b32_e32 v57, 0x7f800001
	s_xor_b32 exec_lo, exec_lo, s22
	s_cbranch_execnz .LBB2_6518
.LBB2_6431:                             ;   in Loop: Header=BB2_6201 Depth=3
	s_or_b32 exec_lo, exec_lo, s22
	s_and_saveexec_b32 s22, s16
	s_cbranch_execz .LBB2_6433
.LBB2_6432:                             ;   in Loop: Header=BB2_6201 Depth=3
	v_and_b32_e32 v57, 3, v63
	v_lshrrev_b16 v74, 2, v63
	v_ffbh_u32_e32 v73, v57
	v_and_b32_e32 v74, 31, v74
	v_min_u32_e32 v73, 32, v73
	v_cmp_eq_u32_e32 vcc_lo, 0, v74
	v_subrev_nc_u32_e32 v75, 29, v73
	v_sub_nc_u32_e32 v73, 30, v73
	v_lshlrev_b32_e32 v75, v75, v63
	v_lshlrev_b32_e32 v63, 24, v63
	v_cndmask_b32_e32 v73, v74, v73, vcc_lo
	v_and_b32_e32 v75, 3, v75
	v_and_b32_e32 v63, 0x80000000, v63
	v_lshl_add_u32 v73, v73, 23, 0x37800000
	v_cndmask_b32_e32 v57, v57, v75, vcc_lo
	v_lshlrev_b32_e32 v57, 21, v57
	v_or3_b32 v57, v63, v73, v57
.LBB2_6433:                             ;   in Loop: Header=BB2_6201 Depth=3
	s_or_b32 exec_lo, exec_lo, s22
	v_add_f32_e32 v63, v72, v57
	v_and_b32_e32 v57, 0x7f800000, v63
	v_cmp_ne_u32_e32 vcc_lo, 0x7f800000, v57
	v_mov_b32_e32 v57, 0x80
	s_and_saveexec_b32 s22, vcc_lo
	s_cbranch_execz .LBB2_6441
; %bb.6434:                             ;   in Loop: Header=BB2_6201 Depth=3
	v_mov_b32_e32 v57, 0
	s_mov_b32 s23, exec_lo
	v_cmpx_ne_u32_e32 0, v63
	s_cbranch_execz .LBB2_6440
; %bb.6435:                             ;   in Loop: Header=BB2_6201 Depth=3
	v_bfe_u32 v57, v63, 23, 8
	v_and_b32_e32 v72, 0x7fffff, v63
	v_sub_nc_u32_e32 v73, 0x70, v57
	v_cmp_gt_u32_e32 vcc_lo, 0x71, v57
	v_or_b32_e32 v74, 0x800000, v72
	v_cndmask_b32_e32 v73, 0, v73, vcc_lo
	v_cmp_eq_u32_e32 vcc_lo, 0, v57
	v_add_nc_u32_e32 v57, 0xffffff91, v57
	v_cndmask_b32_e64 v73, v73, 0x6f, vcc_lo
	v_cndmask_b32_e32 v72, v74, v72, vcc_lo
	v_cndmask_b32_e64 v57, v57, 0xffffff92, vcc_lo
	v_lshl_add_u32 v74, 0x200000, v73, -1
	v_lshrrev_b32_e32 v75, v73, v72
	v_lshlrev_b32_e64 v77, v73, 0x100000
	v_add_nc_u32_e32 v73, v73, v57
	v_and_b32_e32 v72, v74, v72
	v_bfe_u32 v76, v75, 21, 1
	v_cmp_eq_u32_e64 s16, v72, v77
	v_add_nc_u32_e32 v74, -1, v76
	v_cndmask_b32_e64 v72, 0, v74, s16
	v_lshrrev_b32_e32 v74, 23, v75
	s_mov_b32 s16, exec_lo
	v_add_nc_u32_e32 v72, v72, v75
	v_xor_b32_e32 v74, 1, v74
	v_and_b32_e32 v57, 0x1fffff, v72
	v_add_nc_u32_e32 v72, v57, v75
                                        ; implicit-def: $vgpr57
	v_cmpx_ne_u32_e64 v73, v74
	s_xor_b32 s16, exec_lo, s16
; %bb.6436:                             ;   in Loop: Header=BB2_6201 Depth=3
	v_cmp_lt_u32_e32 vcc_lo, 0xffffff, v72
	v_sub_nc_u32_e32 v57, v73, v74
	v_cndmask_b32_e64 v73, 0, 1, vcc_lo
	v_add_co_ci_u32_e64 v57, null, 0, v57, vcc_lo
	v_lshrrev_b32_e32 v72, v73, v72
; %bb.6437:                             ;   in Loop: Header=BB2_6201 Depth=3
	s_andn2_saveexec_b32 s16, s16
; %bb.6438:                             ;   in Loop: Header=BB2_6201 Depth=3
	v_bfe_u32 v57, v72, 23, 1
; %bb.6439:                             ;   in Loop: Header=BB2_6201 Depth=3
	s_or_b32 exec_lo, exec_lo, s16
	v_lshrrev_b32_e32 v72, 21, v72
	v_cmp_gt_i32_e32 vcc_lo, 32, v57
	v_min_i32_e32 v73, 31, v57
	v_and_b32_sdwa v63, v63, v98 dst_sel:DWORD dst_unused:UNUSED_PAD src0_sel:BYTE_3 src1_sel:DWORD
	v_cndmask_b32_e32 v72, 3, v72, vcc_lo
	v_lshlrev_b32_e32 v73, 2, v73
	v_and_b32_e32 v74, 3, v72
	v_or_b32_e32 v57, v57, v72
	v_or3_b32 v63, v73, v63, v74
	v_cmp_ne_u32_e32 vcc_lo, 0, v57
	v_cndmask_b32_e32 v57, 0, v63, vcc_lo
.LBB2_6440:                             ;   in Loop: Header=BB2_6201 Depth=3
	s_or_b32 exec_lo, exec_lo, s23
.LBB2_6441:                             ;   in Loop: Header=BB2_6201 Depth=3
	s_or_b32 exec_lo, exec_lo, s22
	v_cmp_gt_i16_sdwa s22, v56, v97 src0_sel:BYTE_0 src1_sel:DWORD
	s_mov_b32 s16, 0
	s_and_saveexec_b32 s23, s22
	s_xor_b32 s22, exec_lo, s23
	s_cbranch_execz .LBB2_6519
; %bb.6442:                             ;   in Loop: Header=BB2_6201 Depth=3
	v_cmp_eq_u16_sdwa s72, v56, v98 src0_sel:BYTE_0 src1_sel:DWORD
	s_mov_b32 s16, -1
	s_and_saveexec_b32 s23, s72
; %bb.6443:                             ;   in Loop: Header=BB2_6201 Depth=3
	s_xor_b32 s16, exec_lo, -1
; %bb.6444:                             ;   in Loop: Header=BB2_6201 Depth=3
	s_or_b32 exec_lo, exec_lo, s23
	s_and_b32 s16, s16, exec_lo
	s_or_saveexec_b32 s22, s22
	v_mov_b32_e32 v63, 0x7f800001
	s_xor_b32 exec_lo, exec_lo, s22
	s_cbranch_execnz .LBB2_6520
.LBB2_6445:                             ;   in Loop: Header=BB2_6201 Depth=3
	s_or_b32 exec_lo, exec_lo, s22
	s_and_saveexec_b32 s22, s16
	s_cbranch_execz .LBB2_6447
.LBB2_6446:                             ;   in Loop: Header=BB2_6201 Depth=3
	v_and_b32_e32 v63, 3, v56
	v_lshrrev_b16 v73, 2, v56
	v_ffbh_u32_e32 v72, v63
	v_and_b32_e32 v73, 31, v73
	v_min_u32_e32 v72, 32, v72
	v_cmp_eq_u32_e32 vcc_lo, 0, v73
	v_subrev_nc_u32_e32 v74, 29, v72
	v_sub_nc_u32_e32 v72, 30, v72
	v_lshlrev_b32_e32 v74, v74, v56
	v_lshlrev_b32_e32 v56, 24, v56
	v_cndmask_b32_e32 v72, v73, v72, vcc_lo
	v_and_b32_e32 v74, 3, v74
	v_and_b32_e32 v56, 0x80000000, v56
	v_lshl_add_u32 v72, v72, 23, 0x37800000
	v_cndmask_b32_e32 v63, v63, v74, vcc_lo
	v_lshlrev_b32_e32 v63, 21, v63
	v_or3_b32 v63, v56, v72, v63
.LBB2_6447:                             ;   in Loop: Header=BB2_6201 Depth=3
	s_or_b32 exec_lo, exec_lo, s22
	s_waitcnt vmcnt(1) lgkmcnt(1)
	v_cmp_gt_i16_sdwa s22, v58, v97 src0_sel:BYTE_0 src1_sel:DWORD
	s_mov_b32 s16, 0
	s_and_saveexec_b32 s23, s22
	s_xor_b32 s22, exec_lo, s23
	s_cbranch_execz .LBB2_6521
; %bb.6448:                             ;   in Loop: Header=BB2_6201 Depth=3
	v_cmp_eq_u16_sdwa s72, v58, v98 src0_sel:BYTE_0 src1_sel:DWORD
	s_mov_b32 s16, -1
	s_and_saveexec_b32 s23, s72
; %bb.6449:                             ;   in Loop: Header=BB2_6201 Depth=3
	s_xor_b32 s16, exec_lo, -1
; %bb.6450:                             ;   in Loop: Header=BB2_6201 Depth=3
	s_or_b32 exec_lo, exec_lo, s23
	s_and_b32 s16, s16, exec_lo
	s_or_saveexec_b32 s22, s22
	v_mov_b32_e32 v56, 0x7f800001
	s_xor_b32 exec_lo, exec_lo, s22
	s_cbranch_execnz .LBB2_6522
.LBB2_6451:                             ;   in Loop: Header=BB2_6201 Depth=3
	s_or_b32 exec_lo, exec_lo, s22
	s_and_saveexec_b32 s22, s16
	s_cbranch_execz .LBB2_6453
.LBB2_6452:                             ;   in Loop: Header=BB2_6201 Depth=3
	v_and_b32_e32 v56, 3, v58
	v_lshrrev_b16 v73, 2, v58
	v_ffbh_u32_e32 v72, v56
	v_and_b32_e32 v73, 31, v73
	v_min_u32_e32 v72, 32, v72
	v_cmp_eq_u32_e32 vcc_lo, 0, v73
	v_subrev_nc_u32_e32 v74, 29, v72
	v_sub_nc_u32_e32 v72, 30, v72
	v_lshlrev_b32_e32 v74, v74, v58
	v_lshlrev_b32_e32 v58, 24, v58
	v_cndmask_b32_e32 v72, v73, v72, vcc_lo
	v_and_b32_e32 v74, 3, v74
	v_and_b32_e32 v58, 0x80000000, v58
	v_lshl_add_u32 v72, v72, 23, 0x37800000
	v_cndmask_b32_e32 v56, v56, v74, vcc_lo
	v_lshlrev_b32_e32 v56, 21, v56
	v_or3_b32 v56, v58, v72, v56
.LBB2_6453:                             ;   in Loop: Header=BB2_6201 Depth=3
	s_or_b32 exec_lo, exec_lo, s22
	v_add_f32_e32 v58, v63, v56
	v_and_b32_e32 v56, 0x7f800000, v58
	v_cmp_ne_u32_e32 vcc_lo, 0x7f800000, v56
	v_mov_b32_e32 v56, 0x80
	s_and_saveexec_b32 s22, vcc_lo
	s_cbranch_execz .LBB2_6461
; %bb.6454:                             ;   in Loop: Header=BB2_6201 Depth=3
	v_mov_b32_e32 v56, 0
	s_mov_b32 s23, exec_lo
	v_cmpx_ne_u32_e32 0, v58
	s_cbranch_execz .LBB2_6460
; %bb.6455:                             ;   in Loop: Header=BB2_6201 Depth=3
	v_bfe_u32 v56, v58, 23, 8
	v_and_b32_e32 v63, 0x7fffff, v58
	v_sub_nc_u32_e32 v72, 0x70, v56
	v_cmp_gt_u32_e32 vcc_lo, 0x71, v56
	v_or_b32_e32 v73, 0x800000, v63
	v_cndmask_b32_e32 v72, 0, v72, vcc_lo
	v_cmp_eq_u32_e32 vcc_lo, 0, v56
	v_add_nc_u32_e32 v56, 0xffffff91, v56
	v_cndmask_b32_e64 v72, v72, 0x6f, vcc_lo
	v_cndmask_b32_e32 v63, v73, v63, vcc_lo
	v_cndmask_b32_e64 v56, v56, 0xffffff92, vcc_lo
	v_lshl_add_u32 v73, 0x200000, v72, -1
	v_lshrrev_b32_e32 v74, v72, v63
	v_lshlrev_b32_e64 v76, v72, 0x100000
	v_add_nc_u32_e32 v72, v72, v56
	v_and_b32_e32 v63, v73, v63
	v_bfe_u32 v75, v74, 21, 1
	v_cmp_eq_u32_e64 s16, v63, v76
	v_add_nc_u32_e32 v73, -1, v75
	v_cndmask_b32_e64 v63, 0, v73, s16
	v_lshrrev_b32_e32 v73, 23, v74
	s_mov_b32 s16, exec_lo
	v_add_nc_u32_e32 v63, v63, v74
	v_xor_b32_e32 v73, 1, v73
	v_and_b32_e32 v56, 0x1fffff, v63
	v_add_nc_u32_e32 v63, v56, v74
                                        ; implicit-def: $vgpr56
	v_cmpx_ne_u32_e64 v72, v73
	s_xor_b32 s16, exec_lo, s16
; %bb.6456:                             ;   in Loop: Header=BB2_6201 Depth=3
	v_cmp_lt_u32_e32 vcc_lo, 0xffffff, v63
	v_sub_nc_u32_e32 v56, v72, v73
	v_cndmask_b32_e64 v72, 0, 1, vcc_lo
	v_add_co_ci_u32_e64 v56, null, 0, v56, vcc_lo
	v_lshrrev_b32_e32 v63, v72, v63
; %bb.6457:                             ;   in Loop: Header=BB2_6201 Depth=3
	s_andn2_saveexec_b32 s16, s16
; %bb.6458:                             ;   in Loop: Header=BB2_6201 Depth=3
	v_bfe_u32 v56, v63, 23, 1
; %bb.6459:                             ;   in Loop: Header=BB2_6201 Depth=3
	s_or_b32 exec_lo, exec_lo, s16
	v_lshrrev_b32_e32 v63, 21, v63
	v_cmp_gt_i32_e32 vcc_lo, 32, v56
	v_min_i32_e32 v72, 31, v56
	v_and_b32_sdwa v58, v58, v98 dst_sel:DWORD dst_unused:UNUSED_PAD src0_sel:BYTE_3 src1_sel:DWORD
	v_cndmask_b32_e32 v63, 3, v63, vcc_lo
	v_lshlrev_b32_e32 v72, 2, v72
	v_and_b32_e32 v73, 3, v63
	v_or_b32_e32 v56, v56, v63
	v_or3_b32 v58, v72, v58, v73
	v_cmp_ne_u32_e32 vcc_lo, 0, v56
	v_cndmask_b32_e32 v56, 0, v58, vcc_lo
.LBB2_6460:                             ;   in Loop: Header=BB2_6201 Depth=3
	s_or_b32 exec_lo, exec_lo, s23
.LBB2_6461:                             ;   in Loop: Header=BB2_6201 Depth=3
	s_or_b32 exec_lo, exec_lo, s22
	v_cmp_gt_i16_sdwa s22, v54, v97 src0_sel:BYTE_0 src1_sel:DWORD
	s_mov_b32 s16, 0
	s_and_saveexec_b32 s23, s22
	s_xor_b32 s22, exec_lo, s23
	s_cbranch_execz .LBB2_6523
; %bb.6462:                             ;   in Loop: Header=BB2_6201 Depth=3
	v_cmp_eq_u16_sdwa s72, v54, v98 src0_sel:BYTE_0 src1_sel:DWORD
	s_mov_b32 s16, -1
	s_and_saveexec_b32 s23, s72
; %bb.6463:                             ;   in Loop: Header=BB2_6201 Depth=3
	s_xor_b32 s16, exec_lo, -1
; %bb.6464:                             ;   in Loop: Header=BB2_6201 Depth=3
	s_or_b32 exec_lo, exec_lo, s23
	s_and_b32 s16, s16, exec_lo
	s_or_saveexec_b32 s22, s22
	v_mov_b32_e32 v58, 0x7f800001
	s_xor_b32 exec_lo, exec_lo, s22
	s_cbranch_execnz .LBB2_6524
.LBB2_6465:                             ;   in Loop: Header=BB2_6201 Depth=3
	s_or_b32 exec_lo, exec_lo, s22
	s_and_saveexec_b32 s22, s16
	s_cbranch_execz .LBB2_6467
.LBB2_6466:                             ;   in Loop: Header=BB2_6201 Depth=3
	v_and_b32_e32 v58, 3, v54
	v_lshrrev_b16 v72, 2, v54
	v_ffbh_u32_e32 v63, v58
	v_and_b32_e32 v72, 31, v72
	v_min_u32_e32 v63, 32, v63
	v_cmp_eq_u32_e32 vcc_lo, 0, v72
	v_subrev_nc_u32_e32 v73, 29, v63
	v_sub_nc_u32_e32 v63, 30, v63
	v_lshlrev_b32_e32 v73, v73, v54
	v_lshlrev_b32_e32 v54, 24, v54
	v_cndmask_b32_e32 v63, v72, v63, vcc_lo
	v_and_b32_e32 v73, 3, v73
	v_and_b32_e32 v54, 0x80000000, v54
	v_lshl_add_u32 v63, v63, 23, 0x37800000
	v_cndmask_b32_e32 v58, v58, v73, vcc_lo
	v_lshlrev_b32_e32 v58, 21, v58
	v_or3_b32 v58, v54, v63, v58
.LBB2_6467:                             ;   in Loop: Header=BB2_6201 Depth=3
	s_or_b32 exec_lo, exec_lo, s22
	s_waitcnt vmcnt(0) lgkmcnt(0)
	v_cmp_gt_i16_sdwa s22, v53, v97 src0_sel:BYTE_0 src1_sel:DWORD
	s_mov_b32 s16, 0
	s_and_saveexec_b32 s23, s22
	s_xor_b32 s22, exec_lo, s23
	s_cbranch_execz .LBB2_6525
; %bb.6468:                             ;   in Loop: Header=BB2_6201 Depth=3
	v_cmp_eq_u16_sdwa s72, v53, v98 src0_sel:BYTE_0 src1_sel:DWORD
	s_mov_b32 s16, -1
	s_and_saveexec_b32 s23, s72
; %bb.6469:                             ;   in Loop: Header=BB2_6201 Depth=3
	s_xor_b32 s16, exec_lo, -1
; %bb.6470:                             ;   in Loop: Header=BB2_6201 Depth=3
	s_or_b32 exec_lo, exec_lo, s23
	s_and_b32 s16, s16, exec_lo
	s_or_saveexec_b32 s22, s22
	v_mov_b32_e32 v54, 0x7f800001
	s_xor_b32 exec_lo, exec_lo, s22
	s_cbranch_execnz .LBB2_6526
.LBB2_6471:                             ;   in Loop: Header=BB2_6201 Depth=3
	s_or_b32 exec_lo, exec_lo, s22
	s_and_saveexec_b32 s22, s16
	s_cbranch_execz .LBB2_6473
.LBB2_6472:                             ;   in Loop: Header=BB2_6201 Depth=3
	v_and_b32_e32 v54, 3, v53
	v_lshrrev_b16 v72, 2, v53
	v_ffbh_u32_e32 v63, v54
	v_and_b32_e32 v72, 31, v72
	v_min_u32_e32 v63, 32, v63
	v_cmp_eq_u32_e32 vcc_lo, 0, v72
	v_subrev_nc_u32_e32 v73, 29, v63
	v_sub_nc_u32_e32 v63, 30, v63
	v_lshlrev_b32_e32 v73, v73, v53
	v_lshlrev_b32_e32 v53, 24, v53
	v_cndmask_b32_e32 v63, v72, v63, vcc_lo
	v_and_b32_e32 v73, 3, v73
	v_and_b32_e32 v53, 0x80000000, v53
	v_lshl_add_u32 v63, v63, 23, 0x37800000
	v_cndmask_b32_e32 v54, v54, v73, vcc_lo
	v_lshlrev_b32_e32 v54, 21, v54
	v_or3_b32 v54, v53, v63, v54
.LBB2_6473:                             ;   in Loop: Header=BB2_6201 Depth=3
	s_or_b32 exec_lo, exec_lo, s22
	v_add_f32_e32 v53, v58, v54
	v_and_b32_e32 v54, 0x7f800000, v53
	v_cmp_ne_u32_e32 vcc_lo, 0x7f800000, v54
	v_mov_b32_e32 v54, 0x80
	s_and_saveexec_b32 s22, vcc_lo
	s_cbranch_execz .LBB2_6200
; %bb.6474:                             ;   in Loop: Header=BB2_6201 Depth=3
	v_mov_b32_e32 v54, 0
	s_mov_b32 s23, exec_lo
	v_cmpx_ne_u32_e32 0, v53
	s_cbranch_execz .LBB2_6199
; %bb.6475:                             ;   in Loop: Header=BB2_6201 Depth=3
	v_bfe_u32 v54, v53, 23, 8
	v_and_b32_e32 v58, 0x7fffff, v53
	v_sub_nc_u32_e32 v63, 0x70, v54
	v_cmp_gt_u32_e32 vcc_lo, 0x71, v54
	v_or_b32_e32 v72, 0x800000, v58
	v_cndmask_b32_e32 v63, 0, v63, vcc_lo
	v_cmp_eq_u32_e32 vcc_lo, 0, v54
	v_add_nc_u32_e32 v54, 0xffffff91, v54
	v_cndmask_b32_e64 v63, v63, 0x6f, vcc_lo
	v_cndmask_b32_e32 v58, v72, v58, vcc_lo
	v_cndmask_b32_e64 v54, v54, 0xffffff92, vcc_lo
	v_lshl_add_u32 v72, 0x200000, v63, -1
	v_lshrrev_b32_e32 v73, v63, v58
	v_lshlrev_b32_e64 v75, v63, 0x100000
	v_add_nc_u32_e32 v63, v63, v54
	v_and_b32_e32 v58, v72, v58
	v_bfe_u32 v74, v73, 21, 1
	v_cmp_eq_u32_e64 s16, v58, v75
	v_add_nc_u32_e32 v72, -1, v74
	v_cndmask_b32_e64 v58, 0, v72, s16
	v_lshrrev_b32_e32 v72, 23, v73
	s_mov_b32 s16, exec_lo
	v_add_nc_u32_e32 v58, v58, v73
	v_xor_b32_e32 v72, 1, v72
	v_and_b32_e32 v54, 0x1fffff, v58
	v_add_nc_u32_e32 v58, v54, v73
                                        ; implicit-def: $vgpr54
	v_cmpx_ne_u32_e64 v63, v72
	s_xor_b32 s16, exec_lo, s16
; %bb.6476:                             ;   in Loop: Header=BB2_6201 Depth=3
	v_cmp_lt_u32_e32 vcc_lo, 0xffffff, v58
	v_sub_nc_u32_e32 v54, v63, v72
	v_cndmask_b32_e64 v63, 0, 1, vcc_lo
	v_add_co_ci_u32_e64 v54, null, 0, v54, vcc_lo
	v_lshrrev_b32_e32 v58, v63, v58
; %bb.6477:                             ;   in Loop: Header=BB2_6201 Depth=3
	s_andn2_saveexec_b32 s16, s16
	s_cbranch_execz .LBB2_6198
; %bb.6478:                             ;   in Loop: Header=BB2_6201 Depth=3
	v_bfe_u32 v54, v58, 23, 1
	s_branch .LBB2_6198
.LBB2_6479:                             ;   in Loop: Header=BB2_6201 Depth=3
	s_or_saveexec_b32 s22, s22
	v_mov_b32_e32 v47, 0x7f800001
	s_xor_b32 exec_lo, exec_lo, s22
	s_cbranch_execz .LBB2_6213
.LBB2_6480:                             ;   in Loop: Header=BB2_6201 Depth=3
	v_cmp_ne_u16_e32 vcc_lo, 0, v53
	v_mov_b32_e32 v47, 0
	s_andn2_b32 s16, s16, exec_lo
	s_and_b32 s23, vcc_lo, exec_lo
	s_or_b32 s16, s16, s23
	s_or_b32 exec_lo, exec_lo, s22
	s_and_saveexec_b32 s22, s16
	s_cbranch_execnz .LBB2_6214
	s_branch .LBB2_6215
.LBB2_6481:                             ;   in Loop: Header=BB2_6201 Depth=3
	s_or_saveexec_b32 s22, s22
	v_mov_b32_e32 v56, 0x7f800001
	s_xor_b32 exec_lo, exec_lo, s22
	s_cbranch_execz .LBB2_6227
.LBB2_6482:                             ;   in Loop: Header=BB2_6201 Depth=3
	v_cmp_ne_u16_e32 vcc_lo, 0, v53
	v_mov_b32_e32 v56, 0
	s_andn2_b32 s16, s16, exec_lo
	s_and_b32 s23, vcc_lo, exec_lo
	s_or_b32 s16, s16, s23
	s_or_b32 exec_lo, exec_lo, s22
	s_and_saveexec_b32 s22, s16
	s_cbranch_execnz .LBB2_6228
	s_branch .LBB2_6229
.LBB2_6483:                             ;   in Loop: Header=BB2_6201 Depth=3
	s_or_saveexec_b32 s22, s22
	v_mov_b32_e32 v56, 0x7f800001
	s_xor_b32 exec_lo, exec_lo, s22
	s_cbranch_execz .LBB2_6241
.LBB2_6484:                             ;   in Loop: Header=BB2_6201 Depth=3
	v_cmp_ne_u16_e32 vcc_lo, 0, v53
	v_mov_b32_e32 v56, 0
	s_andn2_b32 s16, s16, exec_lo
	s_and_b32 s23, vcc_lo, exec_lo
	s_or_b32 s16, s16, s23
	s_or_b32 exec_lo, exec_lo, s22
	s_and_saveexec_b32 s22, s16
	s_cbranch_execnz .LBB2_6242
	s_branch .LBB2_6243
.LBB2_6485:                             ;   in Loop: Header=BB2_6201 Depth=3
	s_or_saveexec_b32 s22, s22
	v_mov_b32_e32 v56, 0x7f800001
	s_xor_b32 exec_lo, exec_lo, s22
	s_cbranch_execz .LBB2_6255
.LBB2_6486:                             ;   in Loop: Header=BB2_6201 Depth=3
	v_cmp_ne_u16_e32 vcc_lo, 0, v53
	v_mov_b32_e32 v56, 0
	s_andn2_b32 s16, s16, exec_lo
	s_and_b32 s23, vcc_lo, exec_lo
	s_or_b32 s16, s16, s23
	s_or_b32 exec_lo, exec_lo, s22
	s_and_saveexec_b32 s22, s16
	s_cbranch_execnz .LBB2_6256
	s_branch .LBB2_6257
.LBB2_6487:                             ;   in Loop: Header=BB2_6201 Depth=3
	s_or_saveexec_b32 s22, s22
	v_mov_b32_e32 v56, 0x7f800001
	s_xor_b32 exec_lo, exec_lo, s22
	s_cbranch_execz .LBB2_6269
.LBB2_6488:                             ;   in Loop: Header=BB2_6201 Depth=3
	v_cmp_ne_u16_e32 vcc_lo, 0, v53
	v_mov_b32_e32 v56, 0
	s_andn2_b32 s16, s16, exec_lo
	s_and_b32 s23, vcc_lo, exec_lo
	s_or_b32 s16, s16, s23
	s_or_b32 exec_lo, exec_lo, s22
	s_and_saveexec_b32 s22, s16
	s_cbranch_execnz .LBB2_6270
	s_branch .LBB2_6271
.LBB2_6489:                             ;   in Loop: Header=BB2_6201 Depth=3
	s_or_saveexec_b32 s22, s22
	v_mov_b32_e32 v56, 0x7f800001
	s_xor_b32 exec_lo, exec_lo, s22
	s_cbranch_execz .LBB2_6283
.LBB2_6490:                             ;   in Loop: Header=BB2_6201 Depth=3
	v_cmp_ne_u16_e32 vcc_lo, 0, v53
	v_mov_b32_e32 v56, 0
	s_andn2_b32 s16, s16, exec_lo
	s_and_b32 s23, vcc_lo, exec_lo
	s_or_b32 s16, s16, s23
	s_or_b32 exec_lo, exec_lo, s22
	s_and_saveexec_b32 s22, s16
	s_cbranch_execnz .LBB2_6284
	s_branch .LBB2_6285
.LBB2_6491:                             ;   in Loop: Header=BB2_6201 Depth=3
	s_or_saveexec_b32 s22, s22
	v_mov_b32_e32 v56, 0x7f800001
	s_xor_b32 exec_lo, exec_lo, s22
	s_cbranch_execz .LBB2_6297
.LBB2_6492:                             ;   in Loop: Header=BB2_6201 Depth=3
	v_cmp_ne_u16_e32 vcc_lo, 0, v53
	v_mov_b32_e32 v56, 0
	s_andn2_b32 s16, s16, exec_lo
	s_and_b32 s23, vcc_lo, exec_lo
	s_or_b32 s16, s16, s23
	s_or_b32 exec_lo, exec_lo, s22
	s_and_saveexec_b32 s22, s16
	s_cbranch_execnz .LBB2_6298
	s_branch .LBB2_6299
.LBB2_6493:                             ;   in Loop: Header=BB2_6201 Depth=3
	s_or_saveexec_b32 s22, s22
	v_mov_b32_e32 v58, 0x7f800001
	s_xor_b32 exec_lo, exec_lo, s22
	s_cbranch_execz .LBB2_6311
.LBB2_6494:                             ;   in Loop: Header=BB2_6201 Depth=3
	v_cmp_ne_u16_e32 vcc_lo, 0, v53
	v_mov_b32_e32 v58, 0
	s_andn2_b32 s16, s16, exec_lo
	s_and_b32 s23, vcc_lo, exec_lo
	s_or_b32 s16, s16, s23
	s_or_b32 exec_lo, exec_lo, s22
	s_and_saveexec_b32 s22, s16
	s_cbranch_execnz .LBB2_6312
	s_branch .LBB2_6313
.LBB2_6495:                             ;   in Loop: Header=BB2_6201 Depth=3
	s_or_saveexec_b32 s22, s22
	v_mov_b32_e32 v77, 0x7f800001
	s_xor_b32 exec_lo, exec_lo, s22
	s_cbranch_execz .LBB2_6325
.LBB2_6496:                             ;   in Loop: Header=BB2_6201 Depth=3
	v_cmp_ne_u16_sdwa s23, v47, v2 src0_sel:BYTE_0 src1_sel:DWORD
	v_mov_b32_e32 v77, 0
	s_andn2_b32 s16, s16, exec_lo
	s_and_b32 s23, s23, exec_lo
	s_or_b32 s16, s16, s23
	s_or_b32 exec_lo, exec_lo, s22
	s_and_saveexec_b32 s22, s16
	s_cbranch_execnz .LBB2_6326
	s_branch .LBB2_6327
.LBB2_6497:                             ;   in Loop: Header=BB2_6201 Depth=3
	s_or_saveexec_b32 s22, s22
	v_mov_b32_e32 v47, 0x7f800001
	s_xor_b32 exec_lo, exec_lo, s22
	s_cbranch_execz .LBB2_6331
.LBB2_6498:                             ;   in Loop: Header=BB2_6201 Depth=3
	v_cmp_ne_u16_sdwa s23, v76, v2 src0_sel:BYTE_0 src1_sel:DWORD
	v_mov_b32_e32 v47, 0
	s_andn2_b32 s16, s16, exec_lo
	s_and_b32 s23, s23, exec_lo
	s_or_b32 s16, s16, s23
	s_or_b32 exec_lo, exec_lo, s22
	s_and_saveexec_b32 s22, s16
	s_cbranch_execnz .LBB2_6332
	s_branch .LBB2_6333
.LBB2_6499:                             ;   in Loop: Header=BB2_6201 Depth=3
	s_or_saveexec_b32 s22, s22
	v_mov_b32_e32 v76, 0x7f800001
	s_xor_b32 exec_lo, exec_lo, s22
	s_cbranch_execz .LBB2_6345
.LBB2_6500:                             ;   in Loop: Header=BB2_6201 Depth=3
	v_cmp_ne_u16_sdwa s23, v61, v2 src0_sel:BYTE_0 src1_sel:DWORD
	v_mov_b32_e32 v76, 0
	s_andn2_b32 s16, s16, exec_lo
	s_and_b32 s23, s23, exec_lo
	s_or_b32 s16, s16, s23
	s_or_b32 exec_lo, exec_lo, s22
	s_and_saveexec_b32 s22, s16
	s_cbranch_execnz .LBB2_6346
	s_branch .LBB2_6347
.LBB2_6501:                             ;   in Loop: Header=BB2_6201 Depth=3
	s_or_saveexec_b32 s22, s22
	v_mov_b32_e32 v61, 0x7f800001
	s_xor_b32 exec_lo, exec_lo, s22
	s_cbranch_execz .LBB2_6351
.LBB2_6502:                             ;   in Loop: Header=BB2_6201 Depth=3
	v_cmp_ne_u16_sdwa s23, v75, v2 src0_sel:BYTE_0 src1_sel:DWORD
	v_mov_b32_e32 v61, 0
	s_andn2_b32 s16, s16, exec_lo
	s_and_b32 s23, s23, exec_lo
	s_or_b32 s16, s16, s23
	s_or_b32 exec_lo, exec_lo, s22
	s_and_saveexec_b32 s22, s16
	s_cbranch_execnz .LBB2_6352
	s_branch .LBB2_6353
.LBB2_6503:                             ;   in Loop: Header=BB2_6201 Depth=3
	s_or_saveexec_b32 s22, s22
	v_mov_b32_e32 v75, 0x7f800001
	s_xor_b32 exec_lo, exec_lo, s22
	s_cbranch_execz .LBB2_6365
.LBB2_6504:                             ;   in Loop: Header=BB2_6201 Depth=3
	v_cmp_ne_u16_sdwa s23, v62, v2 src0_sel:BYTE_0 src1_sel:DWORD
	v_mov_b32_e32 v75, 0
	s_andn2_b32 s16, s16, exec_lo
	s_and_b32 s23, s23, exec_lo
	s_or_b32 s16, s16, s23
	s_or_b32 exec_lo, exec_lo, s22
	s_and_saveexec_b32 s22, s16
	s_cbranch_execnz .LBB2_6366
	s_branch .LBB2_6367
.LBB2_6505:                             ;   in Loop: Header=BB2_6201 Depth=3
	s_or_saveexec_b32 s22, s22
	v_mov_b32_e32 v62, 0x7f800001
	s_xor_b32 exec_lo, exec_lo, s22
	s_cbranch_execz .LBB2_6371
.LBB2_6506:                             ;   in Loop: Header=BB2_6201 Depth=3
	v_cmp_ne_u16_sdwa s23, v74, v2 src0_sel:BYTE_0 src1_sel:DWORD
	v_mov_b32_e32 v62, 0
	s_andn2_b32 s16, s16, exec_lo
	s_and_b32 s23, s23, exec_lo
	s_or_b32 s16, s16, s23
	s_or_b32 exec_lo, exec_lo, s22
	s_and_saveexec_b32 s22, s16
	s_cbranch_execnz .LBB2_6372
	s_branch .LBB2_6373
.LBB2_6507:                             ;   in Loop: Header=BB2_6201 Depth=3
	s_or_saveexec_b32 s22, s22
	v_mov_b32_e32 v74, 0x7f800001
	s_xor_b32 exec_lo, exec_lo, s22
	s_cbranch_execz .LBB2_6385
.LBB2_6508:                             ;   in Loop: Header=BB2_6201 Depth=3
	v_cmp_ne_u16_sdwa s23, v60, v2 src0_sel:BYTE_0 src1_sel:DWORD
	v_mov_b32_e32 v74, 0
	s_andn2_b32 s16, s16, exec_lo
	s_and_b32 s23, s23, exec_lo
	s_or_b32 s16, s16, s23
	s_or_b32 exec_lo, exec_lo, s22
	s_and_saveexec_b32 s22, s16
	s_cbranch_execnz .LBB2_6386
	s_branch .LBB2_6387
.LBB2_6509:                             ;   in Loop: Header=BB2_6201 Depth=3
	s_or_saveexec_b32 s22, s22
	v_mov_b32_e32 v60, 0x7f800001
	s_xor_b32 exec_lo, exec_lo, s22
	s_cbranch_execz .LBB2_6391
.LBB2_6510:                             ;   in Loop: Header=BB2_6201 Depth=3
	v_cmp_ne_u16_sdwa s23, v73, v2 src0_sel:BYTE_0 src1_sel:DWORD
	v_mov_b32_e32 v60, 0
	s_andn2_b32 s16, s16, exec_lo
	s_and_b32 s23, s23, exec_lo
	s_or_b32 s16, s16, s23
	s_or_b32 exec_lo, exec_lo, s22
	s_and_saveexec_b32 s22, s16
	s_cbranch_execnz .LBB2_6392
	s_branch .LBB2_6393
.LBB2_6511:                             ;   in Loop: Header=BB2_6201 Depth=3
	s_or_saveexec_b32 s22, s22
	v_mov_b32_e32 v73, 0x7f800001
	s_xor_b32 exec_lo, exec_lo, s22
	s_cbranch_execz .LBB2_6405
.LBB2_6512:                             ;   in Loop: Header=BB2_6201 Depth=3
	v_cmp_ne_u16_sdwa s23, v59, v2 src0_sel:BYTE_0 src1_sel:DWORD
	v_mov_b32_e32 v73, 0
	s_andn2_b32 s16, s16, exec_lo
	s_and_b32 s23, s23, exec_lo
	s_or_b32 s16, s16, s23
	s_or_b32 exec_lo, exec_lo, s22
	s_and_saveexec_b32 s22, s16
	s_cbranch_execnz .LBB2_6406
	s_branch .LBB2_6407
.LBB2_6513:                             ;   in Loop: Header=BB2_6201 Depth=3
	s_or_saveexec_b32 s22, s22
	v_mov_b32_e32 v59, 0x7f800001
	s_xor_b32 exec_lo, exec_lo, s22
	s_cbranch_execz .LBB2_6411
.LBB2_6514:                             ;   in Loop: Header=BB2_6201 Depth=3
	v_cmp_ne_u16_sdwa s23, v72, v2 src0_sel:BYTE_0 src1_sel:DWORD
	v_mov_b32_e32 v59, 0
	s_andn2_b32 s16, s16, exec_lo
	s_and_b32 s23, s23, exec_lo
	s_or_b32 s16, s16, s23
	s_or_b32 exec_lo, exec_lo, s22
	s_and_saveexec_b32 s22, s16
	s_cbranch_execnz .LBB2_6412
	s_branch .LBB2_6413
.LBB2_6515:                             ;   in Loop: Header=BB2_6201 Depth=3
	s_or_saveexec_b32 s22, s22
	v_mov_b32_e32 v72, 0x7f800001
	s_xor_b32 exec_lo, exec_lo, s22
	s_cbranch_execz .LBB2_6425
.LBB2_6516:                             ;   in Loop: Header=BB2_6201 Depth=3
	v_cmp_ne_u16_sdwa s23, v57, v2 src0_sel:BYTE_0 src1_sel:DWORD
	v_mov_b32_e32 v72, 0
	s_andn2_b32 s16, s16, exec_lo
	s_and_b32 s23, s23, exec_lo
	s_or_b32 s16, s16, s23
	s_or_b32 exec_lo, exec_lo, s22
	s_and_saveexec_b32 s22, s16
	s_cbranch_execnz .LBB2_6426
	s_branch .LBB2_6427
.LBB2_6517:                             ;   in Loop: Header=BB2_6201 Depth=3
	s_or_saveexec_b32 s22, s22
	v_mov_b32_e32 v57, 0x7f800001
	s_xor_b32 exec_lo, exec_lo, s22
	s_cbranch_execz .LBB2_6431
.LBB2_6518:                             ;   in Loop: Header=BB2_6201 Depth=3
	v_cmp_ne_u16_sdwa s23, v63, v2 src0_sel:BYTE_0 src1_sel:DWORD
	v_mov_b32_e32 v57, 0
	s_andn2_b32 s16, s16, exec_lo
	s_and_b32 s23, s23, exec_lo
	s_or_b32 s16, s16, s23
	s_or_b32 exec_lo, exec_lo, s22
	s_and_saveexec_b32 s22, s16
	s_cbranch_execnz .LBB2_6432
	s_branch .LBB2_6433
.LBB2_6519:                             ;   in Loop: Header=BB2_6201 Depth=3
	s_or_saveexec_b32 s22, s22
	v_mov_b32_e32 v63, 0x7f800001
	s_xor_b32 exec_lo, exec_lo, s22
	s_cbranch_execz .LBB2_6445
.LBB2_6520:                             ;   in Loop: Header=BB2_6201 Depth=3
	v_cmp_ne_u16_sdwa s23, v56, v2 src0_sel:BYTE_0 src1_sel:DWORD
	v_mov_b32_e32 v63, 0
	s_andn2_b32 s16, s16, exec_lo
	s_and_b32 s23, s23, exec_lo
	s_or_b32 s16, s16, s23
	s_or_b32 exec_lo, exec_lo, s22
	s_and_saveexec_b32 s22, s16
	s_cbranch_execnz .LBB2_6446
	s_branch .LBB2_6447
.LBB2_6521:                             ;   in Loop: Header=BB2_6201 Depth=3
	s_or_saveexec_b32 s22, s22
	v_mov_b32_e32 v56, 0x7f800001
	s_xor_b32 exec_lo, exec_lo, s22
	s_cbranch_execz .LBB2_6451
.LBB2_6522:                             ;   in Loop: Header=BB2_6201 Depth=3
	v_cmp_ne_u16_sdwa s23, v58, v2 src0_sel:BYTE_0 src1_sel:DWORD
	v_mov_b32_e32 v56, 0
	s_andn2_b32 s16, s16, exec_lo
	s_and_b32 s23, s23, exec_lo
	s_or_b32 s16, s16, s23
	s_or_b32 exec_lo, exec_lo, s22
	s_and_saveexec_b32 s22, s16
	s_cbranch_execnz .LBB2_6452
	s_branch .LBB2_6453
.LBB2_6523:                             ;   in Loop: Header=BB2_6201 Depth=3
	s_or_saveexec_b32 s22, s22
	v_mov_b32_e32 v58, 0x7f800001
	s_xor_b32 exec_lo, exec_lo, s22
	s_cbranch_execz .LBB2_6465
.LBB2_6524:                             ;   in Loop: Header=BB2_6201 Depth=3
	v_cmp_ne_u16_sdwa s23, v54, v2 src0_sel:BYTE_0 src1_sel:DWORD
	v_mov_b32_e32 v58, 0
	s_andn2_b32 s16, s16, exec_lo
	s_and_b32 s23, s23, exec_lo
	s_or_b32 s16, s16, s23
	s_or_b32 exec_lo, exec_lo, s22
	s_and_saveexec_b32 s22, s16
	s_cbranch_execnz .LBB2_6466
	s_branch .LBB2_6467
.LBB2_6525:                             ;   in Loop: Header=BB2_6201 Depth=3
	s_or_saveexec_b32 s22, s22
	v_mov_b32_e32 v54, 0x7f800001
	s_xor_b32 exec_lo, exec_lo, s22
	s_cbranch_execz .LBB2_6471
.LBB2_6526:                             ;   in Loop: Header=BB2_6201 Depth=3
	v_cmp_ne_u16_sdwa s23, v53, v2 src0_sel:BYTE_0 src1_sel:DWORD
	v_mov_b32_e32 v54, 0
	s_andn2_b32 s16, s16, exec_lo
	s_and_b32 s23, s23, exec_lo
	s_or_b32 s16, s16, s23
	s_or_b32 exec_lo, exec_lo, s22
	s_and_saveexec_b32 s22, s16
	s_cbranch_execnz .LBB2_6472
	s_branch .LBB2_6473
.LBB2_6527:                             ;   in Loop: Header=BB2_3107 Depth=2
	s_or_b32 exec_lo, exec_lo, s19
.LBB2_6528:                             ;   in Loop: Header=BB2_3107 Depth=2
	s_or_b32 exec_lo, exec_lo, s18
	v_lshlrev_b32_e32 v8, 8, v69
	v_cmp_ne_u32_e32 vcc_lo, v65, v8
	s_and_b32 exec_lo, exec_lo, vcc_lo
	s_cbranch_execz .LBB2_6580
; %bb.6529:                             ;   in Loop: Header=BB2_3107 Depth=2
	v_lshlrev_b32_e32 v9, 5, v67
	v_lshlrev_b32_e32 v10, 5, v68
	v_sub_nc_u32_e32 v9, v66, v9
	v_sub_nc_u32_e32 v9, v9, v10
	v_add_nc_u32_e32 v8, v8, v9
	v_sub_nc_u32_e32 v65, v65, v8
	v_cmp_lt_i32_e32 vcc_lo, 0, v65
	s_and_b32 exec_lo, exec_lo, vcc_lo
	s_cbranch_execz .LBB2_6580
; %bb.6530:                             ;   in Loop: Header=BB2_3107 Depth=2
	s_trap 2
	ds_read_b128 v[51:54], v0
	ds_read_b64 v[66:67], v0
	v_add_nc_u32_e32 v64, v8, v64
	s_mov_b32 s18, 0
	v_ashrrev_i32_e32 v68, 31, v64
	s_waitcnt lgkmcnt(1)
	v_add_co_u32 v8, vcc_lo, v51, v64
	v_add_co_ci_u32_e64 v9, null, v52, v68, vcc_lo
	v_add_co_u32 v10, vcc_lo, v53, v64
	v_add_co_ci_u32_e64 v11, null, v54, v68, vcc_lo
	s_waitcnt lgkmcnt(0)
	v_add_co_u32 v51, vcc_lo, v66, v64
	v_add_co_ci_u32_e64 v52, null, v67, v68, vcc_lo
	s_branch .LBB2_6534
.LBB2_6531:                             ;   in Loop: Header=BB2_6534 Depth=3
	s_or_b32 exec_lo, exec_lo, s16
	v_lshrrev_b32_e32 v64, 21, v64
	v_cmp_gt_i32_e32 vcc_lo, 32, v54
	v_min_i32_e32 v66, 31, v54
	v_and_b32_sdwa v53, v53, v98 dst_sel:DWORD dst_unused:UNUSED_PAD src0_sel:BYTE_3 src1_sel:DWORD
	v_cndmask_b32_e32 v64, 3, v64, vcc_lo
	v_lshlrev_b32_e32 v66, 2, v66
	v_and_b32_e32 v67, 3, v64
	v_or_b32_e32 v54, v54, v64
	v_or3_b32 v53, v66, v53, v67
	v_cmp_ne_u32_e32 vcc_lo, 0, v54
	v_cndmask_b32_e32 v54, 0, v53, vcc_lo
.LBB2_6532:                             ;   in Loop: Header=BB2_6534 Depth=3
	s_or_b32 exec_lo, exec_lo, s22
.LBB2_6533:                             ;   in Loop: Header=BB2_6534 Depth=3
	s_or_b32 exec_lo, exec_lo, s19
	v_sub_nc_u32_e32 v65, v65, v86
	v_add_co_u32 v8, vcc_lo, v8, v86
	v_add_co_ci_u32_e64 v9, null, 0, v9, vcc_lo
	v_add_co_u32 v10, vcc_lo, v10, v86
	flat_store_byte v[51:52], v54 glc slc
	v_add_co_ci_u32_e64 v11, null, 0, v11, vcc_lo
	v_cmp_gt_i32_e32 vcc_lo, 1, v65
	v_add_co_u32 v51, s16, v51, v86
	v_add_co_ci_u32_e64 v52, null, 0, v52, s16
	s_or_b32 s18, vcc_lo, s18
	s_andn2_b32 exec_lo, exec_lo, s18
	s_cbranch_execz .LBB2_6580
.LBB2_6534:                             ;   Parent Loop BB2_47 Depth=1
                                        ;     Parent Loop BB2_3107 Depth=2
                                        ; =>    This Inner Loop Header: Depth=3
	s_trap 2
	ds_read_b64 v[53:54], v0
	s_waitcnt lgkmcnt(0)
	v_readfirstlane_b32 s16, v53
	s_and_b32 s19, s16, 0xff
	s_cmpk_lt_i32 s19, 0x80
	s_cbranch_scc1 .LBB2_6538
; %bb.6535:                             ;   in Loop: Header=BB2_6534 Depth=3
	s_and_b32 s22, 0xffff, s19
	s_cmpk_eq_i32 s22, 0x80
	s_mov_b32 s22, -1
	s_cbranch_scc0 .LBB2_6537
; %bb.6536:                             ;   in Loop: Header=BB2_6534 Depth=3
	s_mov_b32 s22, 0
.LBB2_6537:                             ;   in Loop: Header=BB2_6534 Depth=3
	s_mov_b32 s23, 0x7f800001
	s_branch .LBB2_6540
.LBB2_6538:                             ;   in Loop: Header=BB2_6534 Depth=3
	s_mov_b32 s22, 0
	s_mov_b32 s23, 0x7f800001
	s_cbranch_execz .LBB2_6540
; %bb.6539:                             ;   in Loop: Header=BB2_6534 Depth=3
	s_and_b32 s19, 0xffff, s19
	s_mov_b32 s23, 0
	s_cmp_lg_u32 s19, 0
	s_cselect_b32 s22, -1, 0
.LBB2_6540:                             ;   in Loop: Header=BB2_6534 Depth=3
	v_mov_b32_e32 v54, s23
	s_andn2_b32 vcc_lo, exec_lo, s22
	s_cbranch_vccnz .LBB2_6542
; %bb.6541:                             ;   in Loop: Header=BB2_6534 Depth=3
	s_and_b32 s19, s16, 3
	s_bfe_u32 s23, s16, 0x50002
	s_flbit_i32_b32 s22, s19
	v_lshlrev_b32_e32 v53, 24, v53
	s_min_u32 s22, s22, 32
	s_sub_i32 s72, s22, 29
	s_sub_i32 s22, 30, s22
	s_lshl_b32 s16, s16, s72
	v_and_b32_e32 v53, 0x80000000, v53
	s_and_b32 s16, s16, 3
	s_cmp_eq_u32 s23, 0
	s_cselect_b32 s22, s22, s23
	s_cselect_b32 s16, s16, s19
	s_lshl_b32 s19, s22, 23
	s_lshl_b32 s16, s16, 21
	s_add_i32 s19, s19, 0x37800000
	v_or_b32_e32 v53, s19, v53
	v_or_b32_e32 v54, s16, v53
.LBB2_6542:                             ;   in Loop: Header=BB2_6534 Depth=3
	flat_load_ubyte v53, v[8:9] slc
	s_mov_b32 s16, 0
	s_mov_b32 s19, exec_lo
	s_waitcnt vmcnt(0) lgkmcnt(0)
	v_cmpx_lt_i16_e32 0x7f, v53
	s_xor_b32 s19, exec_lo, s19
	s_cbranch_execz .LBB2_6574
; %bb.6543:                             ;   in Loop: Header=BB2_6534 Depth=3
	s_mov_b32 s16, -1
	s_mov_b32 s22, exec_lo
	v_cmpx_eq_u16_e32 0x80, v53
; %bb.6544:                             ;   in Loop: Header=BB2_6534 Depth=3
	s_xor_b32 s16, exec_lo, -1
; %bb.6545:                             ;   in Loop: Header=BB2_6534 Depth=3
	s_or_b32 exec_lo, exec_lo, s22
	s_and_b32 s16, s16, exec_lo
	s_or_saveexec_b32 s19, s19
	v_mov_b32_e32 v64, 0x7f800001
	s_xor_b32 exec_lo, exec_lo, s19
	s_cbranch_execnz .LBB2_6575
.LBB2_6546:                             ;   in Loop: Header=BB2_6534 Depth=3
	s_or_b32 exec_lo, exec_lo, s19
	s_and_saveexec_b32 s19, s16
	s_cbranch_execz .LBB2_6548
.LBB2_6547:                             ;   in Loop: Header=BB2_6534 Depth=3
	v_and_b32_e32 v64, 0xffff, v53
	v_lshlrev_b32_e32 v53, 24, v53
	v_and_b32_e32 v66, 3, v64
	v_bfe_u32 v69, v64, 2, 5
	v_and_b32_e32 v53, 0x80000000, v53
	v_ffbh_u32_e32 v67, v66
	v_cmp_eq_u32_e32 vcc_lo, 0, v69
	v_min_u32_e32 v67, 32, v67
	v_subrev_nc_u32_e32 v68, 29, v67
	v_sub_nc_u32_e32 v67, 30, v67
	v_lshlrev_b32_e32 v64, v68, v64
	v_cndmask_b32_e32 v67, v69, v67, vcc_lo
	v_and_b32_e32 v64, 3, v64
	v_cndmask_b32_e32 v64, v66, v64, vcc_lo
	v_lshl_add_u32 v66, v67, 23, 0x37800000
	v_lshlrev_b32_e32 v64, 21, v64
	v_or3_b32 v64, v53, v66, v64
.LBB2_6548:                             ;   in Loop: Header=BB2_6534 Depth=3
	s_or_b32 exec_lo, exec_lo, s19
	v_mul_f32_e32 v53, v54, v64
	v_mov_b32_e32 v64, 0x80
	s_mov_b32 s19, exec_lo
	v_and_b32_e32 v54, 0x7f800000, v53
	v_cmpx_ne_u32_e32 0x7f800000, v54
	s_cbranch_execz .LBB2_6556
; %bb.6549:                             ;   in Loop: Header=BB2_6534 Depth=3
	v_mov_b32_e32 v64, 0
	s_mov_b32 s22, exec_lo
	v_cmpx_ne_u32_e32 0, v53
	s_cbranch_execz .LBB2_6555
; %bb.6550:                             ;   in Loop: Header=BB2_6534 Depth=3
	v_bfe_u32 v54, v53, 23, 8
	v_and_b32_e32 v64, 0x7fffff, v53
	v_sub_nc_u32_e32 v66, 0x70, v54
	v_cmp_gt_u32_e32 vcc_lo, 0x71, v54
	v_or_b32_e32 v67, 0x800000, v64
	v_cndmask_b32_e32 v66, 0, v66, vcc_lo
	v_cmp_eq_u32_e32 vcc_lo, 0, v54
	v_add_nc_u32_e32 v54, 0xffffff91, v54
	v_cndmask_b32_e64 v66, v66, 0x6f, vcc_lo
	v_cndmask_b32_e32 v64, v67, v64, vcc_lo
	v_cndmask_b32_e64 v54, v54, 0xffffff92, vcc_lo
	v_lshl_add_u32 v67, 0x200000, v66, -1
	v_lshrrev_b32_e32 v68, v66, v64
	v_lshlrev_b32_e64 v47, v66, 0x100000
	v_add_nc_u32_e32 v66, v66, v54
	v_and_b32_e32 v64, v67, v64
	v_bfe_u32 v69, v68, 21, 1
	v_cmp_eq_u32_e64 s16, v64, v47
	v_add_nc_u32_e32 v67, -1, v69
	v_cndmask_b32_e64 v64, 0, v67, s16
	v_lshrrev_b32_e32 v67, 23, v68
	s_mov_b32 s16, exec_lo
	v_add_nc_u32_e32 v64, v64, v68
	v_xor_b32_e32 v67, 1, v67
	v_and_b32_e32 v54, 0x1fffff, v64
	v_add_nc_u32_e32 v64, v54, v68
                                        ; implicit-def: $vgpr54
	v_cmpx_ne_u32_e64 v66, v67
	s_xor_b32 s16, exec_lo, s16
; %bb.6551:                             ;   in Loop: Header=BB2_6534 Depth=3
	v_cmp_lt_u32_e32 vcc_lo, 0xffffff, v64
	v_sub_nc_u32_e32 v54, v66, v67
	v_cndmask_b32_e64 v66, 0, 1, vcc_lo
	v_add_co_ci_u32_e64 v54, null, 0, v54, vcc_lo
	v_lshrrev_b32_e32 v64, v66, v64
; %bb.6552:                             ;   in Loop: Header=BB2_6534 Depth=3
	s_andn2_saveexec_b32 s16, s16
; %bb.6553:                             ;   in Loop: Header=BB2_6534 Depth=3
	v_bfe_u32 v54, v64, 23, 1
; %bb.6554:                             ;   in Loop: Header=BB2_6534 Depth=3
	s_or_b32 exec_lo, exec_lo, s16
	v_lshrrev_b32_e32 v64, 21, v64
	v_cmp_gt_i32_e32 vcc_lo, 32, v54
	v_min_i32_e32 v66, 31, v54
	v_and_b32_sdwa v53, v53, v98 dst_sel:DWORD dst_unused:UNUSED_PAD src0_sel:BYTE_3 src1_sel:DWORD
	v_cndmask_b32_e32 v64, 3, v64, vcc_lo
	v_lshlrev_b32_e32 v66, 2, v66
	v_and_b32_e32 v67, 3, v64
	v_or_b32_e32 v54, v54, v64
	v_or3_b32 v53, v66, v53, v67
	v_cmp_ne_u32_e32 vcc_lo, 0, v54
	v_cndmask_b32_e32 v64, 0, v53, vcc_lo
.LBB2_6555:                             ;   in Loop: Header=BB2_6534 Depth=3
	s_or_b32 exec_lo, exec_lo, s22
.LBB2_6556:                             ;   in Loop: Header=BB2_6534 Depth=3
	s_or_b32 exec_lo, exec_lo, s19
	flat_load_ubyte v53, v[10:11] slc
	v_cmp_gt_i16_sdwa s19, v64, v97 src0_sel:BYTE_0 src1_sel:DWORD
	s_mov_b32 s16, 0
	s_and_saveexec_b32 s22, s19
	s_xor_b32 s19, exec_lo, s22
	s_cbranch_execz .LBB2_6576
; %bb.6557:                             ;   in Loop: Header=BB2_6534 Depth=3
	v_cmp_eq_u16_sdwa s23, v64, v98 src0_sel:BYTE_0 src1_sel:DWORD
	s_mov_b32 s16, -1
	s_and_saveexec_b32 s22, s23
; %bb.6558:                             ;   in Loop: Header=BB2_6534 Depth=3
	s_xor_b32 s16, exec_lo, -1
; %bb.6559:                             ;   in Loop: Header=BB2_6534 Depth=3
	s_or_b32 exec_lo, exec_lo, s22
	s_and_b32 s16, s16, exec_lo
	s_or_saveexec_b32 s19, s19
	v_mov_b32_e32 v54, 0x7f800001
	s_xor_b32 exec_lo, exec_lo, s19
	s_cbranch_execnz .LBB2_6577
.LBB2_6560:                             ;   in Loop: Header=BB2_6534 Depth=3
	s_or_b32 exec_lo, exec_lo, s19
	s_and_saveexec_b32 s19, s16
	s_cbranch_execz .LBB2_6562
.LBB2_6561:                             ;   in Loop: Header=BB2_6534 Depth=3
	v_and_b32_e32 v54, 3, v64
	v_lshrrev_b16 v67, 2, v64
	v_ffbh_u32_e32 v66, v54
	v_and_b32_e32 v67, 31, v67
	v_min_u32_e32 v66, 32, v66
	v_cmp_eq_u32_e32 vcc_lo, 0, v67
	v_subrev_nc_u32_e32 v68, 29, v66
	v_sub_nc_u32_e32 v66, 30, v66
	v_lshlrev_b32_e32 v68, v68, v64
	v_lshlrev_b32_e32 v64, 24, v64
	v_cndmask_b32_e32 v66, v67, v66, vcc_lo
	v_and_b32_e32 v68, 3, v68
	v_and_b32_e32 v64, 0x80000000, v64
	v_lshl_add_u32 v66, v66, 23, 0x37800000
	v_cndmask_b32_e32 v54, v54, v68, vcc_lo
	v_lshlrev_b32_e32 v54, 21, v54
	v_or3_b32 v54, v64, v66, v54
.LBB2_6562:                             ;   in Loop: Header=BB2_6534 Depth=3
	s_or_b32 exec_lo, exec_lo, s19
	s_waitcnt vmcnt(0) lgkmcnt(0)
	v_cmp_gt_i16_sdwa s19, v53, v97 src0_sel:BYTE_0 src1_sel:DWORD
	s_mov_b32 s16, 0
	s_and_saveexec_b32 s22, s19
	s_xor_b32 s19, exec_lo, s22
	s_cbranch_execz .LBB2_6578
; %bb.6563:                             ;   in Loop: Header=BB2_6534 Depth=3
	v_cmp_eq_u16_sdwa s23, v53, v98 src0_sel:BYTE_0 src1_sel:DWORD
	s_mov_b32 s16, -1
	s_and_saveexec_b32 s22, s23
; %bb.6564:                             ;   in Loop: Header=BB2_6534 Depth=3
	s_xor_b32 s16, exec_lo, -1
; %bb.6565:                             ;   in Loop: Header=BB2_6534 Depth=3
	s_or_b32 exec_lo, exec_lo, s22
	s_and_b32 s16, s16, exec_lo
	s_or_saveexec_b32 s19, s19
	v_mov_b32_e32 v64, 0x7f800001
	s_xor_b32 exec_lo, exec_lo, s19
	s_cbranch_execnz .LBB2_6579
.LBB2_6566:                             ;   in Loop: Header=BB2_6534 Depth=3
	s_or_b32 exec_lo, exec_lo, s19
	s_and_saveexec_b32 s19, s16
	s_cbranch_execz .LBB2_6568
.LBB2_6567:                             ;   in Loop: Header=BB2_6534 Depth=3
	v_and_b32_e32 v64, 3, v53
	v_lshrrev_b16 v67, 2, v53
	v_ffbh_u32_e32 v66, v64
	v_and_b32_e32 v67, 31, v67
	v_min_u32_e32 v66, 32, v66
	v_cmp_eq_u32_e32 vcc_lo, 0, v67
	v_subrev_nc_u32_e32 v68, 29, v66
	v_sub_nc_u32_e32 v66, 30, v66
	v_lshlrev_b32_e32 v68, v68, v53
	v_lshlrev_b32_e32 v53, 24, v53
	v_cndmask_b32_e32 v66, v67, v66, vcc_lo
	v_and_b32_e32 v68, 3, v68
	v_and_b32_e32 v53, 0x80000000, v53
	v_lshl_add_u32 v66, v66, 23, 0x37800000
	v_cndmask_b32_e32 v64, v64, v68, vcc_lo
	v_lshlrev_b32_e32 v64, 21, v64
	v_or3_b32 v64, v53, v66, v64
.LBB2_6568:                             ;   in Loop: Header=BB2_6534 Depth=3
	s_or_b32 exec_lo, exec_lo, s19
	v_add_f32_e32 v53, v54, v64
	v_and_b32_e32 v54, 0x7f800000, v53
	v_cmp_ne_u32_e32 vcc_lo, 0x7f800000, v54
	v_mov_b32_e32 v54, 0x80
	s_and_saveexec_b32 s19, vcc_lo
	s_cbranch_execz .LBB2_6533
; %bb.6569:                             ;   in Loop: Header=BB2_6534 Depth=3
	v_mov_b32_e32 v54, 0
	s_mov_b32 s22, exec_lo
	v_cmpx_ne_u32_e32 0, v53
	s_cbranch_execz .LBB2_6532
; %bb.6570:                             ;   in Loop: Header=BB2_6534 Depth=3
	v_bfe_u32 v54, v53, 23, 8
	v_and_b32_e32 v64, 0x7fffff, v53
	v_sub_nc_u32_e32 v66, 0x70, v54
	v_cmp_gt_u32_e32 vcc_lo, 0x71, v54
	v_or_b32_e32 v67, 0x800000, v64
	v_cndmask_b32_e32 v66, 0, v66, vcc_lo
	v_cmp_eq_u32_e32 vcc_lo, 0, v54
	v_add_nc_u32_e32 v54, 0xffffff91, v54
	v_cndmask_b32_e64 v66, v66, 0x6f, vcc_lo
	v_cndmask_b32_e32 v64, v67, v64, vcc_lo
	v_cndmask_b32_e64 v54, v54, 0xffffff92, vcc_lo
	v_lshl_add_u32 v67, 0x200000, v66, -1
	v_lshrrev_b32_e32 v68, v66, v64
	v_lshlrev_b32_e64 v47, v66, 0x100000
	v_add_nc_u32_e32 v66, v66, v54
	v_and_b32_e32 v64, v67, v64
	v_bfe_u32 v69, v68, 21, 1
	v_cmp_eq_u32_e64 s16, v64, v47
	v_add_nc_u32_e32 v67, -1, v69
	v_cndmask_b32_e64 v64, 0, v67, s16
	v_lshrrev_b32_e32 v67, 23, v68
	s_mov_b32 s16, exec_lo
	v_add_nc_u32_e32 v64, v64, v68
	v_xor_b32_e32 v67, 1, v67
	v_and_b32_e32 v54, 0x1fffff, v64
	v_add_nc_u32_e32 v64, v54, v68
                                        ; implicit-def: $vgpr54
	v_cmpx_ne_u32_e64 v66, v67
	s_xor_b32 s16, exec_lo, s16
; %bb.6571:                             ;   in Loop: Header=BB2_6534 Depth=3
	v_cmp_lt_u32_e32 vcc_lo, 0xffffff, v64
	v_sub_nc_u32_e32 v54, v66, v67
	v_cndmask_b32_e64 v66, 0, 1, vcc_lo
	v_add_co_ci_u32_e64 v54, null, 0, v54, vcc_lo
	v_lshrrev_b32_e32 v64, v66, v64
; %bb.6572:                             ;   in Loop: Header=BB2_6534 Depth=3
	s_andn2_saveexec_b32 s16, s16
	s_cbranch_execz .LBB2_6531
; %bb.6573:                             ;   in Loop: Header=BB2_6534 Depth=3
	v_bfe_u32 v54, v64, 23, 1
	s_branch .LBB2_6531
.LBB2_6574:                             ;   in Loop: Header=BB2_6534 Depth=3
	s_or_saveexec_b32 s19, s19
	v_mov_b32_e32 v64, 0x7f800001
	s_xor_b32 exec_lo, exec_lo, s19
	s_cbranch_execz .LBB2_6546
.LBB2_6575:                             ;   in Loop: Header=BB2_6534 Depth=3
	v_cmp_ne_u16_e32 vcc_lo, 0, v53
	v_mov_b32_e32 v64, 0
	s_andn2_b32 s16, s16, exec_lo
	s_and_b32 s22, vcc_lo, exec_lo
	s_or_b32 s16, s16, s22
	s_or_b32 exec_lo, exec_lo, s19
	s_and_saveexec_b32 s19, s16
	s_cbranch_execnz .LBB2_6547
	s_branch .LBB2_6548
.LBB2_6576:                             ;   in Loop: Header=BB2_6534 Depth=3
	s_or_saveexec_b32 s19, s19
	v_mov_b32_e32 v54, 0x7f800001
	s_xor_b32 exec_lo, exec_lo, s19
	s_cbranch_execz .LBB2_6560
.LBB2_6577:                             ;   in Loop: Header=BB2_6534 Depth=3
	v_cmp_ne_u16_sdwa s22, v64, v2 src0_sel:BYTE_0 src1_sel:DWORD
	v_mov_b32_e32 v54, 0
	s_andn2_b32 s16, s16, exec_lo
	s_and_b32 s22, s22, exec_lo
	s_or_b32 s16, s16, s22
	s_or_b32 exec_lo, exec_lo, s19
	s_and_saveexec_b32 s19, s16
	s_cbranch_execnz .LBB2_6561
	s_branch .LBB2_6562
.LBB2_6578:                             ;   in Loop: Header=BB2_6534 Depth=3
	s_or_saveexec_b32 s19, s19
	v_mov_b32_e32 v64, 0x7f800001
	s_xor_b32 exec_lo, exec_lo, s19
	s_cbranch_execz .LBB2_6566
.LBB2_6579:                             ;   in Loop: Header=BB2_6534 Depth=3
	v_cmp_ne_u16_sdwa s22, v53, v2 src0_sel:BYTE_0 src1_sel:DWORD
	v_mov_b32_e32 v64, 0
	s_andn2_b32 s16, s16, exec_lo
	s_and_b32 s22, s22, exec_lo
	s_or_b32 s16, s16, s22
	s_or_b32 exec_lo, exec_lo, s19
	s_and_saveexec_b32 s19, s16
	s_cbranch_execnz .LBB2_6567
	s_branch .LBB2_6568
.LBB2_6580:                             ;   in Loop: Header=BB2_3107 Depth=2
	s_or_b32 exec_lo, exec_lo, s17
	v_cmp_lt_i32_e64 s16, 0, v46
	s_and_saveexec_b32 s17, s6
	s_cbranch_execz .LBB2_6599
.LBB2_6581:                             ;   in Loop: Header=BB2_3107 Depth=2
	s_and_saveexec_b32 s18, s29
	s_xor_b32 s18, exec_lo, s18
	s_cbranch_execz .LBB2_6596
; %bb.6582:                             ;   in Loop: Header=BB2_3107 Depth=2
	s_and_saveexec_b32 s19, s11
	s_cbranch_execz .LBB2_6595
; %bb.6583:                             ;   in Loop: Header=BB2_3107 Depth=2
	s_mov_b32 s23, exec_lo
	s_mov_b32 s22, exec_lo
	v_mbcnt_lo_u32_b32 v8, s23, 0
	s_waitcnt vmcnt(0) lgkmcnt(0)
	s_waitcnt_vscnt null, 0x0
	buffer_gl1_inv
	buffer_gl0_inv
	v_cmpx_eq_u32_e32 0, v8
	s_cbranch_execz .LBB2_6585
; %bb.6584:                             ;   in Loop: Header=BB2_3107 Depth=2
	s_bcnt1_i32_b32 s23, s23
	v_mov_b32_e32 v9, v2
	v_mov_b32_e32 v8, s23
	ds_add_u64 v0, v[8:9]
	s_trap 2
.LBB2_6585:                             ;   in Loop: Header=BB2_3107 Depth=2
	s_or_b32 exec_lo, exec_lo, s22
	s_trap 2
	ds_read_b64 v[8:9], v0
	s_waitcnt lgkmcnt(0)
	buffer_gl0_inv
	v_add_co_u32 v12, vcc_lo, v12, v83
	v_add_co_ci_u32_e64 v13, null, 0, v13, vcc_lo
	s_mov_b32 s22, exec_lo
	v_cmpx_lt_u64_e64 v[8:9], v[12:13]
	s_cbranch_execz .LBB2_6594
; %bb.6586:                             ;   in Loop: Header=BB2_3107 Depth=2
	s_mov_b32 s23, 0
	s_mov_b32 s74, 0
                                        ; implicit-def: $sgpr72
                                        ; implicit-def: $sgpr73
	s_inst_prefetch 0x1
	s_branch .LBB2_6588
	.p2align	6
.LBB2_6587:                             ;   in Loop: Header=BB2_6588 Depth=3
	s_or_b32 exec_lo, exec_lo, s76
	s_and_b32 s75, exec_lo, s77
	s_or_b32 s23, s75, s23
	s_andn2_b32 s72, s72, exec_lo
	s_and_b32 s75, s73, exec_lo
	s_or_b32 s72, s72, s75
	s_andn2_b32 exec_lo, exec_lo, s23
	s_cbranch_execz .LBB2_6592
.LBB2_6588:                             ;   Parent Loop BB2_47 Depth=1
                                        ;     Parent Loop BB2_3107 Depth=2
                                        ; =>    This Inner Loop Header: Depth=3
	s_add_i32 s74, s74, 1
	s_cmpk_lg_i32 s74, 0x2710
	s_cselect_b32 s75, -1, 0
	s_and_b32 vcc_lo, exec_lo, s75
	s_cbranch_vccz .LBB2_6590
; %bb.6589:                             ;   in Loop: Header=BB2_6588 Depth=3
	s_mov_b32 s77, -1
	s_or_b32 s73, s73, exec_lo
	s_and_saveexec_b32 s76, s75
	s_cbranch_execz .LBB2_6587
	s_branch .LBB2_6591
	.p2align	6
.LBB2_6590:                             ;   in Loop: Header=BB2_6588 Depth=3
	s_trap 2
	ds_read_b64 v[8:9], v0
	s_andn2_b32 s75, s75, exec_lo
	s_mov_b32 s74, 0
	s_waitcnt lgkmcnt(0)
	flat_load_dword v8, v[8:9] glc dlc
	s_waitcnt vmcnt(0) lgkmcnt(0)
	buffer_gl1_inv
	buffer_gl0_inv
	v_cmp_eq_u32_e32 vcc_lo, 0, v8
	s_and_b32 s76, vcc_lo, exec_lo
	s_or_b32 s75, s75, s76
	s_mov_b32 s77, -1
	s_or_b32 s73, s73, exec_lo
	s_and_saveexec_b32 s76, s75
	s_cbranch_execz .LBB2_6587
.LBB2_6591:                             ;   in Loop: Header=BB2_6588 Depth=3
	s_sleep 1
	s_trap 2
	ds_read_b64 v[8:9], v0
	s_waitcnt lgkmcnt(0)
	buffer_gl0_inv
	s_andn2_b32 s73, s73, exec_lo
	v_cmp_ge_u64_e32 vcc_lo, v[8:9], v[12:13]
	s_orn2_b32 s77, vcc_lo, exec_lo
	s_branch .LBB2_6587
.LBB2_6592:                             ;   in Loop: Header=BB2_3107 Depth=2
	s_inst_prefetch 0x2
	s_or_b32 exec_lo, exec_lo, s23
	s_and_saveexec_b32 s23, s72
	s_xor_b32 s23, exec_lo, s23
	s_cbranch_execz .LBB2_6594
; %bb.6593:                             ;   in Loop: Header=BB2_3107 Depth=2
	ds_write_b32 v0, v96
	s_trap 2
.LBB2_6594:                             ;   in Loop: Header=BB2_3107 Depth=2
	s_or_b32 exec_lo, exec_lo, s22
	;;#ASMSTART
	s_wakeup
	;;#ASMEND
.LBB2_6595:                             ;   in Loop: Header=BB2_3107 Depth=2
	s_or_b32 exec_lo, exec_lo, s19
.LBB2_6596:                             ;   in Loop: Header=BB2_3107 Depth=2
	s_andn2_saveexec_b32 s18, s18
	s_cbranch_execz .LBB2_6598
; %bb.6597:                             ;   in Loop: Header=BB2_3107 Depth=2
	s_waitcnt vmcnt(0) lgkmcnt(0)
	s_waitcnt_vscnt null, 0x0
	buffer_gl1_inv
	buffer_gl0_inv
	s_barrier
.LBB2_6598:                             ;   in Loop: Header=BB2_3107 Depth=2
	s_or_b32 exec_lo, exec_lo, s18
.LBB2_6599:                             ;   in Loop: Header=BB2_3107 Depth=2
	s_or_b32 exec_lo, exec_lo, s17
	v_and_b32_e32 v8, 16, v81
	s_and_saveexec_b32 s17, s15
	s_xor_b32 s17, exec_lo, s17
	s_cbranch_execz .LBB2_6603
; %bb.6600:                             ;   in Loop: Header=BB2_3107 Depth=2
	v_and_b32_e32 v8, 16, v81
	v_cmp_ne_u32_e32 vcc_lo, 0, v8
	v_and_b32_e32 v8, 16, v81
	s_and_b32 s18, vcc_lo, s16
	s_and_saveexec_b32 s16, s18
	s_cbranch_execz .LBB2_6602
; %bb.6601:                             ;   in Loop: Header=BB2_3107 Depth=2
	v_mov_b32_e32 v8, 1
	s_waitcnt vmcnt(0) lgkmcnt(0)
	s_waitcnt_vscnt null, 0x0
	buffer_gl1_inv
	buffer_gl0_inv
.LBB2_6602:                             ;   in Loop: Header=BB2_3107 Depth=2
	s_or_b32 exec_lo, exec_lo, s16
.LBB2_6603:                             ;   in Loop: Header=BB2_3107 Depth=2
	s_andn2_saveexec_b32 s16, s17
	s_cbranch_execz .LBB2_6622
; %bb.6604:                             ;   in Loop: Header=BB2_3107 Depth=2
	s_and_saveexec_b32 s17, s29
	s_xor_b32 s17, exec_lo, s17
	s_cbranch_execz .LBB2_6619
; %bb.6605:                             ;   in Loop: Header=BB2_3107 Depth=2
	s_and_saveexec_b32 s18, s11
	s_cbranch_execz .LBB2_6618
; %bb.6606:                             ;   in Loop: Header=BB2_3107 Depth=2
	s_mov_b32 s22, exec_lo
	s_mov_b32 s19, exec_lo
	v_mbcnt_lo_u32_b32 v9, s22, 0
	;;#ASMSTART
	s_waitcnt lgkmcnt(0) vmcnt(0)
	;;#ASMEND
	v_cmpx_eq_u32_e32 0, v9
	s_cbranch_execz .LBB2_6608
; %bb.6607:                             ;   in Loop: Header=BB2_3107 Depth=2
	s_bcnt1_i32_b32 s22, s22
	v_mov_b32_e32 v10, v2
	v_mov_b32_e32 v9, s22
	s_waitcnt vmcnt(0) lgkmcnt(0)
	s_waitcnt_vscnt null, 0x0
	ds_add_u64 v0, v[9:10]
	s_trap 2
.LBB2_6608:                             ;   in Loop: Header=BB2_3107 Depth=2
	s_or_b32 exec_lo, exec_lo, s19
	s_trap 2
	ds_read_b64 v[9:10], v0
	s_waitcnt vmcnt(0) lgkmcnt(0)
	buffer_gl0_inv
	v_add_co_u32 v12, vcc_lo, v12, v83
	v_add_co_ci_u32_e64 v13, null, 0, v13, vcc_lo
	s_mov_b32 s19, exec_lo
	v_cmpx_lt_u64_e64 v[9:10], v[12:13]
	s_cbranch_execz .LBB2_6617
; %bb.6609:                             ;   in Loop: Header=BB2_3107 Depth=2
	s_mov_b32 s22, 0
	s_mov_b32 s73, 0
                                        ; implicit-def: $sgpr23
                                        ; implicit-def: $sgpr72
	s_inst_prefetch 0x1
	s_branch .LBB2_6611
	.p2align	6
.LBB2_6610:                             ;   in Loop: Header=BB2_6611 Depth=3
	s_or_b32 exec_lo, exec_lo, s75
	s_and_b32 s74, exec_lo, s76
	s_or_b32 s22, s74, s22
	s_andn2_b32 s23, s23, exec_lo
	s_and_b32 s74, s72, exec_lo
	s_or_b32 s23, s23, s74
	s_andn2_b32 exec_lo, exec_lo, s22
	s_cbranch_execz .LBB2_6615
.LBB2_6611:                             ;   Parent Loop BB2_47 Depth=1
                                        ;     Parent Loop BB2_3107 Depth=2
                                        ; =>    This Inner Loop Header: Depth=3
	s_add_i32 s73, s73, 1
	s_cmpk_lg_i32 s73, 0x2710
	s_cselect_b32 s74, -1, 0
	s_and_b32 vcc_lo, exec_lo, s74
	s_cbranch_vccz .LBB2_6613
; %bb.6612:                             ;   in Loop: Header=BB2_6611 Depth=3
	s_mov_b32 s76, -1
	s_or_b32 s72, s72, exec_lo
	s_and_saveexec_b32 s75, s74
	s_cbranch_execz .LBB2_6610
	s_branch .LBB2_6614
	.p2align	6
.LBB2_6613:                             ;   in Loop: Header=BB2_6611 Depth=3
	s_trap 2
	ds_read_b64 v[9:10], v0
	s_andn2_b32 s74, s74, exec_lo
	s_mov_b32 s73, 0
	s_waitcnt lgkmcnt(0)
	s_waitcnt_vscnt null, 0x0
	flat_load_dword v9, v[9:10] glc dlc
	s_waitcnt vmcnt(0) lgkmcnt(0)
	buffer_gl1_inv
	buffer_gl0_inv
	v_cmp_eq_u32_e32 vcc_lo, 0, v9
	s_and_b32 s75, vcc_lo, exec_lo
	s_or_b32 s74, s74, s75
	s_mov_b32 s76, -1
	s_or_b32 s72, s72, exec_lo
	s_and_saveexec_b32 s75, s74
	s_cbranch_execz .LBB2_6610
.LBB2_6614:                             ;   in Loop: Header=BB2_6611 Depth=3
	s_sleep 1
	s_trap 2
	ds_read_b64 v[9:10], v0
	s_waitcnt lgkmcnt(0)
	buffer_gl0_inv
	s_andn2_b32 s72, s72, exec_lo
	v_cmp_ge_u64_e32 vcc_lo, v[9:10], v[12:13]
	s_orn2_b32 s76, vcc_lo, exec_lo
	s_branch .LBB2_6610
.LBB2_6615:                             ;   in Loop: Header=BB2_3107 Depth=2
	s_inst_prefetch 0x2
	s_or_b32 exec_lo, exec_lo, s22
	s_and_saveexec_b32 s22, s23
	s_xor_b32 s22, exec_lo, s22
	s_cbranch_execz .LBB2_6617
; %bb.6616:                             ;   in Loop: Header=BB2_3107 Depth=2
	ds_write_b32 v0, v96
	s_trap 2
.LBB2_6617:                             ;   in Loop: Header=BB2_3107 Depth=2
	s_or_b32 exec_lo, exec_lo, s19
	;;#ASMSTART
	s_wakeup
	;;#ASMEND
.LBB2_6618:                             ;   in Loop: Header=BB2_3107 Depth=2
	s_or_b32 exec_lo, exec_lo, s18
.LBB2_6619:                             ;   in Loop: Header=BB2_3107 Depth=2
	s_andn2_saveexec_b32 s17, s17
	s_cbranch_execz .LBB2_6621
; %bb.6620:                             ;   in Loop: Header=BB2_3107 Depth=2
	;;#ASMSTART
	s_waitcnt lgkmcnt(0) vmcnt(0)
	;;#ASMEND
	s_barrier
.LBB2_6621:                             ;   in Loop: Header=BB2_3107 Depth=2
	s_or_b32 exec_lo, exec_lo, s17
.LBB2_6622:                             ;   in Loop: Header=BB2_3107 Depth=2
	s_or_b32 exec_lo, exec_lo, s16
	v_cmp_ne_u32_e32 vcc_lo, 0, v8
	s_xor_b32 s16, s7, -1
	s_and_b32 s17, vcc_lo, s16
	s_and_saveexec_b32 s16, s17
	s_cbranch_execz .LBB2_6624
; %bb.6623:                             ;   in Loop: Header=BB2_3107 Depth=2
	s_waitcnt vmcnt(0) lgkmcnt(0)
	s_waitcnt_vscnt null, 0x0
	flat_store_dword v[24:25], v96
.LBB2_6624:                             ;   in Loop: Header=BB2_3107 Depth=2
	s_or_b32 exec_lo, exec_lo, s16
	v_and_b32_e32 v8, 48, v81
	s_mov_b32 s16, exec_lo
	v_cmpx_ne_u32_e32 0, v8
	s_cbranch_execz .LBB2_3106
; %bb.6625:                             ;   in Loop: Header=BB2_3107 Depth=2
	v_add_co_u32 v38, vcc_lo, v38, 2
	v_add_co_ci_u32_e64 v39, null, 0, v39, vcc_lo
	s_waitcnt vmcnt(0) lgkmcnt(0)
	s_waitcnt_vscnt null, 0x0
	flat_store_dwordx2 v[20:21], v[38:39]
	s_branch .LBB2_3106
.LBB2_6626:                             ;   in Loop: Header=BB2_47 Depth=1
	s_or_b32 exec_lo, exec_lo, s61
.LBB2_6627:                             ;   in Loop: Header=BB2_47 Depth=1
	s_or_b32 exec_lo, exec_lo, s21
	s_mov_b32 s17, exec_lo
	v_cmpx_gt_i32_e32 2, v10
	s_cbranch_execz .LBB2_6703
; %bb.6628:                             ;   in Loop: Header=BB2_47 Depth=1
	v_cmp_eq_u32_e64 s19, 0, v10
	s_mov_b32 s18, 0
	s_branch .LBB2_6630
.LBB2_6629:                             ;   in Loop: Header=BB2_6630 Depth=2
	s_or_b32 exec_lo, exec_lo, s16
	v_add_nc_u32_e32 v55, v50, v55
	s_mov_b32 s19, 0
	s_andn2_b32 exec_lo, exec_lo, s18
	s_cbranch_execz .LBB2_6702
.LBB2_6630:                             ;   Parent Loop BB2_47 Depth=1
                                        ; =>  This Loop Header: Depth=2
                                        ;       Child Loop BB2_6636 Depth 3
                                        ;       Child Loop BB2_6664 Depth 3
                                        ;       Child Loop BB2_6687 Depth 3
	v_sub_nc_u32_e32 v8, v3, v55
	v_and_b32_e32 v9, 12, v81
	s_mov_b32 s21, exec_lo
	v_min_i32_e32 v50, v50, v8
	v_cmpx_ne_u32_e32 0, v9
	s_cbranch_execz .LBB2_6656
; %bb.6631:                             ;   in Loop: Header=BB2_6630 Depth=2
	v_and_b32_e32 v53, 8, v81
	s_mov_b32 s22, exec_lo
	s_waitcnt vmcnt(0) lgkmcnt(1)
	v_add_co_u32 v10, vcc_lo, v26, v53
	v_add_co_ci_u32_e64 v11, null, 0, v27, vcc_lo
	v_add_co_u32 v8, vcc_lo, v38, 2
	v_add_co_ci_u32_e64 v9, null, 0, v39, vcc_lo
	v_cmpx_lt_u64_e64 v[10:11], v[8:9]
	s_cbranch_execz .LBB2_6643
; %bb.6632:                             ;   in Loop: Header=BB2_6630 Depth=2
	v_and_b32_e32 v10, 64, v81
	s_mov_b32 s23, 0
	s_mov_b32 s72, 0
                                        ; implicit-def: $sgpr61
                                        ; implicit-def: $sgpr62
                                        ; implicit-def: $sgpr63
	v_cmp_eq_u32_e32 vcc_lo, 0, v10
	s_branch .LBB2_6636
.LBB2_6633:                             ;   in Loop: Header=BB2_6636 Depth=3
	s_waitcnt vmcnt(0) lgkmcnt(0)
	v_add_co_u32 v51, s16, v26, v53
	v_add_co_ci_u32_e64 v52, null, 0, v27, s16
	s_or_b32 s75, s75, exec_lo
	v_cmp_ge_u64_e64 s16, v[51:52], v[8:9]
	s_orn2_b32 s74, s16, exec_lo
.LBB2_6634:                             ;   in Loop: Header=BB2_6636 Depth=3
	s_or_b32 exec_lo, exec_lo, s77
	s_andn2_b32 s16, s63, exec_lo
	s_and_b32 s63, s75, exec_lo
	s_andn2_b32 s62, s62, exec_lo
	s_and_b32 s74, s74, exec_lo
	s_or_b32 s63, s16, s63
	s_or_b32 s62, s62, s74
.LBB2_6635:                             ;   in Loop: Header=BB2_6636 Depth=3
	s_or_b32 exec_lo, exec_lo, s73
	s_and_b32 s16, exec_lo, s62
	s_or_b32 s23, s16, s23
	s_andn2_b32 s16, s61, exec_lo
	s_and_b32 s61, s63, exec_lo
	s_or_b32 s61, s16, s61
	s_andn2_b32 exec_lo, exec_lo, s23
	s_cbranch_execz .LBB2_6640
.LBB2_6636:                             ;   Parent Loop BB2_47 Depth=1
                                        ;     Parent Loop BB2_6630 Depth=2
                                        ; =>    This Inner Loop Header: Depth=3
	s_sleep 1
	s_waitcnt vmcnt(0) lgkmcnt(0)
	flat_load_dwordx2 v[26:27], v[20:21] glc dlc
	s_or_b32 s63, s63, exec_lo
	s_or_b32 s62, s62, exec_lo
                                        ; implicit-def: $vgpr10
	s_and_saveexec_b32 s73, vcc_lo
	s_cbranch_execz .LBB2_6635
; %bb.6637:                             ;   in Loop: Header=BB2_6636 Depth=3
	s_cmpk_lt_i32 s72, 0x270f
	s_mov_b32 s74, -1
	s_cselect_b32 s76, -1, 0
	s_cmpk_gt_i32 s72, 0x270e
	s_cbranch_scc0 .LBB2_6639
; %bb.6638:                             ;   in Loop: Header=BB2_6636 Depth=3
	s_trap 2
	ds_read_b64 v[10:11], v0
	s_andn2_b32 s72, s76, exec_lo
	s_mov_b32 s75, 0
	s_waitcnt vmcnt(0) lgkmcnt(0)
	s_waitcnt_vscnt null, 0x0
	flat_load_dword v10, v[10:11] glc dlc
	s_waitcnt vmcnt(0) lgkmcnt(0)
	buffer_gl1_inv
	buffer_gl0_inv
	v_cmp_eq_u32_e64 s16, 0, v10
	s_and_b32 s16, s16, exec_lo
	s_or_b32 s76, s72, s16
	s_mov_b32 s72, 0
	s_and_saveexec_b32 s77, s76
	s_cbranch_execz .LBB2_6634
	s_branch .LBB2_6633
.LBB2_6639:                             ;   in Loop: Header=BB2_6636 Depth=3
	s_add_i32 s72, s72, 1
	s_mov_b32 s75, -1
                                        ; implicit-def: $vgpr10
	s_and_saveexec_b32 s77, s76
	s_cbranch_execz .LBB2_6634
	s_branch .LBB2_6633
.LBB2_6640:                             ;   in Loop: Header=BB2_6630 Depth=2
	s_or_b32 exec_lo, exec_lo, s23
	s_xor_b32 s16, s61, -1
	s_and_saveexec_b32 s23, s16
	s_xor_b32 s16, exec_lo, s23
	s_cbranch_execz .LBB2_6642
; %bb.6641:                             ;   in Loop: Header=BB2_6630 Depth=2
	v_or_b32_e32 v81, 64, v81
	s_waitcnt vmcnt(0) lgkmcnt(0)
	s_waitcnt_vscnt null, 0x0
	ds_write_b32 v0, v10
	s_trap 2
.LBB2_6642:                             ;   in Loop: Header=BB2_6630 Depth=2
	s_or_b32 exec_lo, exec_lo, s16
.LBB2_6643:                             ;   in Loop: Header=BB2_6630 Depth=2
	s_or_b32 exec_lo, exec_lo, s22
	v_and_b32_e32 v10, 0x108, v81
	;;#ASMSTART
	s_wakeup
	;;#ASMEND
	v_cmp_ne_u32_e32 vcc_lo, 0x108, v10
                                        ; implicit-def: $vgpr10_vgpr11
	s_and_saveexec_b32 s16, vcc_lo
	s_xor_b32 s16, exec_lo, s16
; %bb.6644:                             ;   in Loop: Header=BB2_6630 Depth=2
	v_and_b32_e32 v10, 7, v38
	v_mov_b32_e32 v11, v2
                                        ; implicit-def: $vgpr38_vgpr39
; %bb.6645:                             ;   in Loop: Header=BB2_6630 Depth=2
	s_andn2_saveexec_b32 s16, s16
	s_cbranch_execz .LBB2_6647
; %bb.6646:                             ;   in Loop: Header=BB2_6630 Depth=2
	v_and_b32_e32 v10, 7, v38
	v_ashrrev_i32_e32 v51, 31, v50
	v_mov_b32_e32 v11, v2
	v_mad_u64_u32 v[38:39], null, v10, 24, v[6:7]
	flat_store_dwordx2 v[38:39], v[50:51] offset:8
.LBB2_6647:                             ;   in Loop: Header=BB2_6630 Depth=2
	s_or_b32 exec_lo, exec_lo, s16
	v_and_b32_e32 v38, 0x100, v81
	s_mov_b32 s16, -1
	v_cmp_ne_u32_e32 vcc_lo, 0, v38
                                        ; implicit-def: $vgpr38_vgpr39
	s_and_saveexec_b32 s22, vcc_lo
	s_cbranch_execz .LBB2_6651
; %bb.6648:                             ;   in Loop: Header=BB2_6630 Depth=2
	v_mad_u64_u32 v[51:52], null, v10, 24, v[6:7]
	v_mov_b32_e32 v38, v52
	v_mad_u64_u32 v[38:39], null, v11, 24, v[38:39]
	v_mov_b32_e32 v52, v38
	flat_load_dword v38, v[51:52]
	s_waitcnt vmcnt(0) lgkmcnt(0)
	v_cmp_eq_u32_e64 s16, 1, v38
	v_cmp_ne_u32_e32 vcc_lo, 1, v38
                                        ; implicit-def: $vgpr38_vgpr39
	s_and_saveexec_b32 s23, s16
	s_cbranch_execz .LBB2_6650
; %bb.6649:                             ;   in Loop: Header=BB2_6630 Depth=2
	flat_load_dword v38, v[51:52] offset:4 glc dlc
	s_waitcnt vmcnt(0) lgkmcnt(0)
	v_ashrrev_i32_e32 v39, 31, v38
.LBB2_6650:                             ;   in Loop: Header=BB2_6630 Depth=2
	s_or_b32 exec_lo, exec_lo, s23
	s_orn2_b32 s16, vcc_lo, exec_lo
.LBB2_6651:                             ;   in Loop: Header=BB2_6630 Depth=2
	s_or_b32 exec_lo, exec_lo, s22
	s_and_saveexec_b32 s22, s16
; %bb.6652:                             ;   in Loop: Header=BB2_6630 Depth=2
	v_mul_lo_u32 v11, v11, v82
	v_mul_lo_u32 v51, v10, v30
	v_mad_u64_u32 v[38:39], null, v10, v82, 0
	v_add3_u32 v39, v39, v51, v11
; %bb.6653:                             ;   in Loop: Header=BB2_6630 Depth=2
	s_or_b32 exec_lo, exec_lo, s22
	v_cmp_eq_u32_e32 vcc_lo, 0, v53
	v_and_b32_e32 v52, 0x2000, v81
	s_mov_b32 s16, exec_lo
	v_cndmask_b32_e32 v51, 0xd0, v102, vcc_lo
	v_add_co_u32 v10, vcc_lo, v22, v38
	v_add_co_ci_u32_e64 v11, null, v23, v39, vcc_lo
	v_add_nc_u32_e32 v38, v0, v51
	ds_write_b64 v38, v[10:11] offset:584
	v_cmpx_ne_u32_e32 0, v52
	s_cbranch_execz .LBB2_6655
; %bb.6654:                             ;   in Loop: Header=BB2_6630 Depth=2
	ds_read_b64 v[10:11], v0 offset:872
	s_waitcnt lgkmcnt(0)
	v_add_co_u32 v10, vcc_lo, v10, 1
	v_add_co_ci_u32_e64 v11, null, 0, v11, vcc_lo
	ds_write_b64 v0, v[10:11] offset:872
.LBB2_6655:                             ;   in Loop: Header=BB2_6630 Depth=2
	s_or_b32 exec_lo, exec_lo, s16
	v_mov_b32_e32 v39, v9
	v_mov_b32_e32 v38, v8
.LBB2_6656:                             ;   in Loop: Header=BB2_6630 Depth=2
	s_or_b32 exec_lo, exec_lo, s21
	s_xor_b32 s16, s19, -1
	s_and_b32 s16, exec_lo, s16
	s_or_b32 s18, s16, s18
	s_and_saveexec_b32 s16, s6
	s_cbranch_execz .LBB2_6675
; %bb.6657:                             ;   in Loop: Header=BB2_6630 Depth=2
	s_and_saveexec_b32 s19, s29
	s_xor_b32 s19, exec_lo, s19
	s_cbranch_execz .LBB2_6672
; %bb.6658:                             ;   in Loop: Header=BB2_6630 Depth=2
	s_and_saveexec_b32 s21, s11
	s_cbranch_execz .LBB2_6671
; %bb.6659:                             ;   in Loop: Header=BB2_6630 Depth=2
	s_mov_b32 s23, exec_lo
	s_mov_b32 s22, exec_lo
	v_mbcnt_lo_u32_b32 v8, s23, 0
	s_waitcnt vmcnt(0) lgkmcnt(0)
	s_waitcnt_vscnt null, 0x0
	buffer_gl1_inv
	buffer_gl0_inv
	v_cmpx_eq_u32_e32 0, v8
	s_cbranch_execz .LBB2_6661
; %bb.6660:                             ;   in Loop: Header=BB2_6630 Depth=2
	s_bcnt1_i32_b32 s23, s23
	v_mov_b32_e32 v9, v2
	v_mov_b32_e32 v8, s23
	ds_add_u64 v0, v[8:9]
	s_trap 2
.LBB2_6661:                             ;   in Loop: Header=BB2_6630 Depth=2
	s_or_b32 exec_lo, exec_lo, s22
	s_trap 2
	ds_read_b64 v[8:9], v0
	s_waitcnt lgkmcnt(0)
	buffer_gl0_inv
	v_add_co_u32 v12, vcc_lo, v12, v83
	v_add_co_ci_u32_e64 v13, null, 0, v13, vcc_lo
	s_mov_b32 s22, exec_lo
	v_cmpx_lt_u64_e64 v[8:9], v[12:13]
	s_cbranch_execz .LBB2_6670
; %bb.6662:                             ;   in Loop: Header=BB2_6630 Depth=2
	s_mov_b32 s23, 0
	s_mov_b32 s63, 0
                                        ; implicit-def: $sgpr61
                                        ; implicit-def: $sgpr62
	s_inst_prefetch 0x1
	s_branch .LBB2_6664
	.p2align	6
.LBB2_6663:                             ;   in Loop: Header=BB2_6664 Depth=3
	s_or_b32 exec_lo, exec_lo, s73
	s_and_b32 s72, exec_lo, s74
	s_or_b32 s23, s72, s23
	s_andn2_b32 s61, s61, exec_lo
	s_and_b32 s72, s62, exec_lo
	s_or_b32 s61, s61, s72
	s_andn2_b32 exec_lo, exec_lo, s23
	s_cbranch_execz .LBB2_6668
.LBB2_6664:                             ;   Parent Loop BB2_47 Depth=1
                                        ;     Parent Loop BB2_6630 Depth=2
                                        ; =>    This Inner Loop Header: Depth=3
	s_add_i32 s63, s63, 1
	s_cmpk_lg_i32 s63, 0x2710
	s_cselect_b32 s72, -1, 0
	s_and_b32 vcc_lo, exec_lo, s72
	s_cbranch_vccz .LBB2_6666
; %bb.6665:                             ;   in Loop: Header=BB2_6664 Depth=3
	s_mov_b32 s74, -1
	s_or_b32 s62, s62, exec_lo
	s_and_saveexec_b32 s73, s72
	s_cbranch_execz .LBB2_6663
	s_branch .LBB2_6667
	.p2align	6
.LBB2_6666:                             ;   in Loop: Header=BB2_6664 Depth=3
	s_trap 2
	ds_read_b64 v[8:9], v0
	s_andn2_b32 s72, s72, exec_lo
	s_mov_b32 s63, 0
	s_waitcnt lgkmcnt(0)
	flat_load_dword v8, v[8:9] glc dlc
	s_waitcnt vmcnt(0) lgkmcnt(0)
	buffer_gl1_inv
	buffer_gl0_inv
	v_cmp_eq_u32_e32 vcc_lo, 0, v8
	s_and_b32 s73, vcc_lo, exec_lo
	s_or_b32 s72, s72, s73
	s_mov_b32 s74, -1
	s_or_b32 s62, s62, exec_lo
	s_and_saveexec_b32 s73, s72
	s_cbranch_execz .LBB2_6663
.LBB2_6667:                             ;   in Loop: Header=BB2_6664 Depth=3
	s_sleep 1
	s_trap 2
	ds_read_b64 v[8:9], v0
	s_waitcnt lgkmcnt(0)
	buffer_gl0_inv
	s_andn2_b32 s62, s62, exec_lo
	v_cmp_ge_u64_e32 vcc_lo, v[8:9], v[12:13]
	s_orn2_b32 s74, vcc_lo, exec_lo
	s_branch .LBB2_6663
.LBB2_6668:                             ;   in Loop: Header=BB2_6630 Depth=2
	s_inst_prefetch 0x2
	s_or_b32 exec_lo, exec_lo, s23
	s_and_saveexec_b32 s23, s61
	s_xor_b32 s23, exec_lo, s23
	s_cbranch_execz .LBB2_6670
; %bb.6669:                             ;   in Loop: Header=BB2_6630 Depth=2
	ds_write_b32 v0, v96
	s_trap 2
.LBB2_6670:                             ;   in Loop: Header=BB2_6630 Depth=2
	s_or_b32 exec_lo, exec_lo, s22
	;;#ASMSTART
	s_wakeup
	;;#ASMEND
.LBB2_6671:                             ;   in Loop: Header=BB2_6630 Depth=2
	s_or_b32 exec_lo, exec_lo, s21
.LBB2_6672:                             ;   in Loop: Header=BB2_6630 Depth=2
	s_andn2_saveexec_b32 s19, s19
	s_cbranch_execz .LBB2_6674
; %bb.6673:                             ;   in Loop: Header=BB2_6630 Depth=2
	s_waitcnt vmcnt(0) lgkmcnt(0)
	s_waitcnt_vscnt null, 0x0
	buffer_gl1_inv
	buffer_gl0_inv
	s_barrier
.LBB2_6674:                             ;   in Loop: Header=BB2_6630 Depth=2
	s_or_b32 exec_lo, exec_lo, s19
.LBB2_6675:                             ;   in Loop: Header=BB2_6630 Depth=2
	s_or_b32 exec_lo, exec_lo, s16
	v_and_b32_e32 v8, 16, v81
	s_and_saveexec_b32 s16, s15
	s_xor_b32 s19, exec_lo, s16
	s_cbranch_execz .LBB2_6679
; %bb.6676:                             ;   in Loop: Header=BB2_6630 Depth=2
	s_trap 2
	ds_read_b32 v8, v0
	v_cmp_lt_i32_e32 vcc_lo, 0, v50
	s_waitcnt lgkmcnt(0)
	v_readfirstlane_b32 s16, v8
	v_and_b32_e32 v8, 16, v81
	s_cmp_eq_u32 s16, 0
	v_cmp_ne_u32_e64 s16, 0, v8
	s_cselect_b32 s21, -1, 0
	v_and_b32_e32 v8, 16, v81
	s_and_b32 s21, vcc_lo, s21
	s_and_b32 s21, s16, s21
	s_and_saveexec_b32 s16, s21
	s_cbranch_execz .LBB2_6678
; %bb.6677:                             ;   in Loop: Header=BB2_6630 Depth=2
	v_mov_b32_e32 v8, 1
	s_waitcnt vmcnt(0)
	s_waitcnt_vscnt null, 0x0
	buffer_gl1_inv
	buffer_gl0_inv
.LBB2_6678:                             ;   in Loop: Header=BB2_6630 Depth=2
	s_or_b32 exec_lo, exec_lo, s16
.LBB2_6679:                             ;   in Loop: Header=BB2_6630 Depth=2
	s_andn2_saveexec_b32 s16, s19
	s_cbranch_execz .LBB2_6698
; %bb.6680:                             ;   in Loop: Header=BB2_6630 Depth=2
	s_and_saveexec_b32 s19, s29
	s_xor_b32 s19, exec_lo, s19
	s_cbranch_execz .LBB2_6695
; %bb.6681:                             ;   in Loop: Header=BB2_6630 Depth=2
	s_and_saveexec_b32 s21, s11
	s_cbranch_execz .LBB2_6694
; %bb.6682:                             ;   in Loop: Header=BB2_6630 Depth=2
	s_mov_b32 s23, exec_lo
	s_mov_b32 s22, exec_lo
	v_mbcnt_lo_u32_b32 v9, s23, 0
	;;#ASMSTART
	s_waitcnt lgkmcnt(0) vmcnt(0)
	;;#ASMEND
	v_cmpx_eq_u32_e32 0, v9
	s_cbranch_execz .LBB2_6684
; %bb.6683:                             ;   in Loop: Header=BB2_6630 Depth=2
	s_bcnt1_i32_b32 s23, s23
	v_mov_b32_e32 v10, v2
	v_mov_b32_e32 v9, s23
	s_waitcnt vmcnt(0) lgkmcnt(0)
	s_waitcnt_vscnt null, 0x0
	ds_add_u64 v0, v[9:10]
	s_trap 2
.LBB2_6684:                             ;   in Loop: Header=BB2_6630 Depth=2
	s_or_b32 exec_lo, exec_lo, s22
	s_trap 2
	ds_read_b64 v[9:10], v0
	s_waitcnt vmcnt(0) lgkmcnt(0)
	buffer_gl0_inv
	v_add_co_u32 v12, vcc_lo, v12, v83
	v_add_co_ci_u32_e64 v13, null, 0, v13, vcc_lo
	s_mov_b32 s22, exec_lo
	v_cmpx_lt_u64_e64 v[9:10], v[12:13]
	s_cbranch_execz .LBB2_6693
; %bb.6685:                             ;   in Loop: Header=BB2_6630 Depth=2
	s_mov_b32 s23, 0
	s_mov_b32 s63, 0
                                        ; implicit-def: $sgpr61
                                        ; implicit-def: $sgpr62
	s_inst_prefetch 0x1
	s_branch .LBB2_6687
	.p2align	6
.LBB2_6686:                             ;   in Loop: Header=BB2_6687 Depth=3
	s_or_b32 exec_lo, exec_lo, s73
	s_and_b32 s72, exec_lo, s74
	s_or_b32 s23, s72, s23
	s_andn2_b32 s61, s61, exec_lo
	s_and_b32 s72, s62, exec_lo
	s_or_b32 s61, s61, s72
	s_andn2_b32 exec_lo, exec_lo, s23
	s_cbranch_execz .LBB2_6691
.LBB2_6687:                             ;   Parent Loop BB2_47 Depth=1
                                        ;     Parent Loop BB2_6630 Depth=2
                                        ; =>    This Inner Loop Header: Depth=3
	s_add_i32 s63, s63, 1
	s_cmpk_lg_i32 s63, 0x2710
	s_cselect_b32 s72, -1, 0
	s_and_b32 vcc_lo, exec_lo, s72
	s_cbranch_vccz .LBB2_6689
; %bb.6688:                             ;   in Loop: Header=BB2_6687 Depth=3
	s_mov_b32 s74, -1
	s_or_b32 s62, s62, exec_lo
	s_and_saveexec_b32 s73, s72
	s_cbranch_execz .LBB2_6686
	s_branch .LBB2_6690
	.p2align	6
.LBB2_6689:                             ;   in Loop: Header=BB2_6687 Depth=3
	s_trap 2
	ds_read_b64 v[9:10], v0
	s_andn2_b32 s72, s72, exec_lo
	s_mov_b32 s63, 0
	s_waitcnt lgkmcnt(0)
	s_waitcnt_vscnt null, 0x0
	flat_load_dword v9, v[9:10] glc dlc
	s_waitcnt vmcnt(0) lgkmcnt(0)
	buffer_gl1_inv
	buffer_gl0_inv
	v_cmp_eq_u32_e32 vcc_lo, 0, v9
	s_and_b32 s73, vcc_lo, exec_lo
	s_or_b32 s72, s72, s73
	s_mov_b32 s74, -1
	s_or_b32 s62, s62, exec_lo
	s_and_saveexec_b32 s73, s72
	s_cbranch_execz .LBB2_6686
.LBB2_6690:                             ;   in Loop: Header=BB2_6687 Depth=3
	s_sleep 1
	s_trap 2
	ds_read_b64 v[9:10], v0
	s_waitcnt lgkmcnt(0)
	buffer_gl0_inv
	s_andn2_b32 s62, s62, exec_lo
	v_cmp_ge_u64_e32 vcc_lo, v[9:10], v[12:13]
	s_orn2_b32 s74, vcc_lo, exec_lo
	s_branch .LBB2_6686
.LBB2_6691:                             ;   in Loop: Header=BB2_6630 Depth=2
	s_inst_prefetch 0x2
	s_or_b32 exec_lo, exec_lo, s23
	s_and_saveexec_b32 s23, s61
	s_xor_b32 s23, exec_lo, s23
	s_cbranch_execz .LBB2_6693
; %bb.6692:                             ;   in Loop: Header=BB2_6630 Depth=2
	ds_write_b32 v0, v96
	s_trap 2
.LBB2_6693:                             ;   in Loop: Header=BB2_6630 Depth=2
	s_or_b32 exec_lo, exec_lo, s22
	;;#ASMSTART
	s_wakeup
	;;#ASMEND
.LBB2_6694:                             ;   in Loop: Header=BB2_6630 Depth=2
	s_or_b32 exec_lo, exec_lo, s21
.LBB2_6695:                             ;   in Loop: Header=BB2_6630 Depth=2
	s_andn2_saveexec_b32 s19, s19
	s_cbranch_execz .LBB2_6697
; %bb.6696:                             ;   in Loop: Header=BB2_6630 Depth=2
	;;#ASMSTART
	s_waitcnt lgkmcnt(0) vmcnt(0)
	;;#ASMEND
	s_barrier
.LBB2_6697:                             ;   in Loop: Header=BB2_6630 Depth=2
	s_or_b32 exec_lo, exec_lo, s19
.LBB2_6698:                             ;   in Loop: Header=BB2_6630 Depth=2
	s_or_b32 exec_lo, exec_lo, s16
	v_cmp_ne_u32_e32 vcc_lo, 0, v8
	s_xor_b32 s16, s7, -1
	s_and_b32 s19, vcc_lo, s16
	s_and_saveexec_b32 s16, s19
	s_cbranch_execz .LBB2_6700
; %bb.6699:                             ;   in Loop: Header=BB2_6630 Depth=2
	s_waitcnt vmcnt(0) lgkmcnt(0)
	s_waitcnt_vscnt null, 0x0
	flat_store_dword v[24:25], v96
.LBB2_6700:                             ;   in Loop: Header=BB2_6630 Depth=2
	s_or_b32 exec_lo, exec_lo, s16
	v_and_b32_e32 v8, 48, v81
	s_mov_b32 s16, exec_lo
	v_cmpx_ne_u32_e32 0, v8
	s_cbranch_execz .LBB2_6629
; %bb.6701:                             ;   in Loop: Header=BB2_6630 Depth=2
	v_add_co_u32 v38, vcc_lo, v38, 2
	v_add_co_ci_u32_e64 v39, null, 0, v39, vcc_lo
	s_waitcnt vmcnt(0) lgkmcnt(0)
	s_waitcnt_vscnt null, 0x0
	flat_store_dwordx2 v[20:21], v[38:39]
	s_branch .LBB2_6629
.LBB2_6702:                             ;   in Loop: Header=BB2_47 Depth=1
	s_or_b32 exec_lo, exec_lo, s18
.LBB2_6703:                             ;   in Loop: Header=BB2_47 Depth=1
	s_or_b32 exec_lo, exec_lo, s17
	s_andn2_b32 vcc_lo, exec_lo, s46
	s_cbranch_vccnz .LBB2_6962
; %bb.6704:                             ;   in Loop: Header=BB2_47 Depth=1
	s_mov_b32 s21, 1
.LBB2_6705:                             ;   Parent Loop BB2_47 Depth=1
                                        ; =>  This Loop Header: Depth=2
                                        ;       Child Loop BB2_6708 Depth 3
                                        ;         Child Loop BB2_6716 Depth 4
                                        ;         Child Loop BB2_6744 Depth 4
	;; [unrolled: 1-line block ×4, first 2 shown]
                                        ;           Child Loop BB2_6787 Depth 5
                                        ;         Child Loop BB2_6793 Depth 4
                                        ;           Child Loop BB2_6794 Depth 5
                                        ;         Child Loop BB2_6801 Depth 4
                                        ;         Child Loop BB2_6806 Depth 4
                                        ;           Child Loop BB2_6807 Depth 5
                                        ;         Child Loop BB2_6819 Depth 4
                                        ;         Child Loop BB2_6824 Depth 4
	;; [unrolled: 1-line block ×6, first 2 shown]
                                        ;       Child Loop BB2_6887 Depth 3
                                        ;         Child Loop BB2_6893 Depth 4
                                        ;         Child Loop BB2_6921 Depth 4
	;; [unrolled: 1-line block ×3, first 2 shown]
	s_sub_i32 s16, s42, s21
	v_mov_b32_e32 v55, 0
	s_cmp_ge_i32 s16, s25
	s_mov_b32 s62, 0
	s_cselect_b32 s17, s25, 0
	s_sub_i32 s16, s16, s17
	s_ashr_i32 s17, s16, 31
	v_mul_lo_u32 v3, v37, s16
	v_mad_u64_u32 v[8:9], null, v36, s16, 0
	v_mul_lo_u32 v10, v36, s17
	v_add3_u32 v9, v9, v10, v3
	v_sub_co_u32 v10, vcc_lo, v48, v8
	v_sub_co_ci_u32_e64 v11, null, v49, v9, vcc_lo
	v_cmp_lt_i64_e32 vcc_lo, v[36:37], v[10:11]
	v_cndmask_b32_e32 v11, v10, v36, vcc_lo
	v_max_i32_e32 v3, 0, v11
	v_cmp_lt_i32_e32 vcc_lo, 0, v11
	v_add_nc_u32_e32 v10, 31, v3
	s_and_b32 s16, s57, vcc_lo
	v_lshrrev_b32_e32 v10, 1, v10
	v_and_b32_e32 v50, 0x3ffffff0, v10
	v_mov_b32_e32 v10, 0
	v_max_i32_e32 v50, s45, v50
	s_and_saveexec_b32 s61, s16
	s_cbranch_execz .LBB2_6884
; %bb.6706:                             ;   in Loop: Header=BB2_6705 Depth=2
	v_add_co_u32 v68, vcc_lo, v8, v44
	v_add_co_ci_u32_e64 v69, null, v9, v45, vcc_lo
	v_mov_b32_e32 v55, 0
	s_mov_b32 s72, 1
	s_mov_b32 s63, -1
	s_branch .LBB2_6708
.LBB2_6707:                             ;   in Loop: Header=BB2_6708 Depth=3
	s_or_b32 exec_lo, exec_lo, s16
	v_add_nc_u32_e32 v55, v50, v55
	s_xor_b32 s16, s63, -1
	v_mov_b32_e32 v10, s72
	s_mov_b32 s63, 0
	s_mov_b32 s72, 2
	v_cmp_ge_i32_e32 vcc_lo, v55, v3
	s_or_b32 s16, s16, vcc_lo
	s_and_b32 s16, exec_lo, s16
	s_or_b32 s62, s16, s62
	s_andn2_b32 exec_lo, exec_lo, s62
	s_cbranch_execz .LBB2_6883
.LBB2_6708:                             ;   Parent Loop BB2_47 Depth=1
                                        ;     Parent Loop BB2_6705 Depth=2
                                        ; =>    This Loop Header: Depth=3
                                        ;         Child Loop BB2_6716 Depth 4
                                        ;         Child Loop BB2_6744 Depth 4
	;; [unrolled: 1-line block ×4, first 2 shown]
                                        ;           Child Loop BB2_6787 Depth 5
                                        ;         Child Loop BB2_6793 Depth 4
                                        ;           Child Loop BB2_6794 Depth 5
                                        ;         Child Loop BB2_6801 Depth 4
                                        ;         Child Loop BB2_6806 Depth 4
                                        ;           Child Loop BB2_6807 Depth 5
                                        ;         Child Loop BB2_6819 Depth 4
                                        ;         Child Loop BB2_6824 Depth 4
	;; [unrolled: 1-line block ×6, first 2 shown]
	s_and_saveexec_b32 s17, s4
	s_cbranch_execz .LBB2_6710
; %bb.6709:                             ;   in Loop: Header=BB2_6708 Depth=3
	s_trap 2
	ds_read_b128 v[8:11], v0
	v_ashrrev_i32_e32 v51, 31, v55
	s_waitcnt lgkmcnt(0)
	v_add_co_u32 v52, vcc_lo, v10, v68
	v_add_co_ci_u32_e64 v53, null, v11, v69, vcc_lo
	v_add_co_u32 v8, vcc_lo, v8, v68
	v_add_co_ci_u32_e64 v9, null, v9, v69, vcc_lo
	;; [unrolled: 2-line block ×3, first 2 shown]
	v_cmp_ne_u64_e32 vcc_lo, 0, v[10:11]
	v_add_co_u32 v8, s16, v8, v55
	v_add_co_ci_u32_e64 v9, null, v9, v51, s16
	v_cndmask_b32_e32 v11, 0, v53, vcc_lo
	v_cndmask_b32_e32 v10, 0, v52, vcc_lo
	ds_write_b64 v0, v[8:9]
	ds_write_b64 v0, v[10:11]
.LBB2_6710:                             ;   in Loop: Header=BB2_6708 Depth=3
	s_or_b32 exec_lo, exec_lo, s17
	v_sub_nc_u32_e32 v8, v3, v55
	v_and_b32_e32 v9, 12, v81
	s_mov_b32 s17, exec_lo
	v_min_i32_e32 v50, v50, v8
	v_cmpx_ne_u32_e32 0, v9
	s_cbranch_execz .LBB2_6736
; %bb.6711:                             ;   in Loop: Header=BB2_6708 Depth=3
	v_and_b32_e32 v53, 8, v81
	s_mov_b32 s18, exec_lo
	s_waitcnt vmcnt(0) lgkmcnt(1)
	v_add_co_u32 v10, vcc_lo, v26, v53
	v_add_co_ci_u32_e64 v11, null, 0, v27, vcc_lo
	v_add_co_u32 v8, vcc_lo, v38, 2
	v_add_co_ci_u32_e64 v9, null, 0, v39, vcc_lo
	v_cmpx_lt_u64_e64 v[10:11], v[8:9]
	s_cbranch_execz .LBB2_6723
; %bb.6712:                             ;   in Loop: Header=BB2_6708 Depth=3
	v_and_b32_e32 v10, 64, v81
	s_mov_b32 s19, 0
	s_mov_b32 s74, 0
                                        ; implicit-def: $sgpr22
                                        ; implicit-def: $sgpr23
                                        ; implicit-def: $sgpr73
	v_cmp_eq_u32_e32 vcc_lo, 0, v10
	s_branch .LBB2_6716
.LBB2_6713:                             ;   in Loop: Header=BB2_6716 Depth=4
	s_waitcnt vmcnt(0) lgkmcnt(0)
	v_add_co_u32 v51, s16, v26, v53
	v_add_co_ci_u32_e64 v52, null, 0, v27, s16
	s_or_b32 s77, s77, exec_lo
	v_cmp_ge_u64_e64 s16, v[51:52], v[8:9]
	s_orn2_b32 s76, s16, exec_lo
.LBB2_6714:                             ;   in Loop: Header=BB2_6716 Depth=4
	s_or_b32 exec_lo, exec_lo, s79
	s_andn2_b32 s16, s73, exec_lo
	s_and_b32 s73, s77, exec_lo
	s_andn2_b32 s23, s23, exec_lo
	s_and_b32 s76, s76, exec_lo
	s_or_b32 s73, s16, s73
	s_or_b32 s23, s23, s76
.LBB2_6715:                             ;   in Loop: Header=BB2_6716 Depth=4
	s_or_b32 exec_lo, exec_lo, s75
	s_and_b32 s16, exec_lo, s23
	s_or_b32 s19, s16, s19
	s_andn2_b32 s16, s22, exec_lo
	s_and_b32 s22, s73, exec_lo
	s_or_b32 s22, s16, s22
	s_andn2_b32 exec_lo, exec_lo, s19
	s_cbranch_execz .LBB2_6720
.LBB2_6716:                             ;   Parent Loop BB2_47 Depth=1
                                        ;     Parent Loop BB2_6705 Depth=2
                                        ;       Parent Loop BB2_6708 Depth=3
                                        ; =>      This Inner Loop Header: Depth=4
	s_sleep 1
	s_waitcnt vmcnt(0) lgkmcnt(0)
	flat_load_dwordx2 v[26:27], v[20:21] glc dlc
	s_or_b32 s73, s73, exec_lo
	s_or_b32 s23, s23, exec_lo
                                        ; implicit-def: $vgpr10
	s_and_saveexec_b32 s75, vcc_lo
	s_cbranch_execz .LBB2_6715
; %bb.6717:                             ;   in Loop: Header=BB2_6716 Depth=4
	s_cmpk_lt_i32 s74, 0x270f
	s_mov_b32 s76, -1
	s_cselect_b32 s78, -1, 0
	s_cmpk_gt_i32 s74, 0x270e
	s_cbranch_scc0 .LBB2_6719
; %bb.6718:                             ;   in Loop: Header=BB2_6716 Depth=4
	s_trap 2
	ds_read_b64 v[10:11], v0
	s_andn2_b32 s74, s78, exec_lo
	s_mov_b32 s77, 0
	s_waitcnt vmcnt(0) lgkmcnt(0)
	s_waitcnt_vscnt null, 0x0
	flat_load_dword v10, v[10:11] glc dlc
	s_waitcnt vmcnt(0) lgkmcnt(0)
	buffer_gl1_inv
	buffer_gl0_inv
	v_cmp_eq_u32_e64 s16, 0, v10
	s_and_b32 s16, s16, exec_lo
	s_or_b32 s78, s74, s16
	s_mov_b32 s74, 0
	s_and_saveexec_b32 s79, s78
	s_cbranch_execz .LBB2_6714
	s_branch .LBB2_6713
.LBB2_6719:                             ;   in Loop: Header=BB2_6716 Depth=4
	s_add_i32 s74, s74, 1
	s_mov_b32 s77, -1
                                        ; implicit-def: $vgpr10
	s_and_saveexec_b32 s79, s78
	s_cbranch_execz .LBB2_6714
	s_branch .LBB2_6713
.LBB2_6720:                             ;   in Loop: Header=BB2_6708 Depth=3
	s_or_b32 exec_lo, exec_lo, s19
	s_xor_b32 s16, s22, -1
	s_and_saveexec_b32 s19, s16
	s_xor_b32 s16, exec_lo, s19
	s_cbranch_execz .LBB2_6722
; %bb.6721:                             ;   in Loop: Header=BB2_6708 Depth=3
	v_or_b32_e32 v81, 64, v81
	s_waitcnt vmcnt(0) lgkmcnt(0)
	s_waitcnt_vscnt null, 0x0
	ds_write_b32 v0, v10
	s_trap 2
.LBB2_6722:                             ;   in Loop: Header=BB2_6708 Depth=3
	s_or_b32 exec_lo, exec_lo, s16
.LBB2_6723:                             ;   in Loop: Header=BB2_6708 Depth=3
	s_or_b32 exec_lo, exec_lo, s18
	v_and_b32_e32 v10, 0x108, v81
	;;#ASMSTART
	s_wakeup
	;;#ASMEND
	v_cmp_ne_u32_e32 vcc_lo, 0x108, v10
                                        ; implicit-def: $vgpr10_vgpr11
	s_and_saveexec_b32 s16, vcc_lo
	s_xor_b32 s16, exec_lo, s16
; %bb.6724:                             ;   in Loop: Header=BB2_6708 Depth=3
	v_and_b32_e32 v10, 7, v38
	v_mov_b32_e32 v11, v2
                                        ; implicit-def: $vgpr38_vgpr39
; %bb.6725:                             ;   in Loop: Header=BB2_6708 Depth=3
	s_andn2_saveexec_b32 s16, s16
	s_cbranch_execz .LBB2_6727
; %bb.6726:                             ;   in Loop: Header=BB2_6708 Depth=3
	v_and_b32_e32 v10, 7, v38
	v_ashrrev_i32_e32 v51, 31, v50
	v_mov_b32_e32 v11, v2
	v_mad_u64_u32 v[38:39], null, v10, 24, v[6:7]
	flat_store_dwordx2 v[38:39], v[50:51] offset:8
.LBB2_6727:                             ;   in Loop: Header=BB2_6708 Depth=3
	s_or_b32 exec_lo, exec_lo, s16
	v_and_b32_e32 v38, 0x100, v81
	s_mov_b32 s16, -1
	v_cmp_ne_u32_e32 vcc_lo, 0, v38
                                        ; implicit-def: $vgpr38_vgpr39
	s_and_saveexec_b32 s18, vcc_lo
	s_cbranch_execz .LBB2_6731
; %bb.6728:                             ;   in Loop: Header=BB2_6708 Depth=3
	v_mad_u64_u32 v[51:52], null, v10, 24, v[6:7]
	v_mov_b32_e32 v38, v52
	v_mad_u64_u32 v[38:39], null, v11, 24, v[38:39]
	v_mov_b32_e32 v52, v38
	flat_load_dword v38, v[51:52]
	s_waitcnt vmcnt(0) lgkmcnt(0)
	v_cmp_eq_u32_e64 s16, 1, v38
	v_cmp_ne_u32_e32 vcc_lo, 1, v38
                                        ; implicit-def: $vgpr38_vgpr39
	s_and_saveexec_b32 s19, s16
	s_cbranch_execz .LBB2_6730
; %bb.6729:                             ;   in Loop: Header=BB2_6708 Depth=3
	flat_load_dword v38, v[51:52] offset:4 glc dlc
	s_waitcnt vmcnt(0) lgkmcnt(0)
	v_ashrrev_i32_e32 v39, 31, v38
.LBB2_6730:                             ;   in Loop: Header=BB2_6708 Depth=3
	s_or_b32 exec_lo, exec_lo, s19
	s_orn2_b32 s16, vcc_lo, exec_lo
.LBB2_6731:                             ;   in Loop: Header=BB2_6708 Depth=3
	s_or_b32 exec_lo, exec_lo, s18
	s_and_saveexec_b32 s18, s16
; %bb.6732:                             ;   in Loop: Header=BB2_6708 Depth=3
	v_mul_lo_u32 v11, v11, v82
	v_mul_lo_u32 v51, v10, v30
	v_mad_u64_u32 v[38:39], null, v10, v82, 0
	v_add3_u32 v39, v39, v51, v11
; %bb.6733:                             ;   in Loop: Header=BB2_6708 Depth=3
	s_or_b32 exec_lo, exec_lo, s18
	v_cmp_eq_u32_e32 vcc_lo, 0, v53
	v_and_b32_e32 v52, 0x2000, v81
	s_mov_b32 s16, exec_lo
	v_cndmask_b32_e32 v51, 0xd0, v112, vcc_lo
	v_add_co_u32 v10, vcc_lo, v22, v38
	v_add_co_ci_u32_e64 v11, null, v23, v39, vcc_lo
	v_add_nc_u32_e32 v38, v0, v51
	ds_write_b64 v38, v[10:11] offset:584
	v_cmpx_ne_u32_e32 0, v52
	s_cbranch_execz .LBB2_6735
; %bb.6734:                             ;   in Loop: Header=BB2_6708 Depth=3
	ds_read_b64 v[10:11], v0 offset:872
	s_waitcnt lgkmcnt(0)
	v_add_co_u32 v10, vcc_lo, v10, 1
	v_add_co_ci_u32_e64 v11, null, 0, v11, vcc_lo
	ds_write_b64 v0, v[10:11] offset:872
.LBB2_6735:                             ;   in Loop: Header=BB2_6708 Depth=3
	s_or_b32 exec_lo, exec_lo, s16
	v_mov_b32_e32 v39, v9
	v_mov_b32_e32 v38, v8
.LBB2_6736:                             ;   in Loop: Header=BB2_6708 Depth=3
	s_or_b32 exec_lo, exec_lo, s17
	s_and_saveexec_b32 s16, s6
	s_cbranch_execz .LBB2_6755
; %bb.6737:                             ;   in Loop: Header=BB2_6708 Depth=3
	s_and_saveexec_b32 s17, s29
	s_xor_b32 s17, exec_lo, s17
	s_cbranch_execz .LBB2_6752
; %bb.6738:                             ;   in Loop: Header=BB2_6708 Depth=3
	s_and_saveexec_b32 s18, s11
	s_cbranch_execz .LBB2_6751
; %bb.6739:                             ;   in Loop: Header=BB2_6708 Depth=3
	s_mov_b32 s22, exec_lo
	s_mov_b32 s19, exec_lo
	v_mbcnt_lo_u32_b32 v8, s22, 0
	s_waitcnt vmcnt(0) lgkmcnt(0)
	s_waitcnt_vscnt null, 0x0
	buffer_gl1_inv
	buffer_gl0_inv
	v_cmpx_eq_u32_e32 0, v8
	s_cbranch_execz .LBB2_6741
; %bb.6740:                             ;   in Loop: Header=BB2_6708 Depth=3
	s_bcnt1_i32_b32 s22, s22
	v_mov_b32_e32 v9, v2
	v_mov_b32_e32 v8, s22
	ds_add_u64 v0, v[8:9]
	s_trap 2
.LBB2_6741:                             ;   in Loop: Header=BB2_6708 Depth=3
	s_or_b32 exec_lo, exec_lo, s19
	s_trap 2
	ds_read_b64 v[8:9], v0
	s_waitcnt lgkmcnt(0)
	buffer_gl0_inv
	v_add_co_u32 v12, vcc_lo, v12, v83
	v_add_co_ci_u32_e64 v13, null, 0, v13, vcc_lo
	s_mov_b32 s19, exec_lo
	v_cmpx_lt_u64_e64 v[8:9], v[12:13]
	s_cbranch_execz .LBB2_6750
; %bb.6742:                             ;   in Loop: Header=BB2_6708 Depth=3
	s_mov_b32 s22, 0
	s_mov_b32 s74, 0
                                        ; implicit-def: $sgpr23
                                        ; implicit-def: $sgpr73
	s_inst_prefetch 0x1
	s_branch .LBB2_6744
	.p2align	6
.LBB2_6743:                             ;   in Loop: Header=BB2_6744 Depth=4
	s_or_b32 exec_lo, exec_lo, s76
	s_and_b32 s75, exec_lo, s77
	s_or_b32 s22, s75, s22
	s_andn2_b32 s23, s23, exec_lo
	s_and_b32 s75, s73, exec_lo
	s_or_b32 s23, s23, s75
	s_andn2_b32 exec_lo, exec_lo, s22
	s_cbranch_execz .LBB2_6748
.LBB2_6744:                             ;   Parent Loop BB2_47 Depth=1
                                        ;     Parent Loop BB2_6705 Depth=2
                                        ;       Parent Loop BB2_6708 Depth=3
                                        ; =>      This Inner Loop Header: Depth=4
	s_add_i32 s74, s74, 1
	s_cmpk_lg_i32 s74, 0x2710
	s_cselect_b32 s75, -1, 0
	s_and_b32 vcc_lo, exec_lo, s75
	s_cbranch_vccz .LBB2_6746
; %bb.6745:                             ;   in Loop: Header=BB2_6744 Depth=4
	s_mov_b32 s77, -1
	s_or_b32 s73, s73, exec_lo
	s_and_saveexec_b32 s76, s75
	s_cbranch_execz .LBB2_6743
	s_branch .LBB2_6747
	.p2align	6
.LBB2_6746:                             ;   in Loop: Header=BB2_6744 Depth=4
	s_trap 2
	ds_read_b64 v[8:9], v0
	s_andn2_b32 s75, s75, exec_lo
	s_mov_b32 s74, 0
	s_waitcnt lgkmcnt(0)
	flat_load_dword v8, v[8:9] glc dlc
	s_waitcnt vmcnt(0) lgkmcnt(0)
	buffer_gl1_inv
	buffer_gl0_inv
	v_cmp_eq_u32_e32 vcc_lo, 0, v8
	s_and_b32 s76, vcc_lo, exec_lo
	s_or_b32 s75, s75, s76
	s_mov_b32 s77, -1
	s_or_b32 s73, s73, exec_lo
	s_and_saveexec_b32 s76, s75
	s_cbranch_execz .LBB2_6743
.LBB2_6747:                             ;   in Loop: Header=BB2_6744 Depth=4
	s_sleep 1
	s_trap 2
	ds_read_b64 v[8:9], v0
	s_waitcnt lgkmcnt(0)
	buffer_gl0_inv
	s_andn2_b32 s73, s73, exec_lo
	v_cmp_ge_u64_e32 vcc_lo, v[8:9], v[12:13]
	s_orn2_b32 s77, vcc_lo, exec_lo
	s_branch .LBB2_6743
.LBB2_6748:                             ;   in Loop: Header=BB2_6708 Depth=3
	s_inst_prefetch 0x2
	s_or_b32 exec_lo, exec_lo, s22
	s_and_saveexec_b32 s22, s23
	s_xor_b32 s22, exec_lo, s22
	s_cbranch_execz .LBB2_6750
; %bb.6749:                             ;   in Loop: Header=BB2_6708 Depth=3
	ds_write_b32 v0, v96
	s_trap 2
.LBB2_6750:                             ;   in Loop: Header=BB2_6708 Depth=3
	s_or_b32 exec_lo, exec_lo, s19
	;;#ASMSTART
	s_wakeup
	;;#ASMEND
.LBB2_6751:                             ;   in Loop: Header=BB2_6708 Depth=3
	s_or_b32 exec_lo, exec_lo, s18
.LBB2_6752:                             ;   in Loop: Header=BB2_6708 Depth=3
	s_andn2_saveexec_b32 s17, s17
	s_cbranch_execz .LBB2_6754
; %bb.6753:                             ;   in Loop: Header=BB2_6708 Depth=3
	s_waitcnt vmcnt(0) lgkmcnt(0)
	s_waitcnt_vscnt null, 0x0
	buffer_gl1_inv
	buffer_gl0_inv
	s_barrier
.LBB2_6754:                             ;   in Loop: Header=BB2_6708 Depth=3
	s_or_b32 exec_lo, exec_lo, s17
.LBB2_6755:                             ;   in Loop: Header=BB2_6708 Depth=3
	s_or_b32 exec_lo, exec_lo, s16
	s_trap 2
	ds_read_b32 v8, v0
	v_and_b32_e32 v9, 0x4000, v81
	s_xor_b32 s16, s5, -1
	v_cmp_ne_u32_e32 vcc_lo, 0, v9
	s_and_b32 s17, s16, vcc_lo
	s_and_saveexec_b32 s16, s17
	s_cbranch_execz .LBB2_6774
; %bb.6756:                             ;   in Loop: Header=BB2_6708 Depth=3
	s_and_saveexec_b32 s17, s29
	s_xor_b32 s17, exec_lo, s17
	s_cbranch_execz .LBB2_6771
; %bb.6757:                             ;   in Loop: Header=BB2_6708 Depth=3
	s_and_saveexec_b32 s18, s11
	s_cbranch_execz .LBB2_6770
; %bb.6758:                             ;   in Loop: Header=BB2_6708 Depth=3
	s_mov_b32 s22, exec_lo
	s_mov_b32 s19, exec_lo
	v_mbcnt_lo_u32_b32 v9, s22, 0
	s_waitcnt vmcnt(0) lgkmcnt(0)
	s_waitcnt_vscnt null, 0x0
	buffer_gl1_inv
	buffer_gl0_inv
	v_cmpx_eq_u32_e32 0, v9
	s_cbranch_execz .LBB2_6760
; %bb.6759:                             ;   in Loop: Header=BB2_6708 Depth=3
	s_bcnt1_i32_b32 s22, s22
	v_mov_b32_e32 v10, v2
	v_mov_b32_e32 v9, s22
	ds_add_u64 v0, v[9:10]
	s_trap 2
.LBB2_6760:                             ;   in Loop: Header=BB2_6708 Depth=3
	s_or_b32 exec_lo, exec_lo, s19
	s_trap 2
	ds_read_b64 v[9:10], v0
	s_waitcnt lgkmcnt(0)
	buffer_gl0_inv
	v_add_co_u32 v12, vcc_lo, v12, v83
	v_add_co_ci_u32_e64 v13, null, 0, v13, vcc_lo
	s_mov_b32 s19, exec_lo
	v_cmpx_lt_u64_e64 v[9:10], v[12:13]
	s_cbranch_execz .LBB2_6769
; %bb.6761:                             ;   in Loop: Header=BB2_6708 Depth=3
	s_mov_b32 s22, 0
	s_mov_b32 s74, 0
                                        ; implicit-def: $sgpr23
                                        ; implicit-def: $sgpr73
	s_inst_prefetch 0x1
	s_branch .LBB2_6763
	.p2align	6
.LBB2_6762:                             ;   in Loop: Header=BB2_6763 Depth=4
	s_or_b32 exec_lo, exec_lo, s76
	s_and_b32 s75, exec_lo, s77
	s_or_b32 s22, s75, s22
	s_andn2_b32 s23, s23, exec_lo
	s_and_b32 s75, s73, exec_lo
	s_or_b32 s23, s23, s75
	s_andn2_b32 exec_lo, exec_lo, s22
	s_cbranch_execz .LBB2_6767
.LBB2_6763:                             ;   Parent Loop BB2_47 Depth=1
                                        ;     Parent Loop BB2_6705 Depth=2
                                        ;       Parent Loop BB2_6708 Depth=3
                                        ; =>      This Inner Loop Header: Depth=4
	s_add_i32 s74, s74, 1
	s_cmpk_lg_i32 s74, 0x2710
	s_cselect_b32 s75, -1, 0
	s_and_b32 vcc_lo, exec_lo, s75
	s_cbranch_vccz .LBB2_6765
; %bb.6764:                             ;   in Loop: Header=BB2_6763 Depth=4
	s_mov_b32 s77, -1
	s_or_b32 s73, s73, exec_lo
	s_and_saveexec_b32 s76, s75
	s_cbranch_execz .LBB2_6762
	s_branch .LBB2_6766
	.p2align	6
.LBB2_6765:                             ;   in Loop: Header=BB2_6763 Depth=4
	s_trap 2
	ds_read_b64 v[9:10], v0
	s_andn2_b32 s75, s75, exec_lo
	s_mov_b32 s74, 0
	s_waitcnt lgkmcnt(0)
	flat_load_dword v9, v[9:10] glc dlc
	s_waitcnt vmcnt(0) lgkmcnt(0)
	buffer_gl1_inv
	buffer_gl0_inv
	v_cmp_eq_u32_e32 vcc_lo, 0, v9
	s_and_b32 s76, vcc_lo, exec_lo
	s_or_b32 s75, s75, s76
	s_mov_b32 s77, -1
	s_or_b32 s73, s73, exec_lo
	s_and_saveexec_b32 s76, s75
	s_cbranch_execz .LBB2_6762
.LBB2_6766:                             ;   in Loop: Header=BB2_6763 Depth=4
	s_sleep 1
	s_trap 2
	ds_read_b64 v[9:10], v0
	s_waitcnt lgkmcnt(0)
	buffer_gl0_inv
	s_andn2_b32 s73, s73, exec_lo
	v_cmp_ge_u64_e32 vcc_lo, v[9:10], v[12:13]
	s_orn2_b32 s77, vcc_lo, exec_lo
	s_branch .LBB2_6762
.LBB2_6767:                             ;   in Loop: Header=BB2_6708 Depth=3
	s_inst_prefetch 0x2
	s_or_b32 exec_lo, exec_lo, s22
	s_and_saveexec_b32 s22, s23
	s_xor_b32 s22, exec_lo, s22
	s_cbranch_execz .LBB2_6769
; %bb.6768:                             ;   in Loop: Header=BB2_6708 Depth=3
	ds_write_b32 v0, v96
	s_trap 2
.LBB2_6769:                             ;   in Loop: Header=BB2_6708 Depth=3
	s_or_b32 exec_lo, exec_lo, s19
	;;#ASMSTART
	s_wakeup
	;;#ASMEND
.LBB2_6770:                             ;   in Loop: Header=BB2_6708 Depth=3
	s_or_b32 exec_lo, exec_lo, s18
.LBB2_6771:                             ;   in Loop: Header=BB2_6708 Depth=3
	s_andn2_saveexec_b32 s17, s17
	s_cbranch_execz .LBB2_6773
; %bb.6772:                             ;   in Loop: Header=BB2_6708 Depth=3
	s_waitcnt vmcnt(0) lgkmcnt(0)
	s_waitcnt_vscnt null, 0x0
	buffer_gl1_inv
	buffer_gl0_inv
	s_barrier
.LBB2_6773:                             ;   in Loop: Header=BB2_6708 Depth=3
	s_or_b32 exec_lo, exec_lo, s17
.LBB2_6774:                             ;   in Loop: Header=BB2_6708 Depth=3
	s_or_b32 exec_lo, exec_lo, s16
	s_trap 2
	ds_read_b64 v[51:52], v0
	s_waitcnt lgkmcnt(0)
	v_cmp_eq_u64_e32 vcc_lo, 0, v[51:52]
	s_cbranch_vccnz .LBB2_6783
; %bb.6775:                             ;   in Loop: Header=BB2_6708 Depth=3
	s_trap 2
	ds_read_b64 v[53:54], v0
	s_waitcnt lgkmcnt(0)
	v_cmp_eq_u64_e32 vcc_lo, 0, v[53:54]
	s_cbranch_vccnz .LBB2_6783
; %bb.6776:                             ;   in Loop: Header=BB2_6708 Depth=3
	s_trap 2
	ds_read_b64 v[64:65], v0
	v_cmp_eq_u32_e64 s16, 0, v8
	v_cndmask_b32_e64 v70, 0, v50, s16
	s_mov_b32 s16, -1
	s_waitcnt lgkmcnt(0)
	v_cmp_ne_u64_e32 vcc_lo, 0, v[64:65]
	s_cbranch_vccz .LBB2_6810
; %bb.6777:                             ;   in Loop: Header=BB2_6708 Depth=3
	s_and_saveexec_b32 s17, s13
	s_cbranch_execz .LBB2_6779
; %bb.6778:                             ;   in Loop: Header=BB2_6708 Depth=3
	ds_read_b32 v8, v0 offset:720
	s_waitcnt lgkmcnt(0)
	v_and_b32_e32 v8, 15, v8
	v_cmp_eq_u32_e32 vcc_lo, 0, v8
	s_orn2_b32 s16, vcc_lo, exec_lo
.LBB2_6779:                             ;   in Loop: Header=BB2_6708 Depth=3
	s_or_b32 exec_lo, exec_lo, s17
	s_and_saveexec_b32 s17, s14
	s_cbranch_execz .LBB2_6781
; %bb.6780:                             ;   in Loop: Header=BB2_6708 Depth=3
	ds_read_b32 v8, v0 offset:784
	s_waitcnt lgkmcnt(0)
	v_and_b32_e32 v8, 15, v8
	v_cmp_eq_u32_e32 vcc_lo, 0, v8
	s_and_b32 s18, s16, vcc_lo
	s_andn2_b32 s16, s16, exec_lo
	s_and_b32 s18, s18, exec_lo
	s_or_b32 s16, s16, s18
.LBB2_6781:                             ;   in Loop: Header=BB2_6708 Depth=3
	s_or_b32 exec_lo, exec_lo, s17
	s_xor_b32 s16, s16, -1
	v_mov_b32_e32 v66, 0
	v_cndmask_b32_e64 v8, 0, 1, s16
	v_mov_b32_e32 v67, v70
	v_mov_b32_e32 v71, v0
	s_mov_b32 s17, -1
	v_cmp_ne_u32_e32 vcc_lo, 0, v8
	s_cbranch_vccz .LBB2_6784
; %bb.6782:                             ;   in Loop: Header=BB2_6708 Depth=3
	s_and_saveexec_b32 s22, s17
	s_cbranch_execnz .LBB2_6799
	s_branch .LBB2_6809
.LBB2_6783:                             ;   in Loop: Header=BB2_6708 Depth=3
	s_mov_b32 s16, 0
	s_and_saveexec_b32 s17, s6
	s_cbranch_execnz .LBB2_6838
	s_branch .LBB2_6856
.LBB2_6784:                             ;   in Loop: Header=BB2_6708 Depth=3
	v_ashrrev_i32_e32 v8, 31, v70
	v_sub_nc_u32_e32 v71, v70, v87
	s_mov_b32 s19, exec_lo
	v_lshrrev_b32_e32 v8, 23, v8
	v_add_nc_u32_e32 v8, v70, v8
	v_and_b32_e32 v46, 0xfffffe00, v8
	v_ashrrev_i32_e32 v8, 9, v8
	v_sub_nc_u32_e32 v56, v70, v46
	v_sub_nc_u32_e32 v8, v8, v85
	v_cmp_lt_i32_e64 s16, 15, v56
	v_add_co_ci_u32_e64 v57, null, 0, v8, s16
	v_cmpx_lt_i32_e32 15, v71
	s_cbranch_execz .LBB2_6790
; %bb.6785:                             ;   in Loop: Header=BB2_6708 Depth=3
	v_add_co_u32 v66, vcc_lo, v51, v87
	v_add_co_ci_u32_e64 v67, null, 0, v52, vcc_lo
	v_add_co_u32 v47, vcc_lo, v53, v87
	v_add_co_ci_u32_e64 v58, null, 0, v54, vcc_lo
	;; [unrolled: 2-line block ×3, first 2 shown]
	s_mov_b32 s73, 0
	s_inst_prefetch 0x1
	.p2align	6
.LBB2_6786:                             ;   Parent Loop BB2_47 Depth=1
                                        ;     Parent Loop BB2_6705 Depth=2
                                        ;       Parent Loop BB2_6708 Depth=3
                                        ; =>      This Loop Header: Depth=4
                                        ;           Child Loop BB2_6787 Depth 5
	global_load_dwordx4 v[8:11], v[66:67], off slc
	s_mov_b64 s[22:23], 0
	s_mov_b32 s74, -1
	.p2align	6
.LBB2_6787:                             ;   Parent Loop BB2_47 Depth=1
                                        ;     Parent Loop BB2_6705 Depth=2
                                        ;       Parent Loop BB2_6708 Depth=3
                                        ;         Parent Loop BB2_6786 Depth=4
                                        ; =>        This Inner Loop Header: Depth=5
	s_cmp_eq_u32 s22, 1
	s_cselect_b32 vcc_lo, -1, 0
	s_cmp_eq_u32 s22, 0
	v_cndmask_b32_e32 v61, v47, v59, vcc_lo
	v_cndmask_b32_e32 v62, v58, v60, vcc_lo
	s_mov_b64 s[22:23], 1
	v_add_co_u32 v63, s17, 0x200, v61
	v_add_co_ci_u32_e64 v72, null, 0, v62, s17
	s_cselect_b32 s17, -1, 0
	v_cndmask_b32_e32 v59, v59, v63, vcc_lo
	v_cndmask_b32_e64 v47, v47, v63, s17
	v_cndmask_b32_e32 v60, v60, v72, vcc_lo
	v_cndmask_b32_e64 v58, v58, v72, s17
	s_and_b32 s18, exec_lo, s74
	s_mov_b32 s74, 0
	s_mov_b32 vcc_lo, s18
	s_waitcnt vmcnt(0)
	global_store_dwordx4 v[61:62], v[8:11], off glc slc
	s_cbranch_vccnz .LBB2_6787
; %bb.6788:                             ;   in Loop: Header=BB2_6786 Depth=4
	v_sub_nc_u32_e32 v71, v71, v114
	v_add_co_u32 v47, vcc_lo, v47, v117
	v_add_co_ci_u32_e64 v58, null, v58, v119, vcc_lo
	v_add_co_u32 v59, vcc_lo, v59, v117
	v_add_co_ci_u32_e64 v60, null, v60, v119, vcc_lo
	v_cmp_gt_i32_e32 vcc_lo, 16, v71
	v_add_co_u32 v66, s17, v42, v66
	v_add_co_ci_u32_e64 v67, null, v43, v67, s17
	v_sub_nc_u32_e32 v57, v57, v83
	s_or_b32 s73, vcc_lo, s73
	s_andn2_b32 exec_lo, exec_lo, s73
	s_cbranch_execnz .LBB2_6786
; %bb.6789:                             ;   in Loop: Header=BB2_6708 Depth=3
	s_inst_prefetch 0x2
	s_or_b32 exec_lo, exec_lo, s73
.LBB2_6790:                             ;   in Loop: Header=BB2_6708 Depth=3
	s_or_b32 exec_lo, exec_lo, s19
	v_and_b32_e32 v8, 15, v70
	v_mov_b32_e32 v66, 0
	s_mov_b32 s17, 0
	s_mov_b32 s19, exec_lo
                                        ; implicit-def: $vgpr67
                                        ; implicit-def: $vgpr71
	v_cndmask_b32_e64 v47, v56, v8, s16
	v_cmpx_ne_u32_e32 0, v47
	s_cbranch_execz .LBB2_6798
; %bb.6791:                             ;   in Loop: Header=BB2_6708 Depth=3
	v_cmp_lt_i32_e32 vcc_lo, 0, v57
	v_ashrrev_i32_e32 v11, 31, v47
	s_mov_b32 s73, exec_lo
	v_cndmask_b32_e32 v9, 0, v83, vcc_lo
	v_lshrrev_b32_e32 v11, 23, v11
	v_sub_nc_u32_e32 v9, v9, v57
	v_add_nc_u32_e32 v11, v47, v11
	v_lshl_or_b32 v9, v9, 5, v84
	v_and_b32_e32 v57, 0xfffffe00, v11
	v_ashrrev_i32_e32 v11, 9, v11
	v_ashrrev_i32_e32 v10, 31, v9
	v_lshrrev_b32_e32 v10, 27, v10
	v_add_nc_u32_e32 v10, v9, v10
	v_and_b32_e32 v66, 0xffffffe0, v10
	v_sub_nc_u32_e32 v71, v9, v66
	v_ashrrev_i32_e32 v9, 5, v10
	v_sub_nc_u32_e32 v66, v56, v8
	v_sub_nc_u32_e32 v56, v47, v57
	v_lshlrev_b32_e32 v10, 4, v71
	v_lshl_add_u32 v8, v9, 9, v10
	v_cndmask_b32_e64 v10, 0, v66, s16
	v_cmp_lt_i32_e64 s16, 15, v56
	v_sub_nc_u32_e32 v59, v47, v8
	v_add_nc_u32_e32 v46, v10, v46
	v_add_co_ci_u32_e64 v11, null, 0, v11, s16
	v_sub_nc_u32_e32 v58, v11, v9
	v_cmpx_lt_i32_e32 15, v59
	s_cbranch_execz .LBB2_6797
; %bb.6792:                             ;   in Loop: Header=BB2_6708 Depth=3
	v_add_nc_u32_e32 v8, v8, v46
	s_mov_b32 s74, 0
	v_ashrrev_i32_e32 v9, 31, v8
	v_add_co_u32 v66, vcc_lo, v8, v51
	v_add_co_ci_u32_e64 v67, null, v9, v52, vcc_lo
	v_add_co_u32 v60, vcc_lo, v8, v53
	v_add_co_ci_u32_e64 v61, null, v9, v54, vcc_lo
	;; [unrolled: 2-line block ×3, first 2 shown]
	s_inst_prefetch 0x1
	.p2align	6
.LBB2_6793:                             ;   Parent Loop BB2_47 Depth=1
                                        ;     Parent Loop BB2_6705 Depth=2
                                        ;       Parent Loop BB2_6708 Depth=3
                                        ; =>      This Loop Header: Depth=4
                                        ;           Child Loop BB2_6794 Depth 5
	global_load_dwordx4 v[8:11], v[66:67], off slc
	s_mov_b64 s[22:23], 0
	s_mov_b32 s75, -1
	.p2align	6
.LBB2_6794:                             ;   Parent Loop BB2_47 Depth=1
                                        ;     Parent Loop BB2_6705 Depth=2
                                        ;       Parent Loop BB2_6708 Depth=3
                                        ;         Parent Loop BB2_6793 Depth=4
                                        ; =>        This Inner Loop Header: Depth=5
	s_cmp_eq_u32 s22, 1
	s_cselect_b32 vcc_lo, -1, 0
	s_cmp_eq_u32 s22, 0
	v_cndmask_b32_e32 v72, v60, v62, vcc_lo
	v_cndmask_b32_e32 v73, v61, v63, vcc_lo
	s_mov_b64 s[22:23], 1
	v_add_co_u32 v74, s17, 0x200, v72
	v_add_co_ci_u32_e64 v75, null, 0, v73, s17
	s_cselect_b32 s17, -1, 0
	v_cndmask_b32_e32 v62, v62, v74, vcc_lo
	v_cndmask_b32_e64 v60, v60, v74, s17
	v_cndmask_b32_e32 v63, v63, v75, vcc_lo
	v_cndmask_b32_e64 v61, v61, v75, s17
	s_and_b32 s18, exec_lo, s75
	s_mov_b32 s75, 0
	s_mov_b32 vcc_lo, s18
	s_waitcnt vmcnt(0)
	global_store_dwordx4 v[72:73], v[8:11], off glc slc
	s_cbranch_vccnz .LBB2_6794
; %bb.6795:                             ;   in Loop: Header=BB2_6793 Depth=4
	v_sub_nc_u32_e32 v59, v59, v114
	v_add_co_u32 v60, vcc_lo, v60, v117
	v_add_co_ci_u32_e64 v61, null, v61, v119, vcc_lo
	v_add_co_u32 v62, vcc_lo, v62, v117
	v_add_co_ci_u32_e64 v63, null, v63, v119, vcc_lo
	v_cmp_gt_i32_e32 vcc_lo, 16, v59
	v_add_co_u32 v66, s17, v42, v66
	v_add_co_ci_u32_e64 v67, null, v43, v67, s17
	v_sub_nc_u32_e32 v58, v58, v83
	s_or_b32 s74, vcc_lo, s74
	s_andn2_b32 exec_lo, exec_lo, s74
	s_cbranch_execnz .LBB2_6793
; %bb.6796:                             ;   in Loop: Header=BB2_6708 Depth=3
	s_inst_prefetch 0x2
	s_or_b32 exec_lo, exec_lo, s74
.LBB2_6797:                             ;   in Loop: Header=BB2_6708 Depth=3
	s_or_b32 exec_lo, exec_lo, s73
	v_and_b32_e32 v8, 15, v47
	v_cmp_lt_i32_e32 vcc_lo, 0, v58
	v_sub_nc_u32_e32 v9, v56, v8
	v_cndmask_b32_e32 v10, 0, v83, vcc_lo
	v_cndmask_b32_e64 v67, v56, v8, s16
	v_cndmask_b32_e64 v8, 0, v9, s16
	v_sub_nc_u32_e32 v9, v10, v58
	v_cmp_ne_u32_e32 vcc_lo, 0, v67
	v_add3_u32 v66, v57, v46, v8
	v_lshl_add_u32 v71, v9, 5, v71
	s_and_b32 s17, vcc_lo, exec_lo
.LBB2_6798:                             ;   in Loop: Header=BB2_6708 Depth=3
	s_or_b32 exec_lo, exec_lo, s19
	s_and_saveexec_b32 s22, s17
	s_cbranch_execz .LBB2_6809
.LBB2_6799:                             ;   in Loop: Header=BB2_6708 Depth=3
	v_ashrrev_i32_e32 v8, 31, v71
	v_ashrrev_i32_e32 v9, 31, v67
	s_mov_b32 s17, exec_lo
	v_lshrrev_b32_e32 v8, 27, v8
	v_add_nc_u32_sdwa v9, v67, v9 dst_sel:DWORD dst_unused:UNUSED_PAD src0_sel:DWORD src1_sel:BYTE_3
	v_add_nc_u32_e32 v8, v71, v8
	v_ashrrev_i32_e32 v56, 8, v9
	v_ashrrev_i32_e32 v46, 5, v8
	v_sub_nc_u32_e32 v47, v56, v46
	v_cmpx_lt_i32_e32 0, v47
	s_cbranch_execz .LBB2_6803
; %bb.6800:                             ;   in Loop: Header=BB2_6708 Depth=3
	v_and_b32_e32 v8, 0xffffffe0, v8
	v_lshlrev_b32_e32 v9, 8, v46
	v_add_co_u32 v59, vcc_lo, 0xe0, v51
	v_add_co_ci_u32_e64 v60, null, 0, v52, vcc_lo
	v_sub_nc_u32_e32 v8, v71, v8
	s_mov_b32 s18, 0
	v_add3_u32 v57, v66, v8, v9
	v_ashrrev_i32_e32 v58, 31, v57
	v_add_co_u32 v8, vcc_lo, v57, v53
	v_add_co_ci_u32_e64 v9, null, v58, v54, vcc_lo
	v_add_co_u32 v10, vcc_lo, v57, v64
	v_add_co_ci_u32_e64 v11, null, v58, v65, vcc_lo
	;; [unrolled: 2-line block ×3, first 2 shown]
.LBB2_6801:                             ;   Parent Loop BB2_47 Depth=1
                                        ;     Parent Loop BB2_6705 Depth=2
                                        ;       Parent Loop BB2_6708 Depth=3
                                        ; =>      This Inner Loop Header: Depth=4
	v_add_co_u32 v57, vcc_lo, 0xffffff20, v64
	v_add_co_ci_u32_e64 v58, null, -1, v65, vcc_lo
	v_add_co_u32 v59, vcc_lo, 0xffffff40, v64
	v_add_co_ci_u32_e64 v60, null, -1, v65, vcc_lo
	;; [unrolled: 2-line block ×7, first 2 shown]
	flat_load_ubyte v63, v[64:65] slc
	flat_load_ubyte v57, v[57:58] slc
	flat_load_ubyte v58, v[59:60] slc
	flat_load_ubyte v59, v[61:62] slc
	flat_load_ubyte v60, v[72:73] slc
	flat_load_ubyte v61, v[74:75] slc
	flat_load_ubyte v62, v[76:77] slc
	flat_load_ubyte v72, v[78:79] slc
	v_sub_nc_u32_e32 v47, v47, v83
	v_add_co_u32 v64, vcc_lo, v64, v115
	v_add_co_ci_u32_e64 v65, null, 0, v65, vcc_lo
	v_cmp_gt_i32_e32 vcc_lo, 1, v47
	s_waitcnt vmcnt(7) lgkmcnt(7)
	flat_store_byte v[8:9], v63 offset:224 glc slc
	s_waitcnt vmcnt(6) lgkmcnt(7)
	flat_store_byte v[8:9], v57 glc slc
	s_waitcnt vmcnt(5) lgkmcnt(7)
	flat_store_byte v[8:9], v58 offset:32 glc slc
	s_waitcnt vmcnt(4) lgkmcnt(7)
	flat_store_byte v[8:9], v59 offset:64 glc slc
	;; [unrolled: 2-line block ×6, first 2 shown]
	flat_store_byte v[10:11], v57 glc slc
	flat_store_byte v[10:11], v58 offset:32 glc slc
	flat_store_byte v[10:11], v59 offset:64 glc slc
	;; [unrolled: 1-line block ×7, first 2 shown]
	v_add_co_u32 v8, s16, v8, v115
	v_add_co_ci_u32_e64 v9, null, 0, v9, s16
	v_add_co_u32 v10, s16, v10, v115
	v_add_co_ci_u32_e64 v11, null, 0, v11, s16
	s_or_b32 s18, vcc_lo, s18
	s_andn2_b32 exec_lo, exec_lo, s18
	s_cbranch_execnz .LBB2_6801
; %bb.6802:                             ;   in Loop: Header=BB2_6708 Depth=3
	s_or_b32 exec_lo, exec_lo, s18
.LBB2_6803:                             ;   in Loop: Header=BB2_6708 Depth=3
	s_or_b32 exec_lo, exec_lo, s17
	v_lshlrev_b32_e32 v8, 8, v56
	v_cmp_ne_u32_e32 vcc_lo, v67, v8
	s_and_b32 exec_lo, exec_lo, vcc_lo
	s_cbranch_execz .LBB2_6809
; %bb.6804:                             ;   in Loop: Header=BB2_6708 Depth=3
	v_lshlrev_b32_e32 v9, 5, v46
	v_lshlrev_b32_e32 v10, 5, v47
	v_sub_nc_u32_e32 v9, v71, v9
	v_sub_nc_u32_e32 v9, v9, v10
	v_add_nc_u32_e32 v8, v8, v9
	v_sub_nc_u32_e32 v10, v67, v8
	v_cmp_lt_i32_e32 vcc_lo, 0, v10
	s_and_b32 exec_lo, exec_lo, vcc_lo
	s_cbranch_execz .LBB2_6809
; %bb.6805:                             ;   in Loop: Header=BB2_6708 Depth=3
	s_trap 2
	ds_read_b64 v[64:65], v0
	ds_read_b128 v[56:59], v0
	v_add_nc_u32_e32 v66, v8, v66
	s_mov_b32 s23, 0
	v_ashrrev_i32_e32 v67, 31, v66
	s_waitcnt lgkmcnt(1)
	v_add_co_u32 v8, vcc_lo, v64, v66
	v_add_co_ci_u32_e64 v9, null, v65, v67, vcc_lo
	s_waitcnt lgkmcnt(0)
	v_add_co_u32 v11, vcc_lo, v56, v66
	v_add_co_ci_u32_e64 v64, null, v57, v67, vcc_lo
	v_add_co_u32 v65, vcc_lo, v58, v66
	v_add_co_ci_u32_e64 v66, null, v59, v67, vcc_lo
	s_inst_prefetch 0x1
	.p2align	6
.LBB2_6806:                             ;   Parent Loop BB2_47 Depth=1
                                        ;     Parent Loop BB2_6705 Depth=2
                                        ;       Parent Loop BB2_6708 Depth=3
                                        ; =>      This Loop Header: Depth=4
                                        ;           Child Loop BB2_6807 Depth 5
	flat_load_ubyte v67, v[8:9] slc
	s_mov_b64 s[18:19], 0
	s_mov_b32 s73, -1
	.p2align	6
.LBB2_6807:                             ;   Parent Loop BB2_47 Depth=1
                                        ;     Parent Loop BB2_6705 Depth=2
                                        ;       Parent Loop BB2_6708 Depth=3
                                        ;         Parent Loop BB2_6806 Depth=4
                                        ; =>        This Inner Loop Header: Depth=5
	s_cmp_eq_u32 s18, 1
	s_cselect_b32 vcc_lo, -1, 0
	s_cmp_eq_u32 s18, 0
	v_cndmask_b32_e32 v46, v11, v65, vcc_lo
	v_cndmask_b32_e32 v47, v64, v66, vcc_lo
	s_mov_b64 s[18:19], 1
	v_add_co_u32 v71, s16, v46, 32
	v_add_co_ci_u32_e64 v56, null, 0, v47, s16
	s_cselect_b32 s16, -1, 0
	v_cndmask_b32_e32 v65, v65, v71, vcc_lo
	v_cndmask_b32_e64 v11, v11, v71, s16
	v_cndmask_b32_e32 v66, v66, v56, vcc_lo
	v_cndmask_b32_e64 v64, v64, v56, s16
	s_and_b32 s17, exec_lo, s73
	s_mov_b32 s73, 0
	s_mov_b32 vcc_lo, s17
	s_waitcnt vmcnt(0) lgkmcnt(0)
	flat_store_byte v[46:47], v67 glc slc
	s_cbranch_vccnz .LBB2_6807
; %bb.6808:                             ;   in Loop: Header=BB2_6806 Depth=4
	v_sub_nc_u32_e32 v10, v10, v86
	v_add_co_u32 v11, vcc_lo, v11, v116
	v_add_co_ci_u32_e64 v64, null, v64, v118, vcc_lo
	v_add_co_u32 v65, vcc_lo, v65, v116
	v_add_co_ci_u32_e64 v66, null, v66, v118, vcc_lo
	v_cmp_gt_i32_e32 vcc_lo, 1, v10
	v_add_co_u32 v8, s16, v40, v8
	v_add_co_ci_u32_e64 v9, null, v41, v9, s16
	s_or_b32 s23, vcc_lo, s23
	s_andn2_b32 exec_lo, exec_lo, s23
	s_cbranch_execnz .LBB2_6806
.LBB2_6809:                             ;   in Loop: Header=BB2_6708 Depth=3
	s_inst_prefetch 0x2
	s_or_b32 exec_lo, exec_lo, s22
	s_mov_b32 s16, 0
.LBB2_6810:                             ;   in Loop: Header=BB2_6708 Depth=3
	s_and_b32 vcc_lo, exec_lo, s16
	s_cbranch_vccz .LBB2_6837
; %bb.6811:                             ;   in Loop: Header=BB2_6708 Depth=3
	s_mov_b32 s16, -1
	s_and_saveexec_b32 s17, s13
	s_cbranch_execz .LBB2_6813
; %bb.6812:                             ;   in Loop: Header=BB2_6708 Depth=3
	ds_read_b32 v8, v0 offset:720
	s_waitcnt lgkmcnt(0)
	v_and_b32_e32 v8, 15, v8
	v_cmp_eq_u32_e32 vcc_lo, 0, v8
	s_orn2_b32 s16, vcc_lo, exec_lo
.LBB2_6813:                             ;   in Loop: Header=BB2_6708 Depth=3
	s_or_b32 exec_lo, exec_lo, s17
	s_and_saveexec_b32 s17, s12
	s_cbranch_execz .LBB2_6815
; %bb.6814:                             ;   in Loop: Header=BB2_6708 Depth=3
	ds_read_b32 v8, v0 offset:784
	s_waitcnt lgkmcnt(0)
	v_and_b32_e32 v8, 15, v8
	v_cmp_eq_u32_e32 vcc_lo, 0, v8
	s_and_b32 s18, s16, vcc_lo
	s_andn2_b32 s16, s16, exec_lo
	s_and_b32 s18, s18, exec_lo
	s_or_b32 s16, s16, s18
.LBB2_6815:                             ;   in Loop: Header=BB2_6708 Depth=3
	s_or_b32 exec_lo, exec_lo, s17
	s_xor_b32 s16, s16, -1
	v_mov_b32_e32 v10, 0
	v_cndmask_b32_e64 v8, 0, 1, s16
	v_mov_b32_e32 v9, v0
	s_mov_b32 s16, -1
	v_cmp_ne_u32_e32 vcc_lo, 0, v8
	v_mov_b32_e32 v8, v70
	s_cbranch_vccz .LBB2_6817
; %bb.6816:                             ;   in Loop: Header=BB2_6708 Depth=3
	s_and_saveexec_b32 s17, s16
	s_cbranch_execnz .LBB2_6828
	s_branch .LBB2_6836
.LBB2_6817:                             ;   in Loop: Header=BB2_6708 Depth=3
	v_ashrrev_i32_e32 v8, 31, v70
	s_mov_b32 s17, exec_lo
	v_lshrrev_b32_e32 v8, 22, v8
	v_add_nc_u32_e32 v8, v70, v8
	v_ashrrev_i32_e32 v10, 10, v8
	v_sub_nc_u32_e32 v64, v10, v85
	v_cmpx_lt_i32_e32 0, v64
	s_cbranch_execz .LBB2_6821
; %bb.6818:                             ;   in Loop: Header=BB2_6708 Depth=3
	v_mov_b32_e32 v8, v34
	v_mov_b32_e32 v9, v35
	s_mov_b32 s18, 0
	.p2align	6
.LBB2_6819:                             ;   Parent Loop BB2_47 Depth=1
                                        ;     Parent Loop BB2_6705 Depth=2
                                        ;       Parent Loop BB2_6708 Depth=3
                                        ; =>      This Inner Loop Header: Depth=4
	v_add_co_u32 v65, vcc_lo, v51, v8
	v_add_co_ci_u32_e64 v66, null, v52, v9, vcc_lo
	v_sub_nc_u32_e32 v64, v64, v83
	s_clause 0x1
	global_load_dwordx4 v[56:59], v[65:66], off slc
	global_load_dwordx4 v[60:63], v[65:66], off offset:512 slc
	v_add_co_u32 v65, vcc_lo, v53, v8
	v_add_co_ci_u32_e64 v66, null, v54, v9, vcc_lo
	v_cmp_gt_i32_e32 vcc_lo, 1, v64
	v_add_co_u32 v8, s16, v8, v113
	v_add_co_ci_u32_e64 v9, null, 0, v9, s16
	s_or_b32 s18, vcc_lo, s18
	s_waitcnt vmcnt(1)
	global_store_dwordx4 v[65:66], v[56:59], off glc slc
	s_waitcnt vmcnt(0)
	global_store_dwordx4 v[65:66], v[60:63], off offset:512 glc slc
	s_andn2_b32 exec_lo, exec_lo, s18
	s_cbranch_execnz .LBB2_6819
; %bb.6820:                             ;   in Loop: Header=BB2_6708 Depth=3
	s_or_b32 exec_lo, exec_lo, s18
.LBB2_6821:                             ;   in Loop: Header=BB2_6708 Depth=3
	s_or_b32 exec_lo, exec_lo, s17
	v_lshlrev_b32_e32 v11, 10, v10
	v_mov_b32_e32 v10, 0
	s_mov_b32 s16, 0
	s_mov_b32 s18, exec_lo
                                        ; implicit-def: $vgpr8
                                        ; implicit-def: $vgpr9
	v_cmpx_ne_u32_e64 v70, v11
	s_cbranch_execz .LBB2_6827
; %bb.6822:                             ;   in Loop: Header=BB2_6708 Depth=3
	v_lshlrev_b32_e32 v8, 5, v64
	v_sub_nc_u32_e32 v64, v70, v11
	s_mov_b32 s19, exec_lo
	v_sub_nc_u32_e32 v8, v84, v8
	v_ashrrev_i32_e32 v10, 31, v64
	v_ashrrev_i32_e32 v9, 31, v8
	v_lshrrev_b32_e32 v9, 27, v9
	v_add_nc_u32_e32 v65, v8, v9
	v_lshrrev_b32_e32 v9, 23, v10
	v_and_b32_e32 v10, 0xffffffe0, v65
	v_add_nc_u32_e32 v66, v64, v9
	v_ashrrev_i32_e32 v67, 5, v65
	v_sub_nc_u32_e32 v9, v8, v10
	v_and_b32_e32 v10, 0xfffffe00, v66
	v_ashrrev_i32_e32 v71, 9, v66
	v_lshlrev_b32_e32 v65, 4, v9
	v_sub_nc_u32_e32 v8, v64, v10
	v_lshl_add_u32 v66, v67, 9, v65
	v_cmp_lt_i32_e32 vcc_lo, 15, v8
	v_sub_nc_u32_e32 v65, v64, v66
	v_add_co_ci_u32_e64 v71, null, 0, v71, vcc_lo
	v_sub_nc_u32_e32 v64, v71, v67
	v_cmpx_lt_i32_e32 15, v65
	s_cbranch_execz .LBB2_6826
; %bb.6823:                             ;   in Loop: Header=BB2_6708 Depth=3
	v_add_nc_u32_e32 v66, v66, v11
	s_mov_b32 s22, 0
	v_ashrrev_i32_e32 v67, 31, v66
	.p2align	6
.LBB2_6824:                             ;   Parent Loop BB2_47 Depth=1
                                        ;     Parent Loop BB2_6705 Depth=2
                                        ;       Parent Loop BB2_6708 Depth=3
                                        ; =>      This Inner Loop Header: Depth=4
	v_add_co_u32 v46, s16, v51, v66
	v_add_co_ci_u32_e64 v47, null, v52, v67, s16
	v_sub_nc_u32_e32 v65, v65, v114
	v_sub_nc_u32_e32 v64, v64, v83
	global_load_dwordx4 v[56:59], v[46:47], off slc
	v_add_co_u32 v46, s16, v53, v66
	v_add_co_ci_u32_e64 v47, null, v54, v67, s16
	v_cmp_gt_i32_e64 s16, 16, v65
	v_add_co_u32 v66, s17, v66, v114
	v_add_co_ci_u32_e64 v67, null, 0, v67, s17
	s_or_b32 s22, s16, s22
	s_waitcnt vmcnt(0)
	global_store_dwordx4 v[46:47], v[56:59], off glc slc
	s_andn2_b32 exec_lo, exec_lo, s22
	s_cbranch_execnz .LBB2_6824
; %bb.6825:                             ;   in Loop: Header=BB2_6708 Depth=3
	s_or_b32 exec_lo, exec_lo, s22
.LBB2_6826:                             ;   in Loop: Header=BB2_6708 Depth=3
	s_or_b32 exec_lo, exec_lo, s19
	v_and_b32_e32 v65, 15, v70
	v_cmp_lt_i32_e64 s16, 0, v64
	v_sub_nc_u32_e32 v66, v8, v65
	v_cndmask_b32_e64 v67, 0, v83, s16
	v_cndmask_b32_e32 v8, v8, v65, vcc_lo
	v_cndmask_b32_e32 v65, 0, v66, vcc_lo
	v_sub_nc_u32_e32 v64, v67, v64
	v_cmp_ne_u32_e32 vcc_lo, 0, v8
	v_add3_u32 v10, v10, v11, v65
	v_lshl_add_u32 v9, v64, 5, v9
	s_and_b32 s16, vcc_lo, exec_lo
.LBB2_6827:                             ;   in Loop: Header=BB2_6708 Depth=3
	s_or_b32 exec_lo, exec_lo, s18
	s_and_saveexec_b32 s17, s16
	s_cbranch_execz .LBB2_6836
.LBB2_6828:                             ;   in Loop: Header=BB2_6708 Depth=3
	v_ashrrev_i32_e32 v11, 31, v9
	v_ashrrev_i32_e32 v64, 31, v8
	s_mov_b32 s16, exec_lo
	v_lshrrev_b32_e32 v11, 27, v11
	v_add_nc_u32_sdwa v64, v8, v64 dst_sel:DWORD dst_unused:UNUSED_PAD src0_sel:DWORD src1_sel:BYTE_3
	v_add_nc_u32_e32 v66, v9, v11
	v_ashrrev_i32_e32 v65, 8, v64
	v_ashrrev_i32_e32 v11, 5, v66
	v_sub_nc_u32_e32 v64, v65, v11
	v_cmpx_lt_i32_e32 0, v64
	s_cbranch_execz .LBB2_6832
; %bb.6829:                             ;   in Loop: Header=BB2_6708 Depth=3
	v_and_b32_e32 v66, 0xffffffe0, v66
	v_lshlrev_b32_e32 v67, 8, v11
	s_mov_b32 s18, 0
	v_sub_nc_u32_e32 v66, v9, v66
	v_add3_u32 v66, v10, v66, v67
	v_ashrrev_i32_e32 v67, 31, v66
.LBB2_6830:                             ;   Parent Loop BB2_47 Depth=1
                                        ;     Parent Loop BB2_6705 Depth=2
                                        ;       Parent Loop BB2_6708 Depth=3
                                        ; =>      This Inner Loop Header: Depth=4
	v_add_co_u32 v46, vcc_lo, v66, v51
	v_add_co_ci_u32_e64 v47, null, v67, v52, vcc_lo
	v_sub_nc_u32_e32 v64, v64, v83
	s_clause 0x7
	flat_load_ubyte v71, v[46:47] slc
	flat_load_ubyte v56, v[46:47] offset:32 slc
	flat_load_ubyte v57, v[46:47] offset:64 slc
	flat_load_ubyte v58, v[46:47] offset:96 slc
	flat_load_ubyte v59, v[46:47] offset:128 slc
	flat_load_ubyte v60, v[46:47] offset:160 slc
	flat_load_ubyte v61, v[46:47] offset:192 slc
	flat_load_ubyte v62, v[46:47] offset:224 slc
	v_add_co_u32 v46, vcc_lo, v66, v53
	v_add_co_ci_u32_e64 v47, null, v67, v54, vcc_lo
	v_add_co_u32 v51, vcc_lo, v51, v115
	v_add_co_ci_u32_e64 v52, null, 0, v52, vcc_lo
	;; [unrolled: 2-line block ×3, first 2 shown]
	v_cmp_gt_i32_e32 vcc_lo, 1, v64
	s_waitcnt vmcnt(7) lgkmcnt(7)
	flat_store_byte v[46:47], v71 glc slc
	s_waitcnt vmcnt(6) lgkmcnt(7)
	flat_store_byte v[46:47], v56 offset:32 glc slc
	s_waitcnt vmcnt(5) lgkmcnt(7)
	flat_store_byte v[46:47], v57 offset:64 glc slc
	;; [unrolled: 2-line block ×7, first 2 shown]
	s_or_b32 s18, vcc_lo, s18
	s_andn2_b32 exec_lo, exec_lo, s18
	s_cbranch_execnz .LBB2_6830
; %bb.6831:                             ;   in Loop: Header=BB2_6708 Depth=3
	s_or_b32 exec_lo, exec_lo, s18
.LBB2_6832:                             ;   in Loop: Header=BB2_6708 Depth=3
	s_or_b32 exec_lo, exec_lo, s16
	v_lshlrev_b32_e32 v51, 8, v65
	v_cmp_ne_u32_e32 vcc_lo, v8, v51
	s_and_b32 exec_lo, exec_lo, vcc_lo
	s_cbranch_execz .LBB2_6836
; %bb.6833:                             ;   in Loop: Header=BB2_6708 Depth=3
	v_lshlrev_b32_e32 v11, 5, v11
	v_sub_nc_u32_e32 v9, v9, v11
	v_lshlrev_b32_e32 v11, 5, v64
	v_sub_nc_u32_e32 v9, v9, v11
	v_add_nc_u32_e32 v51, v51, v9
	v_sub_nc_u32_e32 v11, v8, v51
	v_cmp_lt_i32_e32 vcc_lo, 0, v11
	s_and_b32 exec_lo, exec_lo, vcc_lo
	s_cbranch_execz .LBB2_6836
; %bb.6834:                             ;   in Loop: Header=BB2_6708 Depth=3
	s_trap 2
	ds_read_b64 v[8:9], v0
	v_add_nc_u32_e32 v10, v51, v10
	s_mov_b32 s18, 0
	v_ashrrev_i32_e32 v51, 31, v10
	.p2align	6
.LBB2_6835:                             ;   Parent Loop BB2_47 Depth=1
                                        ;     Parent Loop BB2_6705 Depth=2
                                        ;       Parent Loop BB2_6708 Depth=3
                                        ; =>      This Inner Loop Header: Depth=4
	s_waitcnt lgkmcnt(0)
	v_add_co_u32 v52, vcc_lo, v8, v10
	v_add_co_ci_u32_e64 v53, null, v9, v51, vcc_lo
	v_sub_nc_u32_e32 v11, v11, v86
	v_add_co_u32 v10, s16, v10, v86
	flat_load_ubyte v54, v[52:53] slc
	v_add_co_ci_u32_e64 v51, null, 0, v51, s16
	v_cmp_gt_i32_e32 vcc_lo, 1, v11
	s_or_b32 s18, vcc_lo, s18
	s_waitcnt vmcnt(0) lgkmcnt(0)
	flat_store_byte v[52:53], v54 glc slc
	s_andn2_b32 exec_lo, exec_lo, s18
	s_cbranch_execnz .LBB2_6835
.LBB2_6836:                             ;   in Loop: Header=BB2_6708 Depth=3
	s_or_b32 exec_lo, exec_lo, s17
.LBB2_6837:                             ;   in Loop: Header=BB2_6708 Depth=3
	v_cmp_lt_i32_e64 s16, 0, v70
	s_and_saveexec_b32 s17, s6
	s_cbranch_execz .LBB2_6856
.LBB2_6838:                             ;   in Loop: Header=BB2_6708 Depth=3
	s_and_saveexec_b32 s18, s29
	s_xor_b32 s18, exec_lo, s18
	s_cbranch_execz .LBB2_6853
; %bb.6839:                             ;   in Loop: Header=BB2_6708 Depth=3
	s_and_saveexec_b32 s19, s11
	s_cbranch_execz .LBB2_6852
; %bb.6840:                             ;   in Loop: Header=BB2_6708 Depth=3
	s_mov_b32 s23, exec_lo
	s_mov_b32 s22, exec_lo
	v_mbcnt_lo_u32_b32 v8, s23, 0
	s_waitcnt vmcnt(0) lgkmcnt(0)
	s_waitcnt_vscnt null, 0x0
	buffer_gl1_inv
	buffer_gl0_inv
	v_cmpx_eq_u32_e32 0, v8
	s_cbranch_execz .LBB2_6842
; %bb.6841:                             ;   in Loop: Header=BB2_6708 Depth=3
	s_bcnt1_i32_b32 s23, s23
	v_mov_b32_e32 v9, v2
	v_mov_b32_e32 v8, s23
	ds_add_u64 v0, v[8:9]
	s_trap 2
.LBB2_6842:                             ;   in Loop: Header=BB2_6708 Depth=3
	s_or_b32 exec_lo, exec_lo, s22
	s_trap 2
	ds_read_b64 v[8:9], v0
	s_waitcnt lgkmcnt(0)
	buffer_gl0_inv
	v_add_co_u32 v12, vcc_lo, v12, v83
	v_add_co_ci_u32_e64 v13, null, 0, v13, vcc_lo
	s_mov_b32 s22, exec_lo
	v_cmpx_lt_u64_e64 v[8:9], v[12:13]
	s_cbranch_execz .LBB2_6851
; %bb.6843:                             ;   in Loop: Header=BB2_6708 Depth=3
	s_mov_b32 s23, 0
	s_mov_b32 s75, 0
                                        ; implicit-def: $sgpr73
                                        ; implicit-def: $sgpr74
	s_inst_prefetch 0x1
	s_branch .LBB2_6845
	.p2align	6
.LBB2_6844:                             ;   in Loop: Header=BB2_6845 Depth=4
	s_or_b32 exec_lo, exec_lo, s77
	s_and_b32 s76, exec_lo, s78
	s_or_b32 s23, s76, s23
	s_andn2_b32 s73, s73, exec_lo
	s_and_b32 s76, s74, exec_lo
	s_or_b32 s73, s73, s76
	s_andn2_b32 exec_lo, exec_lo, s23
	s_cbranch_execz .LBB2_6849
.LBB2_6845:                             ;   Parent Loop BB2_47 Depth=1
                                        ;     Parent Loop BB2_6705 Depth=2
                                        ;       Parent Loop BB2_6708 Depth=3
                                        ; =>      This Inner Loop Header: Depth=4
	s_add_i32 s75, s75, 1
	s_cmpk_lg_i32 s75, 0x2710
	s_cselect_b32 s76, -1, 0
	s_and_b32 vcc_lo, exec_lo, s76
	s_cbranch_vccz .LBB2_6847
; %bb.6846:                             ;   in Loop: Header=BB2_6845 Depth=4
	s_mov_b32 s78, -1
	s_or_b32 s74, s74, exec_lo
	s_and_saveexec_b32 s77, s76
	s_cbranch_execz .LBB2_6844
	s_branch .LBB2_6848
	.p2align	6
.LBB2_6847:                             ;   in Loop: Header=BB2_6845 Depth=4
	s_trap 2
	ds_read_b64 v[8:9], v0
	s_andn2_b32 s76, s76, exec_lo
	s_mov_b32 s75, 0
	s_waitcnt lgkmcnt(0)
	flat_load_dword v8, v[8:9] glc dlc
	s_waitcnt vmcnt(0) lgkmcnt(0)
	buffer_gl1_inv
	buffer_gl0_inv
	v_cmp_eq_u32_e32 vcc_lo, 0, v8
	s_and_b32 s77, vcc_lo, exec_lo
	s_or_b32 s76, s76, s77
	s_mov_b32 s78, -1
	s_or_b32 s74, s74, exec_lo
	s_and_saveexec_b32 s77, s76
	s_cbranch_execz .LBB2_6844
.LBB2_6848:                             ;   in Loop: Header=BB2_6845 Depth=4
	s_sleep 1
	s_trap 2
	ds_read_b64 v[8:9], v0
	s_waitcnt lgkmcnt(0)
	buffer_gl0_inv
	s_andn2_b32 s74, s74, exec_lo
	v_cmp_ge_u64_e32 vcc_lo, v[8:9], v[12:13]
	s_orn2_b32 s78, vcc_lo, exec_lo
	s_branch .LBB2_6844
.LBB2_6849:                             ;   in Loop: Header=BB2_6708 Depth=3
	s_inst_prefetch 0x2
	s_or_b32 exec_lo, exec_lo, s23
	s_and_saveexec_b32 s23, s73
	s_xor_b32 s23, exec_lo, s23
	s_cbranch_execz .LBB2_6851
; %bb.6850:                             ;   in Loop: Header=BB2_6708 Depth=3
	ds_write_b32 v0, v96
	s_trap 2
.LBB2_6851:                             ;   in Loop: Header=BB2_6708 Depth=3
	s_or_b32 exec_lo, exec_lo, s22
	;;#ASMSTART
	s_wakeup
	;;#ASMEND
.LBB2_6852:                             ;   in Loop: Header=BB2_6708 Depth=3
	s_or_b32 exec_lo, exec_lo, s19
.LBB2_6853:                             ;   in Loop: Header=BB2_6708 Depth=3
	s_andn2_saveexec_b32 s18, s18
	s_cbranch_execz .LBB2_6855
; %bb.6854:                             ;   in Loop: Header=BB2_6708 Depth=3
	s_waitcnt vmcnt(0) lgkmcnt(0)
	s_waitcnt_vscnt null, 0x0
	buffer_gl1_inv
	buffer_gl0_inv
	s_barrier
.LBB2_6855:                             ;   in Loop: Header=BB2_6708 Depth=3
	s_or_b32 exec_lo, exec_lo, s18
.LBB2_6856:                             ;   in Loop: Header=BB2_6708 Depth=3
	s_or_b32 exec_lo, exec_lo, s17
	v_and_b32_e32 v8, 16, v81
	s_and_saveexec_b32 s17, s15
	s_xor_b32 s17, exec_lo, s17
	s_cbranch_execz .LBB2_6860
; %bb.6857:                             ;   in Loop: Header=BB2_6708 Depth=3
	v_and_b32_e32 v8, 16, v81
	v_cmp_ne_u32_e32 vcc_lo, 0, v8
	v_and_b32_e32 v8, 16, v81
	s_and_b32 s18, vcc_lo, s16
	s_and_saveexec_b32 s16, s18
	s_cbranch_execz .LBB2_6859
; %bb.6858:                             ;   in Loop: Header=BB2_6708 Depth=3
	v_mov_b32_e32 v8, 1
	s_waitcnt vmcnt(0) lgkmcnt(0)
	s_waitcnt_vscnt null, 0x0
	buffer_gl1_inv
	buffer_gl0_inv
.LBB2_6859:                             ;   in Loop: Header=BB2_6708 Depth=3
	s_or_b32 exec_lo, exec_lo, s16
.LBB2_6860:                             ;   in Loop: Header=BB2_6708 Depth=3
	s_andn2_saveexec_b32 s16, s17
	s_cbranch_execz .LBB2_6879
; %bb.6861:                             ;   in Loop: Header=BB2_6708 Depth=3
	s_and_saveexec_b32 s17, s29
	s_xor_b32 s17, exec_lo, s17
	s_cbranch_execz .LBB2_6876
; %bb.6862:                             ;   in Loop: Header=BB2_6708 Depth=3
	s_and_saveexec_b32 s18, s11
	s_cbranch_execz .LBB2_6875
; %bb.6863:                             ;   in Loop: Header=BB2_6708 Depth=3
	s_mov_b32 s22, exec_lo
	s_mov_b32 s19, exec_lo
	v_mbcnt_lo_u32_b32 v9, s22, 0
	;;#ASMSTART
	s_waitcnt lgkmcnt(0) vmcnt(0)
	;;#ASMEND
	v_cmpx_eq_u32_e32 0, v9
	s_cbranch_execz .LBB2_6865
; %bb.6864:                             ;   in Loop: Header=BB2_6708 Depth=3
	s_bcnt1_i32_b32 s22, s22
	v_mov_b32_e32 v10, v2
	v_mov_b32_e32 v9, s22
	s_waitcnt vmcnt(0) lgkmcnt(0)
	s_waitcnt_vscnt null, 0x0
	ds_add_u64 v0, v[9:10]
	s_trap 2
.LBB2_6865:                             ;   in Loop: Header=BB2_6708 Depth=3
	s_or_b32 exec_lo, exec_lo, s19
	s_trap 2
	ds_read_b64 v[9:10], v0
	s_waitcnt vmcnt(0) lgkmcnt(0)
	buffer_gl0_inv
	v_add_co_u32 v12, vcc_lo, v12, v83
	v_add_co_ci_u32_e64 v13, null, 0, v13, vcc_lo
	s_mov_b32 s19, exec_lo
	v_cmpx_lt_u64_e64 v[9:10], v[12:13]
	s_cbranch_execz .LBB2_6874
; %bb.6866:                             ;   in Loop: Header=BB2_6708 Depth=3
	s_mov_b32 s22, 0
	s_mov_b32 s74, 0
                                        ; implicit-def: $sgpr23
                                        ; implicit-def: $sgpr73
	s_inst_prefetch 0x1
	s_branch .LBB2_6868
	.p2align	6
.LBB2_6867:                             ;   in Loop: Header=BB2_6868 Depth=4
	s_or_b32 exec_lo, exec_lo, s76
	s_and_b32 s75, exec_lo, s77
	s_or_b32 s22, s75, s22
	s_andn2_b32 s23, s23, exec_lo
	s_and_b32 s75, s73, exec_lo
	s_or_b32 s23, s23, s75
	s_andn2_b32 exec_lo, exec_lo, s22
	s_cbranch_execz .LBB2_6872
.LBB2_6868:                             ;   Parent Loop BB2_47 Depth=1
                                        ;     Parent Loop BB2_6705 Depth=2
                                        ;       Parent Loop BB2_6708 Depth=3
                                        ; =>      This Inner Loop Header: Depth=4
	s_add_i32 s74, s74, 1
	s_cmpk_lg_i32 s74, 0x2710
	s_cselect_b32 s75, -1, 0
	s_and_b32 vcc_lo, exec_lo, s75
	s_cbranch_vccz .LBB2_6870
; %bb.6869:                             ;   in Loop: Header=BB2_6868 Depth=4
	s_mov_b32 s77, -1
	s_or_b32 s73, s73, exec_lo
	s_and_saveexec_b32 s76, s75
	s_cbranch_execz .LBB2_6867
	s_branch .LBB2_6871
	.p2align	6
.LBB2_6870:                             ;   in Loop: Header=BB2_6868 Depth=4
	s_trap 2
	ds_read_b64 v[9:10], v0
	s_andn2_b32 s75, s75, exec_lo
	s_mov_b32 s74, 0
	s_waitcnt lgkmcnt(0)
	s_waitcnt_vscnt null, 0x0
	flat_load_dword v9, v[9:10] glc dlc
	s_waitcnt vmcnt(0) lgkmcnt(0)
	buffer_gl1_inv
	buffer_gl0_inv
	v_cmp_eq_u32_e32 vcc_lo, 0, v9
	s_and_b32 s76, vcc_lo, exec_lo
	s_or_b32 s75, s75, s76
	s_mov_b32 s77, -1
	s_or_b32 s73, s73, exec_lo
	s_and_saveexec_b32 s76, s75
	s_cbranch_execz .LBB2_6867
.LBB2_6871:                             ;   in Loop: Header=BB2_6868 Depth=4
	s_sleep 1
	s_trap 2
	ds_read_b64 v[9:10], v0
	s_waitcnt lgkmcnt(0)
	buffer_gl0_inv
	s_andn2_b32 s73, s73, exec_lo
	v_cmp_ge_u64_e32 vcc_lo, v[9:10], v[12:13]
	s_orn2_b32 s77, vcc_lo, exec_lo
	s_branch .LBB2_6867
.LBB2_6872:                             ;   in Loop: Header=BB2_6708 Depth=3
	s_inst_prefetch 0x2
	s_or_b32 exec_lo, exec_lo, s22
	s_and_saveexec_b32 s22, s23
	s_xor_b32 s22, exec_lo, s22
	s_cbranch_execz .LBB2_6874
; %bb.6873:                             ;   in Loop: Header=BB2_6708 Depth=3
	ds_write_b32 v0, v96
	s_trap 2
.LBB2_6874:                             ;   in Loop: Header=BB2_6708 Depth=3
	s_or_b32 exec_lo, exec_lo, s19
	;;#ASMSTART
	s_wakeup
	;;#ASMEND
.LBB2_6875:                             ;   in Loop: Header=BB2_6708 Depth=3
	s_or_b32 exec_lo, exec_lo, s18
.LBB2_6876:                             ;   in Loop: Header=BB2_6708 Depth=3
	s_andn2_saveexec_b32 s17, s17
	s_cbranch_execz .LBB2_6878
; %bb.6877:                             ;   in Loop: Header=BB2_6708 Depth=3
	;;#ASMSTART
	s_waitcnt lgkmcnt(0) vmcnt(0)
	;;#ASMEND
	s_barrier
.LBB2_6878:                             ;   in Loop: Header=BB2_6708 Depth=3
	s_or_b32 exec_lo, exec_lo, s17
.LBB2_6879:                             ;   in Loop: Header=BB2_6708 Depth=3
	s_or_b32 exec_lo, exec_lo, s16
	v_cmp_ne_u32_e32 vcc_lo, 0, v8
	s_xor_b32 s16, s7, -1
	s_and_b32 s17, vcc_lo, s16
	s_and_saveexec_b32 s16, s17
	s_cbranch_execz .LBB2_6881
; %bb.6880:                             ;   in Loop: Header=BB2_6708 Depth=3
	s_waitcnt vmcnt(0) lgkmcnt(0)
	s_waitcnt_vscnt null, 0x0
	flat_store_dword v[24:25], v96
.LBB2_6881:                             ;   in Loop: Header=BB2_6708 Depth=3
	s_or_b32 exec_lo, exec_lo, s16
	v_and_b32_e32 v8, 48, v81
	s_mov_b32 s16, exec_lo
	v_cmpx_ne_u32_e32 0, v8
	s_cbranch_execz .LBB2_6707
; %bb.6882:                             ;   in Loop: Header=BB2_6708 Depth=3
	v_add_co_u32 v38, vcc_lo, v38, 2
	v_add_co_ci_u32_e64 v39, null, 0, v39, vcc_lo
	s_waitcnt vmcnt(0) lgkmcnt(0)
	s_waitcnt_vscnt null, 0x0
	flat_store_dwordx2 v[20:21], v[38:39]
	s_branch .LBB2_6707
.LBB2_6883:                             ;   in Loop: Header=BB2_6705 Depth=2
	s_or_b32 exec_lo, exec_lo, s62
.LBB2_6884:                             ;   in Loop: Header=BB2_6705 Depth=2
	s_or_b32 exec_lo, exec_lo, s61
	s_mov_b32 s17, exec_lo
	v_cmpx_gt_i32_e32 2, v10
	s_cbranch_execz .LBB2_6960
; %bb.6885:                             ;   in Loop: Header=BB2_6705 Depth=2
	v_cmp_eq_u32_e64 s19, 0, v10
	s_mov_b32 s18, 0
	s_branch .LBB2_6887
.LBB2_6886:                             ;   in Loop: Header=BB2_6887 Depth=3
	s_or_b32 exec_lo, exec_lo, s16
	v_add_nc_u32_e32 v55, v50, v55
	s_mov_b32 s19, 0
	s_andn2_b32 exec_lo, exec_lo, s18
	s_cbranch_execz .LBB2_6959
.LBB2_6887:                             ;   Parent Loop BB2_47 Depth=1
                                        ;     Parent Loop BB2_6705 Depth=2
                                        ; =>    This Loop Header: Depth=3
                                        ;         Child Loop BB2_6893 Depth 4
                                        ;         Child Loop BB2_6921 Depth 4
	;; [unrolled: 1-line block ×3, first 2 shown]
	v_sub_nc_u32_e32 v8, v3, v55
	v_and_b32_e32 v9, 12, v81
	s_mov_b32 s22, exec_lo
	v_min_i32_e32 v50, v50, v8
	v_cmpx_ne_u32_e32 0, v9
	s_cbranch_execz .LBB2_6913
; %bb.6888:                             ;   in Loop: Header=BB2_6887 Depth=3
	v_and_b32_e32 v53, 8, v81
	s_mov_b32 s23, exec_lo
	s_waitcnt vmcnt(0) lgkmcnt(1)
	v_add_co_u32 v10, vcc_lo, v26, v53
	v_add_co_ci_u32_e64 v11, null, 0, v27, vcc_lo
	v_add_co_u32 v8, vcc_lo, v38, 2
	v_add_co_ci_u32_e64 v9, null, 0, v39, vcc_lo
	v_cmpx_lt_u64_e64 v[10:11], v[8:9]
	s_cbranch_execz .LBB2_6900
; %bb.6889:                             ;   in Loop: Header=BB2_6887 Depth=3
	v_and_b32_e32 v10, 64, v81
	s_mov_b32 s61, 0
	s_mov_b32 s73, 0
                                        ; implicit-def: $sgpr62
                                        ; implicit-def: $sgpr63
                                        ; implicit-def: $sgpr72
	v_cmp_eq_u32_e32 vcc_lo, 0, v10
	s_branch .LBB2_6893
.LBB2_6890:                             ;   in Loop: Header=BB2_6893 Depth=4
	s_waitcnt vmcnt(0) lgkmcnt(0)
	v_add_co_u32 v51, s16, v26, v53
	v_add_co_ci_u32_e64 v52, null, 0, v27, s16
	s_or_b32 s76, s76, exec_lo
	v_cmp_ge_u64_e64 s16, v[51:52], v[8:9]
	s_orn2_b32 s75, s16, exec_lo
.LBB2_6891:                             ;   in Loop: Header=BB2_6893 Depth=4
	s_or_b32 exec_lo, exec_lo, s78
	s_andn2_b32 s16, s72, exec_lo
	s_and_b32 s72, s76, exec_lo
	s_andn2_b32 s63, s63, exec_lo
	s_and_b32 s75, s75, exec_lo
	s_or_b32 s72, s16, s72
	s_or_b32 s63, s63, s75
.LBB2_6892:                             ;   in Loop: Header=BB2_6893 Depth=4
	s_or_b32 exec_lo, exec_lo, s74
	s_and_b32 s16, exec_lo, s63
	s_or_b32 s61, s16, s61
	s_andn2_b32 s16, s62, exec_lo
	s_and_b32 s62, s72, exec_lo
	s_or_b32 s62, s16, s62
	s_andn2_b32 exec_lo, exec_lo, s61
	s_cbranch_execz .LBB2_6897
.LBB2_6893:                             ;   Parent Loop BB2_47 Depth=1
                                        ;     Parent Loop BB2_6705 Depth=2
                                        ;       Parent Loop BB2_6887 Depth=3
                                        ; =>      This Inner Loop Header: Depth=4
	s_sleep 1
	s_waitcnt vmcnt(0) lgkmcnt(0)
	flat_load_dwordx2 v[26:27], v[20:21] glc dlc
	s_or_b32 s72, s72, exec_lo
	s_or_b32 s63, s63, exec_lo
                                        ; implicit-def: $vgpr10
	s_and_saveexec_b32 s74, vcc_lo
	s_cbranch_execz .LBB2_6892
; %bb.6894:                             ;   in Loop: Header=BB2_6893 Depth=4
	s_cmpk_lt_i32 s73, 0x270f
	s_mov_b32 s75, -1
	s_cselect_b32 s77, -1, 0
	s_cmpk_gt_i32 s73, 0x270e
	s_cbranch_scc0 .LBB2_6896
; %bb.6895:                             ;   in Loop: Header=BB2_6893 Depth=4
	s_trap 2
	ds_read_b64 v[10:11], v0
	s_andn2_b32 s73, s77, exec_lo
	s_mov_b32 s76, 0
	s_waitcnt vmcnt(0) lgkmcnt(0)
	s_waitcnt_vscnt null, 0x0
	flat_load_dword v10, v[10:11] glc dlc
	s_waitcnt vmcnt(0) lgkmcnt(0)
	buffer_gl1_inv
	buffer_gl0_inv
	v_cmp_eq_u32_e64 s16, 0, v10
	s_and_b32 s16, s16, exec_lo
	s_or_b32 s77, s73, s16
	s_mov_b32 s73, 0
	s_and_saveexec_b32 s78, s77
	s_cbranch_execz .LBB2_6891
	s_branch .LBB2_6890
.LBB2_6896:                             ;   in Loop: Header=BB2_6893 Depth=4
	s_add_i32 s73, s73, 1
	s_mov_b32 s76, -1
                                        ; implicit-def: $vgpr10
	s_and_saveexec_b32 s78, s77
	s_cbranch_execz .LBB2_6891
	s_branch .LBB2_6890
.LBB2_6897:                             ;   in Loop: Header=BB2_6887 Depth=3
	s_or_b32 exec_lo, exec_lo, s61
	s_xor_b32 s16, s62, -1
	s_and_saveexec_b32 s61, s16
	s_xor_b32 s16, exec_lo, s61
	s_cbranch_execz .LBB2_6899
; %bb.6898:                             ;   in Loop: Header=BB2_6887 Depth=3
	v_or_b32_e32 v81, 64, v81
	s_waitcnt vmcnt(0) lgkmcnt(0)
	s_waitcnt_vscnt null, 0x0
	ds_write_b32 v0, v10
	s_trap 2
.LBB2_6899:                             ;   in Loop: Header=BB2_6887 Depth=3
	s_or_b32 exec_lo, exec_lo, s16
.LBB2_6900:                             ;   in Loop: Header=BB2_6887 Depth=3
	s_or_b32 exec_lo, exec_lo, s23
	v_and_b32_e32 v10, 0x108, v81
	;;#ASMSTART
	s_wakeup
	;;#ASMEND
	v_cmp_ne_u32_e32 vcc_lo, 0x108, v10
                                        ; implicit-def: $vgpr10_vgpr11
	s_and_saveexec_b32 s16, vcc_lo
	s_xor_b32 s16, exec_lo, s16
; %bb.6901:                             ;   in Loop: Header=BB2_6887 Depth=3
	v_and_b32_e32 v10, 7, v38
	v_mov_b32_e32 v11, v2
                                        ; implicit-def: $vgpr38_vgpr39
; %bb.6902:                             ;   in Loop: Header=BB2_6887 Depth=3
	s_andn2_saveexec_b32 s16, s16
	s_cbranch_execz .LBB2_6904
; %bb.6903:                             ;   in Loop: Header=BB2_6887 Depth=3
	v_and_b32_e32 v10, 7, v38
	v_ashrrev_i32_e32 v51, 31, v50
	v_mov_b32_e32 v11, v2
	v_mad_u64_u32 v[38:39], null, v10, 24, v[6:7]
	flat_store_dwordx2 v[38:39], v[50:51] offset:8
.LBB2_6904:                             ;   in Loop: Header=BB2_6887 Depth=3
	s_or_b32 exec_lo, exec_lo, s16
	v_and_b32_e32 v38, 0x100, v81
	s_mov_b32 s16, -1
	v_cmp_ne_u32_e32 vcc_lo, 0, v38
                                        ; implicit-def: $vgpr38_vgpr39
	s_and_saveexec_b32 s23, vcc_lo
	s_cbranch_execz .LBB2_6908
; %bb.6905:                             ;   in Loop: Header=BB2_6887 Depth=3
	v_mad_u64_u32 v[51:52], null, v10, 24, v[6:7]
	v_mov_b32_e32 v38, v52
	v_mad_u64_u32 v[38:39], null, v11, 24, v[38:39]
	v_mov_b32_e32 v52, v38
	flat_load_dword v38, v[51:52]
	s_waitcnt vmcnt(0) lgkmcnt(0)
	v_cmp_eq_u32_e64 s16, 1, v38
	v_cmp_ne_u32_e32 vcc_lo, 1, v38
                                        ; implicit-def: $vgpr38_vgpr39
	s_and_saveexec_b32 s61, s16
	s_cbranch_execz .LBB2_6907
; %bb.6906:                             ;   in Loop: Header=BB2_6887 Depth=3
	flat_load_dword v38, v[51:52] offset:4 glc dlc
	s_waitcnt vmcnt(0) lgkmcnt(0)
	v_ashrrev_i32_e32 v39, 31, v38
.LBB2_6907:                             ;   in Loop: Header=BB2_6887 Depth=3
	s_or_b32 exec_lo, exec_lo, s61
	s_orn2_b32 s16, vcc_lo, exec_lo
.LBB2_6908:                             ;   in Loop: Header=BB2_6887 Depth=3
	s_or_b32 exec_lo, exec_lo, s23
	s_and_saveexec_b32 s23, s16
; %bb.6909:                             ;   in Loop: Header=BB2_6887 Depth=3
	v_mul_lo_u32 v11, v11, v82
	v_mul_lo_u32 v51, v10, v30
	v_mad_u64_u32 v[38:39], null, v10, v82, 0
	v_add3_u32 v39, v39, v51, v11
; %bb.6910:                             ;   in Loop: Header=BB2_6887 Depth=3
	s_or_b32 exec_lo, exec_lo, s23
	v_cmp_eq_u32_e32 vcc_lo, 0, v53
	v_and_b32_e32 v52, 0x2000, v81
	s_mov_b32 s16, exec_lo
	v_cndmask_b32_e32 v51, 0xd0, v112, vcc_lo
	v_add_co_u32 v10, vcc_lo, v22, v38
	v_add_co_ci_u32_e64 v11, null, v23, v39, vcc_lo
	v_add_nc_u32_e32 v38, v0, v51
	ds_write_b64 v38, v[10:11] offset:584
	v_cmpx_ne_u32_e32 0, v52
	s_cbranch_execz .LBB2_6912
; %bb.6911:                             ;   in Loop: Header=BB2_6887 Depth=3
	ds_read_b64 v[10:11], v0 offset:872
	s_waitcnt lgkmcnt(0)
	v_add_co_u32 v10, vcc_lo, v10, 1
	v_add_co_ci_u32_e64 v11, null, 0, v11, vcc_lo
	ds_write_b64 v0, v[10:11] offset:872
.LBB2_6912:                             ;   in Loop: Header=BB2_6887 Depth=3
	s_or_b32 exec_lo, exec_lo, s16
	v_mov_b32_e32 v39, v9
	v_mov_b32_e32 v38, v8
.LBB2_6913:                             ;   in Loop: Header=BB2_6887 Depth=3
	s_or_b32 exec_lo, exec_lo, s22
	s_xor_b32 s16, s19, -1
	s_and_b32 s16, exec_lo, s16
	s_or_b32 s18, s16, s18
	s_and_saveexec_b32 s16, s6
	s_cbranch_execz .LBB2_6932
; %bb.6914:                             ;   in Loop: Header=BB2_6887 Depth=3
	s_and_saveexec_b32 s19, s29
	s_xor_b32 s19, exec_lo, s19
	s_cbranch_execz .LBB2_6929
; %bb.6915:                             ;   in Loop: Header=BB2_6887 Depth=3
	s_and_saveexec_b32 s22, s11
	s_cbranch_execz .LBB2_6928
; %bb.6916:                             ;   in Loop: Header=BB2_6887 Depth=3
	s_mov_b32 s61, exec_lo
	s_mov_b32 s23, exec_lo
	v_mbcnt_lo_u32_b32 v8, s61, 0
	s_waitcnt vmcnt(0) lgkmcnt(0)
	s_waitcnt_vscnt null, 0x0
	buffer_gl1_inv
	buffer_gl0_inv
	v_cmpx_eq_u32_e32 0, v8
	s_cbranch_execz .LBB2_6918
; %bb.6917:                             ;   in Loop: Header=BB2_6887 Depth=3
	s_bcnt1_i32_b32 s61, s61
	v_mov_b32_e32 v9, v2
	v_mov_b32_e32 v8, s61
	ds_add_u64 v0, v[8:9]
	s_trap 2
.LBB2_6918:                             ;   in Loop: Header=BB2_6887 Depth=3
	s_or_b32 exec_lo, exec_lo, s23
	s_trap 2
	ds_read_b64 v[8:9], v0
	s_waitcnt lgkmcnt(0)
	buffer_gl0_inv
	v_add_co_u32 v12, vcc_lo, v12, v83
	v_add_co_ci_u32_e64 v13, null, 0, v13, vcc_lo
	s_mov_b32 s23, exec_lo
	v_cmpx_lt_u64_e64 v[8:9], v[12:13]
	s_cbranch_execz .LBB2_6927
; %bb.6919:                             ;   in Loop: Header=BB2_6887 Depth=3
	s_mov_b32 s61, 0
	s_mov_b32 s72, 0
                                        ; implicit-def: $sgpr62
                                        ; implicit-def: $sgpr63
	s_inst_prefetch 0x1
	s_branch .LBB2_6921
	.p2align	6
.LBB2_6920:                             ;   in Loop: Header=BB2_6921 Depth=4
	s_or_b32 exec_lo, exec_lo, s74
	s_and_b32 s73, exec_lo, s75
	s_or_b32 s61, s73, s61
	s_andn2_b32 s62, s62, exec_lo
	s_and_b32 s73, s63, exec_lo
	s_or_b32 s62, s62, s73
	s_andn2_b32 exec_lo, exec_lo, s61
	s_cbranch_execz .LBB2_6925
.LBB2_6921:                             ;   Parent Loop BB2_47 Depth=1
                                        ;     Parent Loop BB2_6705 Depth=2
                                        ;       Parent Loop BB2_6887 Depth=3
                                        ; =>      This Inner Loop Header: Depth=4
	s_add_i32 s72, s72, 1
	s_cmpk_lg_i32 s72, 0x2710
	s_cselect_b32 s73, -1, 0
	s_and_b32 vcc_lo, exec_lo, s73
	s_cbranch_vccz .LBB2_6923
; %bb.6922:                             ;   in Loop: Header=BB2_6921 Depth=4
	s_mov_b32 s75, -1
	s_or_b32 s63, s63, exec_lo
	s_and_saveexec_b32 s74, s73
	s_cbranch_execz .LBB2_6920
	s_branch .LBB2_6924
	.p2align	6
.LBB2_6923:                             ;   in Loop: Header=BB2_6921 Depth=4
	s_trap 2
	ds_read_b64 v[8:9], v0
	s_andn2_b32 s73, s73, exec_lo
	s_mov_b32 s72, 0
	s_waitcnt lgkmcnt(0)
	flat_load_dword v8, v[8:9] glc dlc
	s_waitcnt vmcnt(0) lgkmcnt(0)
	buffer_gl1_inv
	buffer_gl0_inv
	v_cmp_eq_u32_e32 vcc_lo, 0, v8
	s_and_b32 s74, vcc_lo, exec_lo
	s_or_b32 s73, s73, s74
	s_mov_b32 s75, -1
	s_or_b32 s63, s63, exec_lo
	s_and_saveexec_b32 s74, s73
	s_cbranch_execz .LBB2_6920
.LBB2_6924:                             ;   in Loop: Header=BB2_6921 Depth=4
	s_sleep 1
	s_trap 2
	ds_read_b64 v[8:9], v0
	s_waitcnt lgkmcnt(0)
	buffer_gl0_inv
	s_andn2_b32 s63, s63, exec_lo
	v_cmp_ge_u64_e32 vcc_lo, v[8:9], v[12:13]
	s_orn2_b32 s75, vcc_lo, exec_lo
	s_branch .LBB2_6920
.LBB2_6925:                             ;   in Loop: Header=BB2_6887 Depth=3
	s_inst_prefetch 0x2
	s_or_b32 exec_lo, exec_lo, s61
	s_and_saveexec_b32 s61, s62
	s_xor_b32 s61, exec_lo, s61
	s_cbranch_execz .LBB2_6927
; %bb.6926:                             ;   in Loop: Header=BB2_6887 Depth=3
	ds_write_b32 v0, v96
	s_trap 2
.LBB2_6927:                             ;   in Loop: Header=BB2_6887 Depth=3
	s_or_b32 exec_lo, exec_lo, s23
	;;#ASMSTART
	s_wakeup
	;;#ASMEND
.LBB2_6928:                             ;   in Loop: Header=BB2_6887 Depth=3
	s_or_b32 exec_lo, exec_lo, s22
.LBB2_6929:                             ;   in Loop: Header=BB2_6887 Depth=3
	s_andn2_saveexec_b32 s19, s19
	s_cbranch_execz .LBB2_6931
; %bb.6930:                             ;   in Loop: Header=BB2_6887 Depth=3
	s_waitcnt vmcnt(0) lgkmcnt(0)
	s_waitcnt_vscnt null, 0x0
	buffer_gl1_inv
	buffer_gl0_inv
	s_barrier
.LBB2_6931:                             ;   in Loop: Header=BB2_6887 Depth=3
	s_or_b32 exec_lo, exec_lo, s19
.LBB2_6932:                             ;   in Loop: Header=BB2_6887 Depth=3
	s_or_b32 exec_lo, exec_lo, s16
	v_and_b32_e32 v8, 16, v81
	s_and_saveexec_b32 s16, s15
	s_xor_b32 s19, exec_lo, s16
	s_cbranch_execz .LBB2_6936
; %bb.6933:                             ;   in Loop: Header=BB2_6887 Depth=3
	s_trap 2
	ds_read_b32 v8, v0
	v_cmp_lt_i32_e32 vcc_lo, 0, v50
	s_waitcnt lgkmcnt(0)
	v_readfirstlane_b32 s16, v8
	v_and_b32_e32 v8, 16, v81
	s_cmp_eq_u32 s16, 0
	v_cmp_ne_u32_e64 s16, 0, v8
	s_cselect_b32 s22, -1, 0
	v_and_b32_e32 v8, 16, v81
	s_and_b32 s22, vcc_lo, s22
	s_and_b32 s22, s16, s22
	s_and_saveexec_b32 s16, s22
	s_cbranch_execz .LBB2_6935
; %bb.6934:                             ;   in Loop: Header=BB2_6887 Depth=3
	v_mov_b32_e32 v8, 1
	s_waitcnt vmcnt(0)
	s_waitcnt_vscnt null, 0x0
	buffer_gl1_inv
	buffer_gl0_inv
.LBB2_6935:                             ;   in Loop: Header=BB2_6887 Depth=3
	s_or_b32 exec_lo, exec_lo, s16
.LBB2_6936:                             ;   in Loop: Header=BB2_6887 Depth=3
	s_andn2_saveexec_b32 s16, s19
	s_cbranch_execz .LBB2_6955
; %bb.6937:                             ;   in Loop: Header=BB2_6887 Depth=3
	s_and_saveexec_b32 s19, s29
	s_xor_b32 s19, exec_lo, s19
	s_cbranch_execz .LBB2_6952
; %bb.6938:                             ;   in Loop: Header=BB2_6887 Depth=3
	s_and_saveexec_b32 s22, s11
	s_cbranch_execz .LBB2_6951
; %bb.6939:                             ;   in Loop: Header=BB2_6887 Depth=3
	s_mov_b32 s61, exec_lo
	s_mov_b32 s23, exec_lo
	v_mbcnt_lo_u32_b32 v9, s61, 0
	;;#ASMSTART
	s_waitcnt lgkmcnt(0) vmcnt(0)
	;;#ASMEND
	v_cmpx_eq_u32_e32 0, v9
	s_cbranch_execz .LBB2_6941
; %bb.6940:                             ;   in Loop: Header=BB2_6887 Depth=3
	s_bcnt1_i32_b32 s61, s61
	v_mov_b32_e32 v10, v2
	v_mov_b32_e32 v9, s61
	s_waitcnt vmcnt(0) lgkmcnt(0)
	s_waitcnt_vscnt null, 0x0
	ds_add_u64 v0, v[9:10]
	s_trap 2
.LBB2_6941:                             ;   in Loop: Header=BB2_6887 Depth=3
	s_or_b32 exec_lo, exec_lo, s23
	s_trap 2
	ds_read_b64 v[9:10], v0
	s_waitcnt vmcnt(0) lgkmcnt(0)
	buffer_gl0_inv
	v_add_co_u32 v12, vcc_lo, v12, v83
	v_add_co_ci_u32_e64 v13, null, 0, v13, vcc_lo
	s_mov_b32 s23, exec_lo
	v_cmpx_lt_u64_e64 v[9:10], v[12:13]
	s_cbranch_execz .LBB2_6950
; %bb.6942:                             ;   in Loop: Header=BB2_6887 Depth=3
	s_mov_b32 s61, 0
	s_mov_b32 s72, 0
                                        ; implicit-def: $sgpr62
                                        ; implicit-def: $sgpr63
	s_inst_prefetch 0x1
	s_branch .LBB2_6944
	.p2align	6
.LBB2_6943:                             ;   in Loop: Header=BB2_6944 Depth=4
	s_or_b32 exec_lo, exec_lo, s74
	s_and_b32 s73, exec_lo, s75
	s_or_b32 s61, s73, s61
	s_andn2_b32 s62, s62, exec_lo
	s_and_b32 s73, s63, exec_lo
	s_or_b32 s62, s62, s73
	s_andn2_b32 exec_lo, exec_lo, s61
	s_cbranch_execz .LBB2_6948
.LBB2_6944:                             ;   Parent Loop BB2_47 Depth=1
                                        ;     Parent Loop BB2_6705 Depth=2
                                        ;       Parent Loop BB2_6887 Depth=3
                                        ; =>      This Inner Loop Header: Depth=4
	s_add_i32 s72, s72, 1
	s_cmpk_lg_i32 s72, 0x2710
	s_cselect_b32 s73, -1, 0
	s_and_b32 vcc_lo, exec_lo, s73
	s_cbranch_vccz .LBB2_6946
; %bb.6945:                             ;   in Loop: Header=BB2_6944 Depth=4
	s_mov_b32 s75, -1
	s_or_b32 s63, s63, exec_lo
	s_and_saveexec_b32 s74, s73
	s_cbranch_execz .LBB2_6943
	s_branch .LBB2_6947
	.p2align	6
.LBB2_6946:                             ;   in Loop: Header=BB2_6944 Depth=4
	s_trap 2
	ds_read_b64 v[9:10], v0
	s_andn2_b32 s73, s73, exec_lo
	s_mov_b32 s72, 0
	s_waitcnt lgkmcnt(0)
	s_waitcnt_vscnt null, 0x0
	flat_load_dword v9, v[9:10] glc dlc
	s_waitcnt vmcnt(0) lgkmcnt(0)
	buffer_gl1_inv
	buffer_gl0_inv
	v_cmp_eq_u32_e32 vcc_lo, 0, v9
	s_and_b32 s74, vcc_lo, exec_lo
	s_or_b32 s73, s73, s74
	s_mov_b32 s75, -1
	s_or_b32 s63, s63, exec_lo
	s_and_saveexec_b32 s74, s73
	s_cbranch_execz .LBB2_6943
.LBB2_6947:                             ;   in Loop: Header=BB2_6944 Depth=4
	s_sleep 1
	s_trap 2
	ds_read_b64 v[9:10], v0
	s_waitcnt lgkmcnt(0)
	buffer_gl0_inv
	s_andn2_b32 s63, s63, exec_lo
	v_cmp_ge_u64_e32 vcc_lo, v[9:10], v[12:13]
	s_orn2_b32 s75, vcc_lo, exec_lo
	s_branch .LBB2_6943
.LBB2_6948:                             ;   in Loop: Header=BB2_6887 Depth=3
	s_inst_prefetch 0x2
	s_or_b32 exec_lo, exec_lo, s61
	s_and_saveexec_b32 s61, s62
	s_xor_b32 s61, exec_lo, s61
	s_cbranch_execz .LBB2_6950
; %bb.6949:                             ;   in Loop: Header=BB2_6887 Depth=3
	ds_write_b32 v0, v96
	s_trap 2
.LBB2_6950:                             ;   in Loop: Header=BB2_6887 Depth=3
	s_or_b32 exec_lo, exec_lo, s23
	;;#ASMSTART
	s_wakeup
	;;#ASMEND
.LBB2_6951:                             ;   in Loop: Header=BB2_6887 Depth=3
	s_or_b32 exec_lo, exec_lo, s22
.LBB2_6952:                             ;   in Loop: Header=BB2_6887 Depth=3
	s_andn2_saveexec_b32 s19, s19
	s_cbranch_execz .LBB2_6954
; %bb.6953:                             ;   in Loop: Header=BB2_6887 Depth=3
	;;#ASMSTART
	s_waitcnt lgkmcnt(0) vmcnt(0)
	;;#ASMEND
	s_barrier
.LBB2_6954:                             ;   in Loop: Header=BB2_6887 Depth=3
	s_or_b32 exec_lo, exec_lo, s19
.LBB2_6955:                             ;   in Loop: Header=BB2_6887 Depth=3
	s_or_b32 exec_lo, exec_lo, s16
	v_cmp_ne_u32_e32 vcc_lo, 0, v8
	s_xor_b32 s16, s7, -1
	s_and_b32 s19, vcc_lo, s16
	s_and_saveexec_b32 s16, s19
	s_cbranch_execz .LBB2_6957
; %bb.6956:                             ;   in Loop: Header=BB2_6887 Depth=3
	s_waitcnt vmcnt(0) lgkmcnt(0)
	s_waitcnt_vscnt null, 0x0
	flat_store_dword v[24:25], v96
.LBB2_6957:                             ;   in Loop: Header=BB2_6887 Depth=3
	s_or_b32 exec_lo, exec_lo, s16
	v_and_b32_e32 v8, 48, v81
	s_mov_b32 s16, exec_lo
	v_cmpx_ne_u32_e32 0, v8
	s_cbranch_execz .LBB2_6886
; %bb.6958:                             ;   in Loop: Header=BB2_6887 Depth=3
	v_add_co_u32 v38, vcc_lo, v38, 2
	v_add_co_ci_u32_e64 v39, null, 0, v39, vcc_lo
	s_waitcnt vmcnt(0) lgkmcnt(0)
	s_waitcnt_vscnt null, 0x0
	flat_store_dwordx2 v[20:21], v[38:39]
	s_branch .LBB2_6886
.LBB2_6959:                             ;   in Loop: Header=BB2_6705 Depth=2
	s_or_b32 exec_lo, exec_lo, s18
.LBB2_6960:                             ;   in Loop: Header=BB2_6705 Depth=2
	s_or_b32 exec_lo, exec_lo, s17
	s_add_i32 s16, s21, 1
	s_cmp_eq_u32 s21, s56
	s_cbranch_scc1 .LBB2_6962
; %bb.6961:                             ;   in Loop: Header=BB2_6705 Depth=2
	s_mov_b32 s21, s16
	s_branch .LBB2_6705
.LBB2_6962:                             ;   in Loop: Header=BB2_47 Depth=1
	v_mul_lo_u32 v3, v37, s58
	v_mul_lo_u32 v10, v36, s59
	v_mad_u64_u32 v[8:9], null, v36, s58, 0
	v_mov_b32_e32 v51, 0
	v_add3_u32 v9, v9, v10, v3
	v_sub_co_u32 v10, vcc_lo, v48, v8
	v_sub_co_ci_u32_e64 v11, null, v49, v9, vcc_lo
	v_cmp_lt_i64_e32 vcc_lo, v[36:37], v[10:11]
	v_cndmask_b32_e32 v11, v10, v36, vcc_lo
	v_max_i32_e32 v3, 0, v11
	v_cmp_lt_i32_e32 vcc_lo, 0, v11
	v_add_nc_u32_e32 v10, 31, v3
	s_and_b32 s16, s57, vcc_lo
	v_lshrrev_b32_e32 v10, 1, v10
	v_and_b32_e32 v48, 0x3ffffff0, v10
	v_mov_b32_e32 v10, 0
	v_max_i32_e32 v50, s45, v48
	s_and_saveexec_b32 s18, s16
	s_cbranch_execz .LBB2_7100
; %bb.6963:                             ;   in Loop: Header=BB2_47 Depth=1
	v_add_co_u32 v52, vcc_lo, v8, v44
	v_add_co_ci_u32_e64 v53, null, v9, v45, vcc_lo
	v_mov_b32_e32 v51, 0
	s_mov_b32 s22, 1
	s_mov_b32 s21, -1
	s_mov_b32 s19, 0
	s_branch .LBB2_6965
.LBB2_6964:                             ;   in Loop: Header=BB2_6965 Depth=2
	s_or_b32 exec_lo, exec_lo, s16
	v_add_nc_u32_e32 v51, v50, v51
	s_xor_b32 s16, s21, -1
	v_mov_b32_e32 v10, s22
	s_mov_b32 s21, 0
	s_mov_b32 s22, 2
	v_cmp_ge_i32_e32 vcc_lo, v51, v3
	s_or_b32 s16, s16, vcc_lo
	s_and_b32 s16, exec_lo, s16
	s_or_b32 s19, s16, s19
	s_andn2_b32 exec_lo, exec_lo, s19
	s_cbranch_execz .LBB2_7099
.LBB2_6965:                             ;   Parent Loop BB2_47 Depth=1
                                        ; =>  This Loop Header: Depth=2
                                        ;       Child Loop BB2_6973 Depth 3
                                        ;       Child Loop BB2_6997 Depth 3
	;; [unrolled: 1-line block ×9, first 2 shown]
	s_and_saveexec_b32 s17, s4
	s_cbranch_execz .LBB2_6967
; %bb.6966:                             ;   in Loop: Header=BB2_6965 Depth=2
	s_trap 2
	ds_read_b128 v[8:11], v0
	v_ashrrev_i32_e32 v48, 31, v51
	s_waitcnt lgkmcnt(0)
	v_add_co_u32 v49, vcc_lo, v10, v52
	v_add_co_ci_u32_e64 v54, null, v11, v53, vcc_lo
	v_add_co_u32 v8, vcc_lo, v8, v52
	v_add_co_ci_u32_e64 v9, null, v9, v53, vcc_lo
	;; [unrolled: 2-line block ×3, first 2 shown]
	v_cmp_ne_u64_e32 vcc_lo, 0, v[10:11]
	v_add_co_u32 v8, s16, v8, v51
	v_add_co_ci_u32_e64 v9, null, v9, v48, s16
	v_cndmask_b32_e32 v11, 0, v54, vcc_lo
	v_cndmask_b32_e32 v10, 0, v49, vcc_lo
	ds_write_b64 v0, v[8:9]
	ds_write_b64 v0, v[10:11]
.LBB2_6967:                             ;   in Loop: Header=BB2_6965 Depth=2
	s_or_b32 exec_lo, exec_lo, s17
	v_and_b32_e32 v8, 4, v81
	s_mov_b32 s17, exec_lo
	v_cmpx_ne_u32_e32 0, v8
	s_cbranch_execz .LBB2_6989
; %bb.6968:                             ;   in Loop: Header=BB2_6965 Depth=2
	v_add_co_u32 v8, vcc_lo, v38, 2
	v_add_co_ci_u32_e64 v9, null, 0, v39, vcc_lo
	s_mov_b32 s23, exec_lo
	s_waitcnt vmcnt(0) lgkmcnt(1)
	v_cmpx_lt_u64_e64 v[26:27], v[8:9]
	s_cbranch_execz .LBB2_6980
; %bb.6969:                             ;   in Loop: Header=BB2_6965 Depth=2
	v_and_b32_e32 v10, 64, v81
	s_mov_b32 s61, 0
	s_mov_b32 s73, 0
                                        ; implicit-def: $sgpr62
                                        ; implicit-def: $sgpr63
                                        ; implicit-def: $sgpr72
	v_cmp_eq_u32_e32 vcc_lo, 0, v10
	s_branch .LBB2_6973
.LBB2_6970:                             ;   in Loop: Header=BB2_6973 Depth=3
	s_waitcnt vmcnt(0) lgkmcnt(0)
	v_cmp_ge_u64_e64 s16, v[26:27], v[8:9]
	s_or_b32 s76, s76, exec_lo
	s_orn2_b32 s75, s16, exec_lo
.LBB2_6971:                             ;   in Loop: Header=BB2_6973 Depth=3
	s_or_b32 exec_lo, exec_lo, s78
	s_andn2_b32 s16, s72, exec_lo
	s_and_b32 s72, s76, exec_lo
	s_andn2_b32 s63, s63, exec_lo
	s_and_b32 s75, s75, exec_lo
	s_or_b32 s72, s16, s72
	s_or_b32 s63, s63, s75
.LBB2_6972:                             ;   in Loop: Header=BB2_6973 Depth=3
	s_or_b32 exec_lo, exec_lo, s74
	s_and_b32 s16, exec_lo, s63
	s_or_b32 s61, s16, s61
	s_andn2_b32 s16, s62, exec_lo
	s_and_b32 s62, s72, exec_lo
	s_or_b32 s62, s16, s62
	s_andn2_b32 exec_lo, exec_lo, s61
	s_cbranch_execz .LBB2_6977
.LBB2_6973:                             ;   Parent Loop BB2_47 Depth=1
                                        ;     Parent Loop BB2_6965 Depth=2
                                        ; =>    This Inner Loop Header: Depth=3
	s_sleep 1
	s_waitcnt vmcnt(0) lgkmcnt(0)
	flat_load_dwordx2 v[26:27], v[20:21] glc dlc
	s_or_b32 s72, s72, exec_lo
	s_or_b32 s63, s63, exec_lo
                                        ; implicit-def: $vgpr10
	s_and_saveexec_b32 s74, vcc_lo
	s_cbranch_execz .LBB2_6972
; %bb.6974:                             ;   in Loop: Header=BB2_6973 Depth=3
	s_cmpk_lt_i32 s73, 0x270f
	s_mov_b32 s75, -1
	s_cselect_b32 s77, -1, 0
	s_cmpk_gt_i32 s73, 0x270e
	s_cbranch_scc0 .LBB2_6976
; %bb.6975:                             ;   in Loop: Header=BB2_6973 Depth=3
	s_trap 2
	ds_read_b64 v[10:11], v0
	s_andn2_b32 s73, s77, exec_lo
	s_mov_b32 s76, 0
	s_waitcnt vmcnt(0) lgkmcnt(0)
	s_waitcnt_vscnt null, 0x0
	flat_load_dword v10, v[10:11] glc dlc
	s_waitcnt vmcnt(0) lgkmcnt(0)
	buffer_gl1_inv
	buffer_gl0_inv
	v_cmp_eq_u32_e64 s16, 0, v10
	s_and_b32 s16, s16, exec_lo
	s_or_b32 s77, s73, s16
	s_mov_b32 s73, 0
	s_and_saveexec_b32 s78, s77
	s_cbranch_execz .LBB2_6971
	s_branch .LBB2_6970
.LBB2_6976:                             ;   in Loop: Header=BB2_6973 Depth=3
	s_add_i32 s73, s73, 1
	s_mov_b32 s76, -1
                                        ; implicit-def: $vgpr10
	s_and_saveexec_b32 s78, s77
	s_cbranch_execz .LBB2_6971
	s_branch .LBB2_6970
.LBB2_6977:                             ;   in Loop: Header=BB2_6965 Depth=2
	s_or_b32 exec_lo, exec_lo, s61
	s_xor_b32 s16, s62, -1
	s_and_saveexec_b32 s61, s16
	s_xor_b32 s16, exec_lo, s61
	s_cbranch_execz .LBB2_6979
; %bb.6978:                             ;   in Loop: Header=BB2_6965 Depth=2
	v_or_b32_e32 v81, 64, v81
	s_waitcnt vmcnt(0) lgkmcnt(0)
	s_waitcnt_vscnt null, 0x0
	ds_write_b32 v0, v10
	s_trap 2
.LBB2_6979:                             ;   in Loop: Header=BB2_6965 Depth=2
	s_or_b32 exec_lo, exec_lo, s16
.LBB2_6980:                             ;   in Loop: Header=BB2_6965 Depth=2
	s_or_b32 exec_lo, exec_lo, s23
	v_and_b32_e32 v10, 0x100, v81
	v_and_b32_e32 v48, 7, v38
	s_mov_b32 s16, -1
	;;#ASMSTART
	s_wakeup
	;;#ASMEND
	v_cmp_ne_u32_e32 vcc_lo, 0, v10
                                        ; implicit-def: $vgpr10_vgpr11
	s_and_saveexec_b32 s23, vcc_lo
	s_cbranch_execz .LBB2_6984
; %bb.6981:                             ;   in Loop: Header=BB2_6965 Depth=2
	v_mad_u64_u32 v[38:39], null, v48, 24, v[6:7]
	flat_load_dword v10, v[38:39]
	s_waitcnt vmcnt(0) lgkmcnt(0)
	v_cmp_eq_u32_e64 s16, 1, v10
	v_cmp_ne_u32_e32 vcc_lo, 1, v10
                                        ; implicit-def: $vgpr10_vgpr11
	s_and_saveexec_b32 s61, s16
	s_cbranch_execz .LBB2_6983
; %bb.6982:                             ;   in Loop: Header=BB2_6965 Depth=2
	flat_load_dword v10, v[38:39] offset:4 glc dlc
	s_waitcnt vmcnt(0) lgkmcnt(0)
	v_ashrrev_i32_e32 v11, 31, v10
.LBB2_6983:                             ;   in Loop: Header=BB2_6965 Depth=2
	s_or_b32 exec_lo, exec_lo, s61
	s_orn2_b32 s16, vcc_lo, exec_lo
.LBB2_6984:                             ;   in Loop: Header=BB2_6965 Depth=2
	s_or_b32 exec_lo, exec_lo, s23
	s_and_saveexec_b32 s23, s16
; %bb.6985:                             ;   in Loop: Header=BB2_6965 Depth=2
	v_mad_i64_i32 v[10:11], null, v48, v82, 0
; %bb.6986:                             ;   in Loop: Header=BB2_6965 Depth=2
	s_or_b32 exec_lo, exec_lo, s23
	v_add_co_u32 v10, vcc_lo, v22, v10
	v_and_b32_e32 v38, 0x2000, v81
	v_add_co_ci_u32_e64 v11, null, v23, v11, vcc_lo
	s_mov_b32 s16, exec_lo
	ds_write_b64 v0, v[10:11] offset:720
	v_cmpx_ne_u32_e32 0, v38
	s_cbranch_execz .LBB2_6988
; %bb.6987:                             ;   in Loop: Header=BB2_6965 Depth=2
	ds_read_b64 v[10:11], v0 offset:872
	s_waitcnt lgkmcnt(0)
	v_add_co_u32 v10, vcc_lo, v10, 1
	v_add_co_ci_u32_e64 v11, null, 0, v11, vcc_lo
	ds_write_b64 v0, v[10:11] offset:872
.LBB2_6988:                             ;   in Loop: Header=BB2_6965 Depth=2
	s_or_b32 exec_lo, exec_lo, s16
	v_mov_b32_e32 v39, v9
	v_mov_b32_e32 v38, v8
.LBB2_6989:                             ;   in Loop: Header=BB2_6965 Depth=2
	s_or_b32 exec_lo, exec_lo, s17
	s_and_saveexec_b32 s16, s6
	s_cbranch_execz .LBB2_7008
; %bb.6990:                             ;   in Loop: Header=BB2_6965 Depth=2
	s_and_saveexec_b32 s17, s29
	s_xor_b32 s17, exec_lo, s17
	s_cbranch_execz .LBB2_7005
; %bb.6991:                             ;   in Loop: Header=BB2_6965 Depth=2
	s_and_saveexec_b32 s23, s11
	s_cbranch_execz .LBB2_7004
; %bb.6992:                             ;   in Loop: Header=BB2_6965 Depth=2
	s_mov_b32 s62, exec_lo
	s_mov_b32 s61, exec_lo
	v_mbcnt_lo_u32_b32 v8, s62, 0
	s_waitcnt vmcnt(0) lgkmcnt(0)
	s_waitcnt_vscnt null, 0x0
	buffer_gl1_inv
	buffer_gl0_inv
	v_cmpx_eq_u32_e32 0, v8
	s_cbranch_execz .LBB2_6994
; %bb.6993:                             ;   in Loop: Header=BB2_6965 Depth=2
	s_bcnt1_i32_b32 s62, s62
	v_mov_b32_e32 v9, v2
	v_mov_b32_e32 v8, s62
	ds_add_u64 v0, v[8:9]
	s_trap 2
.LBB2_6994:                             ;   in Loop: Header=BB2_6965 Depth=2
	s_or_b32 exec_lo, exec_lo, s61
	s_trap 2
	ds_read_b64 v[8:9], v0
	s_waitcnt lgkmcnt(0)
	buffer_gl0_inv
	v_add_co_u32 v12, vcc_lo, v12, v83
	v_add_co_ci_u32_e64 v13, null, 0, v13, vcc_lo
	s_mov_b32 s61, exec_lo
	v_cmpx_lt_u64_e64 v[8:9], v[12:13]
	s_cbranch_execz .LBB2_7003
; %bb.6995:                             ;   in Loop: Header=BB2_6965 Depth=2
	s_mov_b32 s62, 0
	s_mov_b32 s73, 0
                                        ; implicit-def: $sgpr63
                                        ; implicit-def: $sgpr72
	s_inst_prefetch 0x1
	s_branch .LBB2_6997
	.p2align	6
.LBB2_6996:                             ;   in Loop: Header=BB2_6997 Depth=3
	s_or_b32 exec_lo, exec_lo, s75
	s_and_b32 s74, exec_lo, s76
	s_or_b32 s62, s74, s62
	s_andn2_b32 s63, s63, exec_lo
	s_and_b32 s74, s72, exec_lo
	s_or_b32 s63, s63, s74
	s_andn2_b32 exec_lo, exec_lo, s62
	s_cbranch_execz .LBB2_7001
.LBB2_6997:                             ;   Parent Loop BB2_47 Depth=1
                                        ;     Parent Loop BB2_6965 Depth=2
                                        ; =>    This Inner Loop Header: Depth=3
	s_add_i32 s73, s73, 1
	s_cmpk_lg_i32 s73, 0x2710
	s_cselect_b32 s74, -1, 0
	s_and_b32 vcc_lo, exec_lo, s74
	s_cbranch_vccz .LBB2_6999
; %bb.6998:                             ;   in Loop: Header=BB2_6997 Depth=3
	s_mov_b32 s76, -1
	s_or_b32 s72, s72, exec_lo
	s_and_saveexec_b32 s75, s74
	s_cbranch_execz .LBB2_6996
	s_branch .LBB2_7000
	.p2align	6
.LBB2_6999:                             ;   in Loop: Header=BB2_6997 Depth=3
	s_trap 2
	ds_read_b64 v[8:9], v0
	s_andn2_b32 s74, s74, exec_lo
	s_mov_b32 s73, 0
	s_waitcnt lgkmcnt(0)
	flat_load_dword v8, v[8:9] glc dlc
	s_waitcnt vmcnt(0) lgkmcnt(0)
	buffer_gl1_inv
	buffer_gl0_inv
	v_cmp_eq_u32_e32 vcc_lo, 0, v8
	s_and_b32 s75, vcc_lo, exec_lo
	s_or_b32 s74, s74, s75
	s_mov_b32 s76, -1
	s_or_b32 s72, s72, exec_lo
	s_and_saveexec_b32 s75, s74
	s_cbranch_execz .LBB2_6996
.LBB2_7000:                             ;   in Loop: Header=BB2_6997 Depth=3
	s_sleep 1
	s_trap 2
	ds_read_b64 v[8:9], v0
	s_waitcnt lgkmcnt(0)
	buffer_gl0_inv
	s_andn2_b32 s72, s72, exec_lo
	v_cmp_ge_u64_e32 vcc_lo, v[8:9], v[12:13]
	s_orn2_b32 s76, vcc_lo, exec_lo
	s_branch .LBB2_6996
.LBB2_7001:                             ;   in Loop: Header=BB2_6965 Depth=2
	s_inst_prefetch 0x2
	s_or_b32 exec_lo, exec_lo, s62
	s_and_saveexec_b32 s62, s63
	s_xor_b32 s62, exec_lo, s62
	s_cbranch_execz .LBB2_7003
; %bb.7002:                             ;   in Loop: Header=BB2_6965 Depth=2
	ds_write_b32 v0, v96
	s_trap 2
.LBB2_7003:                             ;   in Loop: Header=BB2_6965 Depth=2
	s_or_b32 exec_lo, exec_lo, s61
	;;#ASMSTART
	s_wakeup
	;;#ASMEND
.LBB2_7004:                             ;   in Loop: Header=BB2_6965 Depth=2
	s_or_b32 exec_lo, exec_lo, s23
.LBB2_7005:                             ;   in Loop: Header=BB2_6965 Depth=2
	s_andn2_saveexec_b32 s17, s17
	s_cbranch_execz .LBB2_7007
; %bb.7006:                             ;   in Loop: Header=BB2_6965 Depth=2
	s_waitcnt vmcnt(0) lgkmcnt(0)
	s_waitcnt_vscnt null, 0x0
	buffer_gl1_inv
	buffer_gl0_inv
	s_barrier
.LBB2_7007:                             ;   in Loop: Header=BB2_6965 Depth=2
	s_or_b32 exec_lo, exec_lo, s17
.LBB2_7008:                             ;   in Loop: Header=BB2_6965 Depth=2
	s_or_b32 exec_lo, exec_lo, s16
	s_trap 2
	ds_read_b32 v48, v0
	v_and_b32_e32 v8, 0x4000, v81
	s_xor_b32 s16, s5, -1
	v_cmp_ne_u32_e32 vcc_lo, 0, v8
	s_and_b32 s17, s16, vcc_lo
	s_and_saveexec_b32 s16, s17
	s_cbranch_execz .LBB2_7027
; %bb.7009:                             ;   in Loop: Header=BB2_6965 Depth=2
	s_and_saveexec_b32 s17, s29
	s_xor_b32 s17, exec_lo, s17
	s_cbranch_execz .LBB2_7024
; %bb.7010:                             ;   in Loop: Header=BB2_6965 Depth=2
	s_and_saveexec_b32 s23, s11
	s_cbranch_execz .LBB2_7023
; %bb.7011:                             ;   in Loop: Header=BB2_6965 Depth=2
	s_mov_b32 s62, exec_lo
	s_mov_b32 s61, exec_lo
	v_mbcnt_lo_u32_b32 v8, s62, 0
	s_waitcnt vmcnt(0) lgkmcnt(0)
	s_waitcnt_vscnt null, 0x0
	buffer_gl1_inv
	buffer_gl0_inv
	v_cmpx_eq_u32_e32 0, v8
	s_cbranch_execz .LBB2_7013
; %bb.7012:                             ;   in Loop: Header=BB2_6965 Depth=2
	s_bcnt1_i32_b32 s62, s62
	v_mov_b32_e32 v9, v2
	v_mov_b32_e32 v8, s62
	ds_add_u64 v0, v[8:9]
	s_trap 2
.LBB2_7013:                             ;   in Loop: Header=BB2_6965 Depth=2
	s_or_b32 exec_lo, exec_lo, s61
	s_trap 2
	ds_read_b64 v[8:9], v0
	s_waitcnt lgkmcnt(0)
	buffer_gl0_inv
	v_add_co_u32 v12, vcc_lo, v12, v83
	v_add_co_ci_u32_e64 v13, null, 0, v13, vcc_lo
	s_mov_b32 s61, exec_lo
	v_cmpx_lt_u64_e64 v[8:9], v[12:13]
	s_cbranch_execz .LBB2_7022
; %bb.7014:                             ;   in Loop: Header=BB2_6965 Depth=2
	s_mov_b32 s62, 0
	s_mov_b32 s73, 0
                                        ; implicit-def: $sgpr63
                                        ; implicit-def: $sgpr72
	s_inst_prefetch 0x1
	s_branch .LBB2_7016
	.p2align	6
.LBB2_7015:                             ;   in Loop: Header=BB2_7016 Depth=3
	s_or_b32 exec_lo, exec_lo, s75
	s_and_b32 s74, exec_lo, s76
	s_or_b32 s62, s74, s62
	s_andn2_b32 s63, s63, exec_lo
	s_and_b32 s74, s72, exec_lo
	s_or_b32 s63, s63, s74
	s_andn2_b32 exec_lo, exec_lo, s62
	s_cbranch_execz .LBB2_7020
.LBB2_7016:                             ;   Parent Loop BB2_47 Depth=1
                                        ;     Parent Loop BB2_6965 Depth=2
                                        ; =>    This Inner Loop Header: Depth=3
	s_add_i32 s73, s73, 1
	s_cmpk_lg_i32 s73, 0x2710
	s_cselect_b32 s74, -1, 0
	s_and_b32 vcc_lo, exec_lo, s74
	s_cbranch_vccz .LBB2_7018
; %bb.7017:                             ;   in Loop: Header=BB2_7016 Depth=3
	s_mov_b32 s76, -1
	s_or_b32 s72, s72, exec_lo
	s_and_saveexec_b32 s75, s74
	s_cbranch_execz .LBB2_7015
	s_branch .LBB2_7019
	.p2align	6
.LBB2_7018:                             ;   in Loop: Header=BB2_7016 Depth=3
	s_trap 2
	ds_read_b64 v[8:9], v0
	s_andn2_b32 s74, s74, exec_lo
	s_mov_b32 s73, 0
	s_waitcnt lgkmcnt(0)
	flat_load_dword v8, v[8:9] glc dlc
	s_waitcnt vmcnt(0) lgkmcnt(0)
	buffer_gl1_inv
	buffer_gl0_inv
	v_cmp_eq_u32_e32 vcc_lo, 0, v8
	s_and_b32 s75, vcc_lo, exec_lo
	s_or_b32 s74, s74, s75
	s_mov_b32 s76, -1
	s_or_b32 s72, s72, exec_lo
	s_and_saveexec_b32 s75, s74
	s_cbranch_execz .LBB2_7015
.LBB2_7019:                             ;   in Loop: Header=BB2_7016 Depth=3
	s_sleep 1
	s_trap 2
	ds_read_b64 v[8:9], v0
	s_waitcnt lgkmcnt(0)
	buffer_gl0_inv
	s_andn2_b32 s72, s72, exec_lo
	v_cmp_ge_u64_e32 vcc_lo, v[8:9], v[12:13]
	s_orn2_b32 s76, vcc_lo, exec_lo
	s_branch .LBB2_7015
.LBB2_7020:                             ;   in Loop: Header=BB2_6965 Depth=2
	s_inst_prefetch 0x2
	s_or_b32 exec_lo, exec_lo, s62
	s_and_saveexec_b32 s62, s63
	s_xor_b32 s62, exec_lo, s62
	s_cbranch_execz .LBB2_7022
; %bb.7021:                             ;   in Loop: Header=BB2_6965 Depth=2
	ds_write_b32 v0, v96
	s_trap 2
.LBB2_7022:                             ;   in Loop: Header=BB2_6965 Depth=2
	s_or_b32 exec_lo, exec_lo, s61
	;;#ASMSTART
	s_wakeup
	;;#ASMEND
.LBB2_7023:                             ;   in Loop: Header=BB2_6965 Depth=2
	s_or_b32 exec_lo, exec_lo, s23
.LBB2_7024:                             ;   in Loop: Header=BB2_6965 Depth=2
	s_andn2_saveexec_b32 s17, s17
	s_cbranch_execz .LBB2_7026
; %bb.7025:                             ;   in Loop: Header=BB2_6965 Depth=2
	s_waitcnt vmcnt(0) lgkmcnt(0)
	s_waitcnt_vscnt null, 0x0
	buffer_gl1_inv
	buffer_gl0_inv
	s_barrier
.LBB2_7026:                             ;   in Loop: Header=BB2_6965 Depth=2
	s_or_b32 exec_lo, exec_lo, s17
.LBB2_7027:                             ;   in Loop: Header=BB2_6965 Depth=2
	s_or_b32 exec_lo, exec_lo, s16
	s_trap 2
	ds_read_b64 v[8:9], v0
	v_sub_nc_u32_e32 v10, v3, v51
	v_min_i32_e32 v50, v50, v10
	s_waitcnt lgkmcnt(0)
	v_cmp_eq_u64_e32 vcc_lo, 0, v[8:9]
	s_cbranch_vccnz .LBB2_7035
; %bb.7028:                             ;   in Loop: Header=BB2_6965 Depth=2
	s_trap 2
	ds_read_b64 v[10:11], v0
	s_waitcnt lgkmcnt(0)
	v_cmp_eq_u64_e32 vcc_lo, 0, v[10:11]
	s_cbranch_vccnz .LBB2_7035
; %bb.7029:                             ;   in Loop: Header=BB2_6965 Depth=2
	s_mov_b32 s16, -1
	s_and_saveexec_b32 s17, s13
	s_cbranch_execz .LBB2_7031
; %bb.7030:                             ;   in Loop: Header=BB2_6965 Depth=2
	ds_read_b32 v49, v0 offset:720
	s_waitcnt lgkmcnt(0)
	v_and_b32_e32 v49, 15, v49
	v_cmp_eq_u32_e32 vcc_lo, 0, v49
	s_orn2_b32 s16, vcc_lo, exec_lo
.LBB2_7031:                             ;   in Loop: Header=BB2_6965 Depth=2
	s_or_b32 exec_lo, exec_lo, s17
	s_and_saveexec_b32 s17, s12
	s_cbranch_execz .LBB2_7033
; %bb.7032:                             ;   in Loop: Header=BB2_6965 Depth=2
	ds_read_b32 v49, v0 offset:784
	s_waitcnt lgkmcnt(0)
	v_and_b32_e32 v49, 15, v49
	v_cmp_eq_u32_e32 vcc_lo, 0, v49
	s_and_b32 s23, s16, vcc_lo
	s_andn2_b32 s16, s16, exec_lo
	s_and_b32 s23, s23, exec_lo
	s_or_b32 s16, s16, s23
.LBB2_7033:                             ;   in Loop: Header=BB2_6965 Depth=2
	s_or_b32 exec_lo, exec_lo, s17
	v_cmp_eq_u32_e32 vcc_lo, 0, v48
	s_xor_b32 s16, s16, -1
	v_mov_b32_e32 v48, 0
	v_cndmask_b32_e64 v49, 0, 1, s16
	v_mov_b32_e32 v55, v0
	v_cndmask_b32_e32 v54, 0, v50, vcc_lo
	s_mov_b32 s16, -1
	v_cmp_ne_u32_e32 vcc_lo, 0, v49
	v_mov_b32_e32 v49, v54
	s_cbranch_vccz .LBB2_7040
; %bb.7034:                             ;   in Loop: Header=BB2_6965 Depth=2
	s_and_saveexec_b32 s17, s16
	s_cbranch_execnz .LBB2_7051
	s_branch .LBB2_7059
.LBB2_7035:                             ;   in Loop: Header=BB2_6965 Depth=2
	s_mov_b32 s16, 0
	s_and_saveexec_b32 s17, s6
	s_cbranch_execnz .LBB2_7060
.LBB2_7036:                             ;   in Loop: Header=BB2_6965 Depth=2
	s_or_b32 exec_lo, exec_lo, s17
	s_and_saveexec_b32 s17, s15
	s_xor_b32 s17, exec_lo, s17
	s_cbranch_execz .LBB2_7078
.LBB2_7037:                             ;   in Loop: Header=BB2_6965 Depth=2
	v_and_b32_e32 v8, 16, v81
	v_cmp_ne_u32_e32 vcc_lo, 0, v8
	s_and_b32 s23, vcc_lo, s16
	s_and_saveexec_b32 s16, s23
	s_cbranch_execz .LBB2_7039
; %bb.7038:                             ;   in Loop: Header=BB2_6965 Depth=2
	s_waitcnt vmcnt(0) lgkmcnt(0)
	s_waitcnt_vscnt null, 0x0
	buffer_gl1_inv
	buffer_gl0_inv
.LBB2_7039:                             ;   in Loop: Header=BB2_6965 Depth=2
	s_or_b32 exec_lo, exec_lo, s16
	s_andn2_saveexec_b32 s16, s17
	s_cbranch_execz .LBB2_7097
	s_branch .LBB2_7079
.LBB2_7040:                             ;   in Loop: Header=BB2_6965 Depth=2
	v_ashrrev_i32_e32 v48, 31, v54
	s_mov_b32 s17, exec_lo
	v_lshrrev_b32_e32 v48, 22, v48
	v_add_nc_u32_e32 v48, v54, v48
	v_ashrrev_i32_e32 v55, 10, v48
	v_sub_nc_u32_e32 v65, v55, v85
	v_cmpx_lt_i32_e32 0, v65
	s_cbranch_execz .LBB2_7044
; %bb.7041:                             ;   in Loop: Header=BB2_6965 Depth=2
	v_mov_b32_e32 v49, v35
	v_mov_b32_e32 v48, v34
	s_mov_b32 s23, 0
	.p2align	6
.LBB2_7042:                             ;   Parent Loop BB2_47 Depth=1
                                        ;     Parent Loop BB2_6965 Depth=2
                                        ; =>    This Inner Loop Header: Depth=3
	v_add_co_u32 v70, vcc_lo, v8, v48
	v_add_co_ci_u32_e64 v71, null, v9, v49, vcc_lo
	v_sub_nc_u32_e32 v65, v65, v83
	s_clause 0x1
	global_load_dwordx4 v[66:69], v[70:71], off slc
	global_load_dwordx4 v[44:47], v[70:71], off offset:512 slc
	v_add_co_u32 v70, vcc_lo, v10, v48
	v_add_co_ci_u32_e64 v71, null, v11, v49, vcc_lo
	v_cmp_gt_i32_e32 vcc_lo, 1, v65
	v_add_co_u32 v48, s16, v48, v113
	v_add_co_ci_u32_e64 v49, null, 0, v49, s16
	s_or_b32 s23, vcc_lo, s23
	s_waitcnt vmcnt(1)
	global_store_dwordx4 v[70:71], v[66:69], off glc slc
	s_waitcnt vmcnt(0)
	global_store_dwordx4 v[70:71], v[44:47], off offset:512 glc slc
	s_andn2_b32 exec_lo, exec_lo, s23
	s_cbranch_execnz .LBB2_7042
; %bb.7043:                             ;   in Loop: Header=BB2_6965 Depth=2
	s_or_b32 exec_lo, exec_lo, s23
.LBB2_7044:                             ;   in Loop: Header=BB2_6965 Depth=2
	s_or_b32 exec_lo, exec_lo, s17
	v_lshlrev_b32_e32 v64, 10, v55
	v_mov_b32_e32 v48, 0
	s_mov_b32 s16, 0
	s_mov_b32 s23, exec_lo
                                        ; implicit-def: $vgpr49
                                        ; implicit-def: $vgpr55
	v_cmpx_ne_u32_e64 v54, v64
	s_cbranch_execz .LBB2_7050
; %bb.7045:                             ;   in Loop: Header=BB2_6965 Depth=2
	v_lshlrev_b32_e32 v48, 5, v65
	v_sub_nc_u32_e32 v65, v54, v64
	s_mov_b32 s61, exec_lo
	v_sub_nc_u32_e32 v48, v84, v48
	v_ashrrev_i32_e32 v55, 31, v65
	v_ashrrev_i32_e32 v49, 31, v48
	v_lshrrev_b32_e32 v55, 23, v55
	v_lshrrev_b32_e32 v49, 27, v49
	v_add_nc_u32_e32 v67, v65, v55
	v_add_nc_u32_e32 v49, v48, v49
	v_ashrrev_i32_e32 v69, 9, v67
	v_and_b32_e32 v66, 0xffffffe0, v49
	v_ashrrev_i32_e32 v68, 5, v49
	v_sub_nc_u32_e32 v55, v48, v66
	v_and_b32_e32 v48, 0xfffffe00, v67
	v_lshlrev_b32_e32 v66, 4, v55
	v_sub_nc_u32_e32 v49, v65, v48
	v_lshl_add_u32 v67, v68, 9, v66
	v_cmp_lt_i32_e32 vcc_lo, 15, v49
	v_sub_nc_u32_e32 v66, v65, v67
	v_add_co_ci_u32_e64 v69, null, 0, v69, vcc_lo
	v_sub_nc_u32_e32 v65, v69, v68
	v_cmpx_lt_i32_e32 15, v66
	s_cbranch_execz .LBB2_7049
; %bb.7046:                             ;   in Loop: Header=BB2_6965 Depth=2
	v_add_nc_u32_e32 v67, v67, v64
	s_mov_b32 s62, 0
	v_ashrrev_i32_e32 v68, 31, v67
	.p2align	6
.LBB2_7047:                             ;   Parent Loop BB2_47 Depth=1
                                        ;     Parent Loop BB2_6965 Depth=2
                                        ; =>    This Inner Loop Header: Depth=3
	v_add_co_u32 v69, s16, v8, v67
	v_add_co_ci_u32_e64 v70, null, v9, v68, s16
	v_sub_nc_u32_e32 v66, v66, v114
	v_sub_nc_u32_e32 v65, v65, v83
	global_load_dwordx4 v[44:47], v[69:70], off slc
	v_add_co_u32 v69, s16, v10, v67
	v_add_co_ci_u32_e64 v70, null, v11, v68, s16
	v_cmp_gt_i32_e64 s16, 16, v66
	v_add_co_u32 v67, s17, v67, v114
	v_add_co_ci_u32_e64 v68, null, 0, v68, s17
	s_or_b32 s62, s16, s62
	s_waitcnt vmcnt(0)
	global_store_dwordx4 v[69:70], v[44:47], off glc slc
	s_andn2_b32 exec_lo, exec_lo, s62
	s_cbranch_execnz .LBB2_7047
; %bb.7048:                             ;   in Loop: Header=BB2_6965 Depth=2
	s_or_b32 exec_lo, exec_lo, s62
.LBB2_7049:                             ;   in Loop: Header=BB2_6965 Depth=2
	s_or_b32 exec_lo, exec_lo, s61
	v_and_b32_e32 v66, 15, v54
	v_cmp_lt_i32_e64 s16, 0, v65
	v_sub_nc_u32_e32 v67, v49, v66
	v_cndmask_b32_e64 v68, 0, v83, s16
	v_cndmask_b32_e32 v49, v49, v66, vcc_lo
	v_cndmask_b32_e32 v66, 0, v67, vcc_lo
	v_sub_nc_u32_e32 v65, v68, v65
	v_cmp_ne_u32_e32 vcc_lo, 0, v49
	v_add3_u32 v48, v48, v64, v66
	v_lshl_add_u32 v55, v65, 5, v55
	s_and_b32 s16, vcc_lo, exec_lo
.LBB2_7050:                             ;   in Loop: Header=BB2_6965 Depth=2
	s_or_b32 exec_lo, exec_lo, s23
	s_and_saveexec_b32 s17, s16
	s_cbranch_execz .LBB2_7059
.LBB2_7051:                             ;   in Loop: Header=BB2_6965 Depth=2
	v_ashrrev_i32_e32 v64, 31, v55
	v_ashrrev_i32_e32 v65, 31, v49
	s_mov_b32 s16, exec_lo
	v_lshrrev_b32_e32 v64, 27, v64
	v_add_nc_u32_sdwa v65, v49, v65 dst_sel:DWORD dst_unused:UNUSED_PAD src0_sel:DWORD src1_sel:BYTE_3
	v_add_nc_u32_e32 v67, v55, v64
	v_ashrrev_i32_e32 v66, 8, v65
	v_ashrrev_i32_e32 v64, 5, v67
	v_sub_nc_u32_e32 v65, v66, v64
	v_cmpx_lt_i32_e32 0, v65
	s_cbranch_execz .LBB2_7055
; %bb.7052:                             ;   in Loop: Header=BB2_6965 Depth=2
	v_and_b32_e32 v67, 0xffffffe0, v67
	v_lshlrev_b32_e32 v68, 8, v64
	s_mov_b32 s23, 0
	v_sub_nc_u32_e32 v67, v55, v67
	v_add3_u32 v67, v48, v67, v68
	v_ashrrev_i32_e32 v68, 31, v67
.LBB2_7053:                             ;   Parent Loop BB2_47 Depth=1
                                        ;     Parent Loop BB2_6965 Depth=2
                                        ; =>    This Inner Loop Header: Depth=3
	v_add_co_u32 v69, vcc_lo, v67, v8
	v_add_co_ci_u32_e64 v70, null, v68, v9, vcc_lo
	v_sub_nc_u32_e32 v65, v65, v83
	s_clause 0x7
	flat_load_ubyte v71, v[69:70] slc
	flat_load_ubyte v44, v[69:70] offset:32 slc
	flat_load_ubyte v45, v[69:70] offset:64 slc
	;; [unrolled: 1-line block ×7, first 2 shown]
	v_add_co_u32 v69, vcc_lo, v67, v10
	v_add_co_ci_u32_e64 v70, null, v68, v11, vcc_lo
	v_add_co_u32 v8, vcc_lo, v8, v115
	v_add_co_ci_u32_e64 v9, null, 0, v9, vcc_lo
	;; [unrolled: 2-line block ×3, first 2 shown]
	v_cmp_gt_i32_e32 vcc_lo, 1, v65
	s_waitcnt vmcnt(7) lgkmcnt(7)
	flat_store_byte v[69:70], v71 glc slc
	s_waitcnt vmcnt(6) lgkmcnt(7)
	flat_store_byte v[69:70], v44 offset:32 glc slc
	s_waitcnt vmcnt(5) lgkmcnt(7)
	flat_store_byte v[69:70], v45 offset:64 glc slc
	;; [unrolled: 2-line block ×7, first 2 shown]
	s_or_b32 s23, vcc_lo, s23
	s_andn2_b32 exec_lo, exec_lo, s23
	s_cbranch_execnz .LBB2_7053
; %bb.7054:                             ;   in Loop: Header=BB2_6965 Depth=2
	s_or_b32 exec_lo, exec_lo, s23
.LBB2_7055:                             ;   in Loop: Header=BB2_6965 Depth=2
	s_or_b32 exec_lo, exec_lo, s16
	v_lshlrev_b32_e32 v8, 8, v66
	v_cmp_ne_u32_e32 vcc_lo, v49, v8
	s_and_b32 exec_lo, exec_lo, vcc_lo
	s_cbranch_execz .LBB2_7059
; %bb.7056:                             ;   in Loop: Header=BB2_6965 Depth=2
	v_lshlrev_b32_e32 v9, 5, v64
	v_lshlrev_b32_e32 v10, 5, v65
	v_sub_nc_u32_e32 v9, v55, v9
	v_sub_nc_u32_e32 v9, v9, v10
	v_add_nc_u32_e32 v11, v8, v9
	v_sub_nc_u32_e32 v10, v49, v11
	v_cmp_lt_i32_e32 vcc_lo, 0, v10
	s_and_b32 exec_lo, exec_lo, vcc_lo
	s_cbranch_execz .LBB2_7059
; %bb.7057:                             ;   in Loop: Header=BB2_6965 Depth=2
	s_trap 2
	ds_read_b64 v[8:9], v0
	v_add_nc_u32_e32 v11, v11, v48
	s_mov_b32 s23, 0
	v_ashrrev_i32_e32 v48, 31, v11
	.p2align	6
.LBB2_7058:                             ;   Parent Loop BB2_47 Depth=1
                                        ;     Parent Loop BB2_6965 Depth=2
                                        ; =>    This Inner Loop Header: Depth=3
	s_waitcnt lgkmcnt(0)
	v_add_co_u32 v64, vcc_lo, v8, v11
	v_add_co_ci_u32_e64 v65, null, v9, v48, vcc_lo
	v_sub_nc_u32_e32 v10, v10, v86
	v_add_co_u32 v11, s16, v11, v86
	flat_load_ubyte v49, v[64:65] slc
	v_add_co_ci_u32_e64 v48, null, 0, v48, s16
	v_cmp_gt_i32_e32 vcc_lo, 1, v10
	s_or_b32 s23, vcc_lo, s23
	s_waitcnt vmcnt(0) lgkmcnt(0)
	flat_store_byte v[64:65], v49 glc slc
	s_andn2_b32 exec_lo, exec_lo, s23
	s_cbranch_execnz .LBB2_7058
.LBB2_7059:                             ;   in Loop: Header=BB2_6965 Depth=2
	s_or_b32 exec_lo, exec_lo, s17
	v_cmp_lt_i32_e64 s16, 0, v54
	s_and_saveexec_b32 s17, s6
	s_cbranch_execz .LBB2_7036
.LBB2_7060:                             ;   in Loop: Header=BB2_6965 Depth=2
	s_and_saveexec_b32 s23, s29
	s_xor_b32 s23, exec_lo, s23
	s_cbranch_execz .LBB2_7075
; %bb.7061:                             ;   in Loop: Header=BB2_6965 Depth=2
	s_and_saveexec_b32 s61, s11
	s_cbranch_execz .LBB2_7074
; %bb.7062:                             ;   in Loop: Header=BB2_6965 Depth=2
	s_mov_b32 s63, exec_lo
	s_mov_b32 s62, exec_lo
	v_mbcnt_lo_u32_b32 v8, s63, 0
	s_waitcnt vmcnt(0) lgkmcnt(0)
	s_waitcnt_vscnt null, 0x0
	buffer_gl1_inv
	buffer_gl0_inv
	v_cmpx_eq_u32_e32 0, v8
	s_cbranch_execz .LBB2_7064
; %bb.7063:                             ;   in Loop: Header=BB2_6965 Depth=2
	s_bcnt1_i32_b32 s63, s63
	v_mov_b32_e32 v9, v2
	v_mov_b32_e32 v8, s63
	ds_add_u64 v0, v[8:9]
	s_trap 2
.LBB2_7064:                             ;   in Loop: Header=BB2_6965 Depth=2
	s_or_b32 exec_lo, exec_lo, s62
	s_trap 2
	ds_read_b64 v[8:9], v0
	s_waitcnt lgkmcnt(0)
	buffer_gl0_inv
	v_add_co_u32 v12, vcc_lo, v12, v83
	v_add_co_ci_u32_e64 v13, null, 0, v13, vcc_lo
	s_mov_b32 s62, exec_lo
	v_cmpx_lt_u64_e64 v[8:9], v[12:13]
	s_cbranch_execz .LBB2_7073
; %bb.7065:                             ;   in Loop: Header=BB2_6965 Depth=2
	s_mov_b32 s63, 0
	s_mov_b32 s74, 0
                                        ; implicit-def: $sgpr72
                                        ; implicit-def: $sgpr73
	s_inst_prefetch 0x1
	s_branch .LBB2_7067
	.p2align	6
.LBB2_7066:                             ;   in Loop: Header=BB2_7067 Depth=3
	s_or_b32 exec_lo, exec_lo, s76
	s_and_b32 s75, exec_lo, s77
	s_or_b32 s63, s75, s63
	s_andn2_b32 s72, s72, exec_lo
	s_and_b32 s75, s73, exec_lo
	s_or_b32 s72, s72, s75
	s_andn2_b32 exec_lo, exec_lo, s63
	s_cbranch_execz .LBB2_7071
.LBB2_7067:                             ;   Parent Loop BB2_47 Depth=1
                                        ;     Parent Loop BB2_6965 Depth=2
                                        ; =>    This Inner Loop Header: Depth=3
	s_add_i32 s74, s74, 1
	s_cmpk_lg_i32 s74, 0x2710
	s_cselect_b32 s75, -1, 0
	s_and_b32 vcc_lo, exec_lo, s75
	s_cbranch_vccz .LBB2_7069
; %bb.7068:                             ;   in Loop: Header=BB2_7067 Depth=3
	s_mov_b32 s77, -1
	s_or_b32 s73, s73, exec_lo
	s_and_saveexec_b32 s76, s75
	s_cbranch_execz .LBB2_7066
	s_branch .LBB2_7070
	.p2align	6
.LBB2_7069:                             ;   in Loop: Header=BB2_7067 Depth=3
	s_trap 2
	ds_read_b64 v[8:9], v0
	s_andn2_b32 s75, s75, exec_lo
	s_mov_b32 s74, 0
	s_waitcnt lgkmcnt(0)
	flat_load_dword v8, v[8:9] glc dlc
	s_waitcnt vmcnt(0) lgkmcnt(0)
	buffer_gl1_inv
	buffer_gl0_inv
	v_cmp_eq_u32_e32 vcc_lo, 0, v8
	s_and_b32 s76, vcc_lo, exec_lo
	s_or_b32 s75, s75, s76
	s_mov_b32 s77, -1
	s_or_b32 s73, s73, exec_lo
	s_and_saveexec_b32 s76, s75
	s_cbranch_execz .LBB2_7066
.LBB2_7070:                             ;   in Loop: Header=BB2_7067 Depth=3
	s_sleep 1
	s_trap 2
	ds_read_b64 v[8:9], v0
	s_waitcnt lgkmcnt(0)
	buffer_gl0_inv
	s_andn2_b32 s73, s73, exec_lo
	v_cmp_ge_u64_e32 vcc_lo, v[8:9], v[12:13]
	s_orn2_b32 s77, vcc_lo, exec_lo
	s_branch .LBB2_7066
.LBB2_7071:                             ;   in Loop: Header=BB2_6965 Depth=2
	s_inst_prefetch 0x2
	s_or_b32 exec_lo, exec_lo, s63
	s_and_saveexec_b32 s63, s72
	s_xor_b32 s63, exec_lo, s63
	s_cbranch_execz .LBB2_7073
; %bb.7072:                             ;   in Loop: Header=BB2_6965 Depth=2
	ds_write_b32 v0, v96
	s_trap 2
.LBB2_7073:                             ;   in Loop: Header=BB2_6965 Depth=2
	s_or_b32 exec_lo, exec_lo, s62
	;;#ASMSTART
	s_wakeup
	;;#ASMEND
.LBB2_7074:                             ;   in Loop: Header=BB2_6965 Depth=2
	s_or_b32 exec_lo, exec_lo, s61
.LBB2_7075:                             ;   in Loop: Header=BB2_6965 Depth=2
	s_andn2_saveexec_b32 s23, s23
	s_cbranch_execz .LBB2_7077
; %bb.7076:                             ;   in Loop: Header=BB2_6965 Depth=2
	s_waitcnt vmcnt(0) lgkmcnt(0)
	s_waitcnt_vscnt null, 0x0
	buffer_gl1_inv
	buffer_gl0_inv
	s_barrier
.LBB2_7077:                             ;   in Loop: Header=BB2_6965 Depth=2
	s_or_b32 exec_lo, exec_lo, s23
	s_or_b32 exec_lo, exec_lo, s17
	s_and_saveexec_b32 s17, s15
	s_xor_b32 s17, exec_lo, s17
	s_cbranch_execnz .LBB2_7037
.LBB2_7078:                             ;   in Loop: Header=BB2_6965 Depth=2
	s_andn2_saveexec_b32 s16, s17
	s_cbranch_execz .LBB2_7097
.LBB2_7079:                             ;   in Loop: Header=BB2_6965 Depth=2
	s_and_saveexec_b32 s17, s29
	s_xor_b32 s17, exec_lo, s17
	s_cbranch_execz .LBB2_7094
; %bb.7080:                             ;   in Loop: Header=BB2_6965 Depth=2
	s_and_saveexec_b32 s23, s11
	s_cbranch_execz .LBB2_7093
; %bb.7081:                             ;   in Loop: Header=BB2_6965 Depth=2
	s_mov_b32 s62, exec_lo
	s_mov_b32 s61, exec_lo
	v_mbcnt_lo_u32_b32 v8, s62, 0
	;;#ASMSTART
	s_waitcnt lgkmcnt(0) vmcnt(0)
	;;#ASMEND
	v_cmpx_eq_u32_e32 0, v8
	s_cbranch_execz .LBB2_7083
; %bb.7082:                             ;   in Loop: Header=BB2_6965 Depth=2
	s_bcnt1_i32_b32 s62, s62
	v_mov_b32_e32 v9, v2
	v_mov_b32_e32 v8, s62
	s_waitcnt vmcnt(0) lgkmcnt(0)
	s_waitcnt_vscnt null, 0x0
	ds_add_u64 v0, v[8:9]
	s_trap 2
.LBB2_7083:                             ;   in Loop: Header=BB2_6965 Depth=2
	s_or_b32 exec_lo, exec_lo, s61
	s_trap 2
	ds_read_b64 v[8:9], v0
	s_waitcnt vmcnt(0) lgkmcnt(0)
	buffer_gl0_inv
	v_add_co_u32 v12, vcc_lo, v12, v83
	v_add_co_ci_u32_e64 v13, null, 0, v13, vcc_lo
	s_mov_b32 s61, exec_lo
	v_cmpx_lt_u64_e64 v[8:9], v[12:13]
	s_cbranch_execz .LBB2_7092
; %bb.7084:                             ;   in Loop: Header=BB2_6965 Depth=2
	s_mov_b32 s62, 0
	s_mov_b32 s73, 0
                                        ; implicit-def: $sgpr63
                                        ; implicit-def: $sgpr72
	s_inst_prefetch 0x1
	s_branch .LBB2_7086
	.p2align	6
.LBB2_7085:                             ;   in Loop: Header=BB2_7086 Depth=3
	s_or_b32 exec_lo, exec_lo, s75
	s_and_b32 s74, exec_lo, s76
	s_or_b32 s62, s74, s62
	s_andn2_b32 s63, s63, exec_lo
	s_and_b32 s74, s72, exec_lo
	s_or_b32 s63, s63, s74
	s_andn2_b32 exec_lo, exec_lo, s62
	s_cbranch_execz .LBB2_7090
.LBB2_7086:                             ;   Parent Loop BB2_47 Depth=1
                                        ;     Parent Loop BB2_6965 Depth=2
                                        ; =>    This Inner Loop Header: Depth=3
	s_add_i32 s73, s73, 1
	s_cmpk_lg_i32 s73, 0x2710
	s_cselect_b32 s74, -1, 0
	s_and_b32 vcc_lo, exec_lo, s74
	s_cbranch_vccz .LBB2_7088
; %bb.7087:                             ;   in Loop: Header=BB2_7086 Depth=3
	s_mov_b32 s76, -1
	s_or_b32 s72, s72, exec_lo
	s_and_saveexec_b32 s75, s74
	s_cbranch_execz .LBB2_7085
	s_branch .LBB2_7089
	.p2align	6
.LBB2_7088:                             ;   in Loop: Header=BB2_7086 Depth=3
	s_trap 2
	ds_read_b64 v[8:9], v0
	s_andn2_b32 s74, s74, exec_lo
	s_mov_b32 s73, 0
	s_waitcnt lgkmcnt(0)
	s_waitcnt_vscnt null, 0x0
	flat_load_dword v8, v[8:9] glc dlc
	s_waitcnt vmcnt(0) lgkmcnt(0)
	buffer_gl1_inv
	buffer_gl0_inv
	v_cmp_eq_u32_e32 vcc_lo, 0, v8
	s_and_b32 s75, vcc_lo, exec_lo
	s_or_b32 s74, s74, s75
	s_mov_b32 s76, -1
	s_or_b32 s72, s72, exec_lo
	s_and_saveexec_b32 s75, s74
	s_cbranch_execz .LBB2_7085
.LBB2_7089:                             ;   in Loop: Header=BB2_7086 Depth=3
	s_sleep 1
	s_trap 2
	ds_read_b64 v[8:9], v0
	s_waitcnt lgkmcnt(0)
	buffer_gl0_inv
	s_andn2_b32 s72, s72, exec_lo
	v_cmp_ge_u64_e32 vcc_lo, v[8:9], v[12:13]
	s_orn2_b32 s76, vcc_lo, exec_lo
	s_branch .LBB2_7085
.LBB2_7090:                             ;   in Loop: Header=BB2_6965 Depth=2
	s_inst_prefetch 0x2
	s_or_b32 exec_lo, exec_lo, s62
	s_and_saveexec_b32 s62, s63
	s_xor_b32 s62, exec_lo, s62
	s_cbranch_execz .LBB2_7092
; %bb.7091:                             ;   in Loop: Header=BB2_6965 Depth=2
	ds_write_b32 v0, v96
	s_trap 2
.LBB2_7092:                             ;   in Loop: Header=BB2_6965 Depth=2
	s_or_b32 exec_lo, exec_lo, s61
	;;#ASMSTART
	s_wakeup
	;;#ASMEND
.LBB2_7093:                             ;   in Loop: Header=BB2_6965 Depth=2
	s_or_b32 exec_lo, exec_lo, s23
.LBB2_7094:                             ;   in Loop: Header=BB2_6965 Depth=2
	s_andn2_saveexec_b32 s17, s17
	s_cbranch_execz .LBB2_7096
; %bb.7095:                             ;   in Loop: Header=BB2_6965 Depth=2
	;;#ASMSTART
	s_waitcnt lgkmcnt(0) vmcnt(0)
	;;#ASMEND
	s_barrier
.LBB2_7096:                             ;   in Loop: Header=BB2_6965 Depth=2
	s_or_b32 exec_lo, exec_lo, s17
.LBB2_7097:                             ;   in Loop: Header=BB2_6965 Depth=2
	s_or_b32 exec_lo, exec_lo, s16
	v_and_b32_e32 v8, 32, v81
	s_mov_b32 s16, exec_lo
	v_cmpx_ne_u32_e32 0, v8
	s_cbranch_execz .LBB2_6964
; %bb.7098:                             ;   in Loop: Header=BB2_6965 Depth=2
	v_add_co_u32 v38, vcc_lo, v38, 2
	v_add_co_ci_u32_e64 v39, null, 0, v39, vcc_lo
	s_waitcnt vmcnt(0) lgkmcnt(0)
	s_waitcnt_vscnt null, 0x0
	flat_store_dwordx2 v[20:21], v[38:39]
	s_branch .LBB2_6964
.LBB2_7099:                             ;   in Loop: Header=BB2_47 Depth=1
	s_or_b32 exec_lo, exec_lo, s19
.LBB2_7100:                             ;   in Loop: Header=BB2_47 Depth=1
	s_or_b32 exec_lo, exec_lo, s18
	s_mov_b32 s17, exec_lo
	v_cmpx_gt_i32_e32 2, v10
	s_cbranch_execnz .LBB2_7101
; %bb.7213:                             ;   in Loop: Header=BB2_47 Depth=1
	s_getpc_b64 s[34:35]
.Lpost_getpc3:
	s_add_u32 s34, s34, (.LBB2_46-.Lpost_getpc3)&4294967295
	s_addc_u32 s35, s35, (.LBB2_46-.Lpost_getpc3)>>32
	s_setpc_b64 s[34:35]
.LBB2_7101:                             ;   in Loop: Header=BB2_47 Depth=1
	v_cmp_eq_u32_e64 s19, 0, v10
	s_mov_b32 s18, 0
	s_branch .LBB2_7103
.LBB2_7102:                             ;   in Loop: Header=BB2_7103 Depth=2
	s_or_b32 exec_lo, exec_lo, s16
	v_add_nc_u32_e32 v51, v50, v51
	s_mov_b32 s19, 0
	s_andn2_b32 exec_lo, exec_lo, s18
	s_cbranch_execnz .LBB2_7103
; %bb.7215:                             ;   in Loop: Header=BB2_47 Depth=1
	s_getpc_b64 s[34:35]
.Lpost_getpc4:
	s_add_u32 s34, s34, (.LBB2_45-.Lpost_getpc4)&4294967295
	s_addc_u32 s35, s35, (.LBB2_45-.Lpost_getpc4)>>32
	s_setpc_b64 s[34:35]
.LBB2_7103:                             ;   Parent Loop BB2_47 Depth=1
                                        ; =>  This Loop Header: Depth=2
                                        ;       Child Loop BB2_7109 Depth 3
                                        ;       Child Loop BB2_7133 Depth 3
	;; [unrolled: 1-line block ×3, first 2 shown]
	v_and_b32_e32 v8, 4, v81
	s_mov_b32 s21, exec_lo
	v_cmpx_ne_u32_e32 0, v8
	s_cbranch_execz .LBB2_7125
; %bb.7104:                             ;   in Loop: Header=BB2_7103 Depth=2
	v_add_co_u32 v8, vcc_lo, v38, 2
	v_add_co_ci_u32_e64 v9, null, 0, v39, vcc_lo
	s_mov_b32 s22, exec_lo
	s_waitcnt vmcnt(0) lgkmcnt(1)
	v_cmpx_lt_u64_e64 v[26:27], v[8:9]
	s_cbranch_execz .LBB2_7116
; %bb.7105:                             ;   in Loop: Header=BB2_7103 Depth=2
	v_and_b32_e32 v10, 64, v81
	s_mov_b32 s23, 0
	s_mov_b32 s72, 0
                                        ; implicit-def: $sgpr61
                                        ; implicit-def: $sgpr62
                                        ; implicit-def: $sgpr63
	v_cmp_eq_u32_e32 vcc_lo, 0, v10
	s_branch .LBB2_7109
.LBB2_7106:                             ;   in Loop: Header=BB2_7109 Depth=3
	s_waitcnt vmcnt(0) lgkmcnt(0)
	v_cmp_ge_u64_e64 s16, v[26:27], v[8:9]
	s_or_b32 s75, s75, exec_lo
	s_orn2_b32 s74, s16, exec_lo
.LBB2_7107:                             ;   in Loop: Header=BB2_7109 Depth=3
	s_or_b32 exec_lo, exec_lo, s77
	s_andn2_b32 s16, s63, exec_lo
	s_and_b32 s63, s75, exec_lo
	s_andn2_b32 s62, s62, exec_lo
	s_and_b32 s74, s74, exec_lo
	s_or_b32 s63, s16, s63
	s_or_b32 s62, s62, s74
.LBB2_7108:                             ;   in Loop: Header=BB2_7109 Depth=3
	s_or_b32 exec_lo, exec_lo, s73
	s_and_b32 s16, exec_lo, s62
	s_or_b32 s23, s16, s23
	s_andn2_b32 s16, s61, exec_lo
	s_and_b32 s61, s63, exec_lo
	s_or_b32 s61, s16, s61
	s_andn2_b32 exec_lo, exec_lo, s23
	s_cbranch_execz .LBB2_7113
.LBB2_7109:                             ;   Parent Loop BB2_47 Depth=1
                                        ;     Parent Loop BB2_7103 Depth=2
                                        ; =>    This Inner Loop Header: Depth=3
	s_sleep 1
	s_waitcnt vmcnt(0) lgkmcnt(0)
	flat_load_dwordx2 v[26:27], v[20:21] glc dlc
	s_or_b32 s63, s63, exec_lo
	s_or_b32 s62, s62, exec_lo
                                        ; implicit-def: $vgpr10
	s_and_saveexec_b32 s73, vcc_lo
	s_cbranch_execz .LBB2_7108
; %bb.7110:                             ;   in Loop: Header=BB2_7109 Depth=3
	s_cmpk_lt_i32 s72, 0x270f
	s_mov_b32 s74, -1
	s_cselect_b32 s76, -1, 0
	s_cmpk_gt_i32 s72, 0x270e
	s_cbranch_scc0 .LBB2_7112
; %bb.7111:                             ;   in Loop: Header=BB2_7109 Depth=3
	s_trap 2
	ds_read_b64 v[10:11], v0
	s_andn2_b32 s72, s76, exec_lo
	s_mov_b32 s75, 0
	s_waitcnt vmcnt(0) lgkmcnt(0)
	s_waitcnt_vscnt null, 0x0
	flat_load_dword v10, v[10:11] glc dlc
	s_waitcnt vmcnt(0) lgkmcnt(0)
	buffer_gl1_inv
	buffer_gl0_inv
	v_cmp_eq_u32_e64 s16, 0, v10
	s_and_b32 s16, s16, exec_lo
	s_or_b32 s76, s72, s16
	s_mov_b32 s72, 0
	s_and_saveexec_b32 s77, s76
	s_cbranch_execz .LBB2_7107
	s_branch .LBB2_7106
.LBB2_7112:                             ;   in Loop: Header=BB2_7109 Depth=3
	s_add_i32 s72, s72, 1
	s_mov_b32 s75, -1
                                        ; implicit-def: $vgpr10
	s_and_saveexec_b32 s77, s76
	s_cbranch_execz .LBB2_7107
	s_branch .LBB2_7106
.LBB2_7113:                             ;   in Loop: Header=BB2_7103 Depth=2
	s_or_b32 exec_lo, exec_lo, s23
	s_xor_b32 s16, s61, -1
	s_and_saveexec_b32 s23, s16
	s_xor_b32 s16, exec_lo, s23
	s_cbranch_execz .LBB2_7115
; %bb.7114:                             ;   in Loop: Header=BB2_7103 Depth=2
	v_or_b32_e32 v81, 64, v81
	s_waitcnt vmcnt(0) lgkmcnt(0)
	s_waitcnt_vscnt null, 0x0
	ds_write_b32 v0, v10
	s_trap 2
.LBB2_7115:                             ;   in Loop: Header=BB2_7103 Depth=2
	s_or_b32 exec_lo, exec_lo, s16
.LBB2_7116:                             ;   in Loop: Header=BB2_7103 Depth=2
	s_or_b32 exec_lo, exec_lo, s22
	v_and_b32_e32 v10, 0x100, v81
	v_and_b32_e32 v48, 7, v38
	s_mov_b32 s16, -1
	;;#ASMSTART
	s_wakeup
	;;#ASMEND
	v_cmp_ne_u32_e32 vcc_lo, 0, v10
                                        ; implicit-def: $vgpr10_vgpr11
	s_and_saveexec_b32 s22, vcc_lo
	s_cbranch_execz .LBB2_7120
; %bb.7117:                             ;   in Loop: Header=BB2_7103 Depth=2
	v_mad_u64_u32 v[38:39], null, v48, 24, v[6:7]
	flat_load_dword v10, v[38:39]
	s_waitcnt vmcnt(0) lgkmcnt(0)
	v_cmp_eq_u32_e64 s16, 1, v10
	v_cmp_ne_u32_e32 vcc_lo, 1, v10
                                        ; implicit-def: $vgpr10_vgpr11
	s_and_saveexec_b32 s23, s16
	s_cbranch_execz .LBB2_7119
; %bb.7118:                             ;   in Loop: Header=BB2_7103 Depth=2
	flat_load_dword v10, v[38:39] offset:4 glc dlc
	s_waitcnt vmcnt(0) lgkmcnt(0)
	v_ashrrev_i32_e32 v11, 31, v10
.LBB2_7119:                             ;   in Loop: Header=BB2_7103 Depth=2
	s_or_b32 exec_lo, exec_lo, s23
	s_orn2_b32 s16, vcc_lo, exec_lo
.LBB2_7120:                             ;   in Loop: Header=BB2_7103 Depth=2
	s_or_b32 exec_lo, exec_lo, s22
	s_and_saveexec_b32 s22, s16
; %bb.7121:                             ;   in Loop: Header=BB2_7103 Depth=2
	v_mad_i64_i32 v[10:11], null, v48, v82, 0
; %bb.7122:                             ;   in Loop: Header=BB2_7103 Depth=2
	s_or_b32 exec_lo, exec_lo, s22
	v_add_co_u32 v10, vcc_lo, v22, v10
	v_and_b32_e32 v38, 0x2000, v81
	v_add_co_ci_u32_e64 v11, null, v23, v11, vcc_lo
	s_mov_b32 s16, exec_lo
	ds_write_b64 v0, v[10:11] offset:720
	v_cmpx_ne_u32_e32 0, v38
	s_cbranch_execz .LBB2_7124
; %bb.7123:                             ;   in Loop: Header=BB2_7103 Depth=2
	ds_read_b64 v[10:11], v0 offset:872
	s_waitcnt lgkmcnt(0)
	v_add_co_u32 v10, vcc_lo, v10, 1
	v_add_co_ci_u32_e64 v11, null, 0, v11, vcc_lo
	ds_write_b64 v0, v[10:11] offset:872
.LBB2_7124:                             ;   in Loop: Header=BB2_7103 Depth=2
	s_or_b32 exec_lo, exec_lo, s16
	v_mov_b32_e32 v39, v9
	v_mov_b32_e32 v38, v8
.LBB2_7125:                             ;   in Loop: Header=BB2_7103 Depth=2
	s_or_b32 exec_lo, exec_lo, s21
	s_xor_b32 s16, s19, -1
	s_and_b32 s16, exec_lo, s16
	s_or_b32 s18, s16, s18
	s_and_saveexec_b32 s16, s6
	s_cbranch_execz .LBB2_7144
; %bb.7126:                             ;   in Loop: Header=BB2_7103 Depth=2
	s_and_saveexec_b32 s19, s29
	s_xor_b32 s19, exec_lo, s19
	s_cbranch_execz .LBB2_7141
; %bb.7127:                             ;   in Loop: Header=BB2_7103 Depth=2
	s_and_saveexec_b32 s21, s11
	s_cbranch_execz .LBB2_7140
; %bb.7128:                             ;   in Loop: Header=BB2_7103 Depth=2
	s_mov_b32 s23, exec_lo
	s_mov_b32 s22, exec_lo
	v_mbcnt_lo_u32_b32 v8, s23, 0
	s_waitcnt vmcnt(0) lgkmcnt(0)
	s_waitcnt_vscnt null, 0x0
	buffer_gl1_inv
	buffer_gl0_inv
	v_cmpx_eq_u32_e32 0, v8
	s_cbranch_execz .LBB2_7130
; %bb.7129:                             ;   in Loop: Header=BB2_7103 Depth=2
	s_bcnt1_i32_b32 s23, s23
	v_mov_b32_e32 v9, v2
	v_mov_b32_e32 v8, s23
	ds_add_u64 v0, v[8:9]
	s_trap 2
.LBB2_7130:                             ;   in Loop: Header=BB2_7103 Depth=2
	s_or_b32 exec_lo, exec_lo, s22
	s_trap 2
	ds_read_b64 v[8:9], v0
	s_waitcnt lgkmcnt(0)
	buffer_gl0_inv
	v_add_co_u32 v12, vcc_lo, v12, v83
	v_add_co_ci_u32_e64 v13, null, 0, v13, vcc_lo
	s_mov_b32 s22, exec_lo
	v_cmpx_lt_u64_e64 v[8:9], v[12:13]
	s_cbranch_execz .LBB2_7139
; %bb.7131:                             ;   in Loop: Header=BB2_7103 Depth=2
	s_mov_b32 s23, 0
	s_mov_b32 s63, 0
                                        ; implicit-def: $sgpr61
                                        ; implicit-def: $sgpr62
	s_inst_prefetch 0x1
	s_branch .LBB2_7133
	.p2align	6
.LBB2_7132:                             ;   in Loop: Header=BB2_7133 Depth=3
	s_or_b32 exec_lo, exec_lo, s73
	s_and_b32 s72, exec_lo, s74
	s_or_b32 s23, s72, s23
	s_andn2_b32 s61, s61, exec_lo
	s_and_b32 s72, s62, exec_lo
	s_or_b32 s61, s61, s72
	s_andn2_b32 exec_lo, exec_lo, s23
	s_cbranch_execz .LBB2_7137
.LBB2_7133:                             ;   Parent Loop BB2_47 Depth=1
                                        ;     Parent Loop BB2_7103 Depth=2
                                        ; =>    This Inner Loop Header: Depth=3
	s_add_i32 s63, s63, 1
	s_cmpk_lg_i32 s63, 0x2710
	s_cselect_b32 s72, -1, 0
	s_and_b32 vcc_lo, exec_lo, s72
	s_cbranch_vccz .LBB2_7135
; %bb.7134:                             ;   in Loop: Header=BB2_7133 Depth=3
	s_mov_b32 s74, -1
	s_or_b32 s62, s62, exec_lo
	s_and_saveexec_b32 s73, s72
	s_cbranch_execz .LBB2_7132
	s_branch .LBB2_7136
	.p2align	6
.LBB2_7135:                             ;   in Loop: Header=BB2_7133 Depth=3
	s_trap 2
	ds_read_b64 v[8:9], v0
	s_andn2_b32 s72, s72, exec_lo
	s_mov_b32 s63, 0
	s_waitcnt lgkmcnt(0)
	flat_load_dword v8, v[8:9] glc dlc
	s_waitcnt vmcnt(0) lgkmcnt(0)
	buffer_gl1_inv
	buffer_gl0_inv
	v_cmp_eq_u32_e32 vcc_lo, 0, v8
	s_and_b32 s73, vcc_lo, exec_lo
	s_or_b32 s72, s72, s73
	s_mov_b32 s74, -1
	s_or_b32 s62, s62, exec_lo
	s_and_saveexec_b32 s73, s72
	s_cbranch_execz .LBB2_7132
.LBB2_7136:                             ;   in Loop: Header=BB2_7133 Depth=3
	s_sleep 1
	s_trap 2
	ds_read_b64 v[8:9], v0
	s_waitcnt lgkmcnt(0)
	buffer_gl0_inv
	s_andn2_b32 s62, s62, exec_lo
	v_cmp_ge_u64_e32 vcc_lo, v[8:9], v[12:13]
	s_orn2_b32 s74, vcc_lo, exec_lo
	s_branch .LBB2_7132
.LBB2_7137:                             ;   in Loop: Header=BB2_7103 Depth=2
	s_inst_prefetch 0x2
	s_or_b32 exec_lo, exec_lo, s23
	s_and_saveexec_b32 s23, s61
	s_xor_b32 s23, exec_lo, s23
	s_cbranch_execz .LBB2_7139
; %bb.7138:                             ;   in Loop: Header=BB2_7103 Depth=2
	ds_write_b32 v0, v96
	s_trap 2
.LBB2_7139:                             ;   in Loop: Header=BB2_7103 Depth=2
	s_or_b32 exec_lo, exec_lo, s22
	;;#ASMSTART
	s_wakeup
	;;#ASMEND
.LBB2_7140:                             ;   in Loop: Header=BB2_7103 Depth=2
	s_or_b32 exec_lo, exec_lo, s21
.LBB2_7141:                             ;   in Loop: Header=BB2_7103 Depth=2
	s_andn2_saveexec_b32 s19, s19
	s_cbranch_execz .LBB2_7143
; %bb.7142:                             ;   in Loop: Header=BB2_7103 Depth=2
	s_waitcnt vmcnt(0) lgkmcnt(0)
	s_waitcnt_vscnt null, 0x0
	buffer_gl1_inv
	buffer_gl0_inv
	s_barrier
.LBB2_7143:                             ;   in Loop: Header=BB2_7103 Depth=2
	s_or_b32 exec_lo, exec_lo, s19
.LBB2_7144:                             ;   in Loop: Header=BB2_7103 Depth=2
	s_or_b32 exec_lo, exec_lo, s16
	v_sub_nc_u32_e32 v8, v3, v51
	v_min_i32_e32 v50, v50, v8
	s_and_saveexec_b32 s16, s15
	s_xor_b32 s19, exec_lo, s16
	s_cbranch_execz .LBB2_7148
; %bb.7145:                             ;   in Loop: Header=BB2_7103 Depth=2
	s_trap 2
	ds_read_b32 v8, v0
	v_cmp_lt_i32_e32 vcc_lo, 0, v50
	s_waitcnt lgkmcnt(0)
	v_readfirstlane_b32 s16, v8
	v_and_b32_e32 v8, 16, v81
	s_cmp_eq_u32 s16, 0
	v_cmp_ne_u32_e64 s16, 0, v8
	s_cselect_b32 s21, -1, 0
	s_and_b32 s21, vcc_lo, s21
	s_and_b32 s21, s16, s21
	s_and_saveexec_b32 s16, s21
	s_cbranch_execz .LBB2_7147
; %bb.7146:                             ;   in Loop: Header=BB2_7103 Depth=2
	s_waitcnt vmcnt(0)
	s_waitcnt_vscnt null, 0x0
	buffer_gl1_inv
	buffer_gl0_inv
.LBB2_7147:                             ;   in Loop: Header=BB2_7103 Depth=2
	s_or_b32 exec_lo, exec_lo, s16
.LBB2_7148:                             ;   in Loop: Header=BB2_7103 Depth=2
	s_andn2_saveexec_b32 s16, s19
	s_cbranch_execz .LBB2_7167
; %bb.7149:                             ;   in Loop: Header=BB2_7103 Depth=2
	s_and_saveexec_b32 s19, s29
	s_xor_b32 s19, exec_lo, s19
	s_cbranch_execz .LBB2_7164
; %bb.7150:                             ;   in Loop: Header=BB2_7103 Depth=2
	s_and_saveexec_b32 s21, s11
	s_cbranch_execz .LBB2_7163
; %bb.7151:                             ;   in Loop: Header=BB2_7103 Depth=2
	s_mov_b32 s23, exec_lo
	s_mov_b32 s22, exec_lo
	v_mbcnt_lo_u32_b32 v8, s23, 0
	;;#ASMSTART
	s_waitcnt lgkmcnt(0) vmcnt(0)
	;;#ASMEND
	v_cmpx_eq_u32_e32 0, v8
	s_cbranch_execz .LBB2_7153
; %bb.7152:                             ;   in Loop: Header=BB2_7103 Depth=2
	s_bcnt1_i32_b32 s23, s23
	v_mov_b32_e32 v9, v2
	v_mov_b32_e32 v8, s23
	s_waitcnt vmcnt(0) lgkmcnt(0)
	s_waitcnt_vscnt null, 0x0
	ds_add_u64 v0, v[8:9]
	s_trap 2
.LBB2_7153:                             ;   in Loop: Header=BB2_7103 Depth=2
	s_or_b32 exec_lo, exec_lo, s22
	s_trap 2
	ds_read_b64 v[8:9], v0
	s_waitcnt vmcnt(0) lgkmcnt(0)
	buffer_gl0_inv
	v_add_co_u32 v12, vcc_lo, v12, v83
	v_add_co_ci_u32_e64 v13, null, 0, v13, vcc_lo
	s_mov_b32 s22, exec_lo
	v_cmpx_lt_u64_e64 v[8:9], v[12:13]
	s_cbranch_execz .LBB2_7162
; %bb.7154:                             ;   in Loop: Header=BB2_7103 Depth=2
	s_mov_b32 s23, 0
	s_mov_b32 s63, 0
                                        ; implicit-def: $sgpr61
                                        ; implicit-def: $sgpr62
	s_inst_prefetch 0x1
	s_branch .LBB2_7156
	.p2align	6
.LBB2_7155:                             ;   in Loop: Header=BB2_7156 Depth=3
	s_or_b32 exec_lo, exec_lo, s73
	s_and_b32 s72, exec_lo, s74
	s_or_b32 s23, s72, s23
	s_andn2_b32 s61, s61, exec_lo
	s_and_b32 s72, s62, exec_lo
	s_or_b32 s61, s61, s72
	s_andn2_b32 exec_lo, exec_lo, s23
	s_cbranch_execz .LBB2_7160
.LBB2_7156:                             ;   Parent Loop BB2_47 Depth=1
                                        ;     Parent Loop BB2_7103 Depth=2
                                        ; =>    This Inner Loop Header: Depth=3
	s_add_i32 s63, s63, 1
	s_cmpk_lg_i32 s63, 0x2710
	s_cselect_b32 s72, -1, 0
	s_and_b32 vcc_lo, exec_lo, s72
	s_cbranch_vccz .LBB2_7158
; %bb.7157:                             ;   in Loop: Header=BB2_7156 Depth=3
	s_mov_b32 s74, -1
	s_or_b32 s62, s62, exec_lo
	s_and_saveexec_b32 s73, s72
	s_cbranch_execz .LBB2_7155
	s_branch .LBB2_7159
	.p2align	6
.LBB2_7158:                             ;   in Loop: Header=BB2_7156 Depth=3
	s_trap 2
	ds_read_b64 v[8:9], v0
	s_andn2_b32 s72, s72, exec_lo
	s_mov_b32 s63, 0
	s_waitcnt lgkmcnt(0)
	s_waitcnt_vscnt null, 0x0
	flat_load_dword v8, v[8:9] glc dlc
	s_waitcnt vmcnt(0) lgkmcnt(0)
	buffer_gl1_inv
	buffer_gl0_inv
	v_cmp_eq_u32_e32 vcc_lo, 0, v8
	s_and_b32 s73, vcc_lo, exec_lo
	s_or_b32 s72, s72, s73
	s_mov_b32 s74, -1
	s_or_b32 s62, s62, exec_lo
	s_and_saveexec_b32 s73, s72
	s_cbranch_execz .LBB2_7155
.LBB2_7159:                             ;   in Loop: Header=BB2_7156 Depth=3
	s_sleep 1
	s_trap 2
	ds_read_b64 v[8:9], v0
	s_waitcnt lgkmcnt(0)
	buffer_gl0_inv
	s_andn2_b32 s62, s62, exec_lo
	v_cmp_ge_u64_e32 vcc_lo, v[8:9], v[12:13]
	s_orn2_b32 s74, vcc_lo, exec_lo
	s_branch .LBB2_7155
.LBB2_7160:                             ;   in Loop: Header=BB2_7103 Depth=2
	s_inst_prefetch 0x2
	s_or_b32 exec_lo, exec_lo, s23
	s_and_saveexec_b32 s23, s61
	s_xor_b32 s23, exec_lo, s23
	s_cbranch_execz .LBB2_7162
; %bb.7161:                             ;   in Loop: Header=BB2_7103 Depth=2
	ds_write_b32 v0, v96
	s_trap 2
.LBB2_7162:                             ;   in Loop: Header=BB2_7103 Depth=2
	s_or_b32 exec_lo, exec_lo, s22
	;;#ASMSTART
	s_wakeup
	;;#ASMEND
.LBB2_7163:                             ;   in Loop: Header=BB2_7103 Depth=2
	s_or_b32 exec_lo, exec_lo, s21
.LBB2_7164:                             ;   in Loop: Header=BB2_7103 Depth=2
	s_andn2_saveexec_b32 s19, s19
	s_cbranch_execz .LBB2_7166
; %bb.7165:                             ;   in Loop: Header=BB2_7103 Depth=2
	;;#ASMSTART
	s_waitcnt lgkmcnt(0) vmcnt(0)
	;;#ASMEND
	s_barrier
.LBB2_7166:                             ;   in Loop: Header=BB2_7103 Depth=2
	s_or_b32 exec_lo, exec_lo, s19
.LBB2_7167:                             ;   in Loop: Header=BB2_7103 Depth=2
	s_or_b32 exec_lo, exec_lo, s16
	v_and_b32_e32 v8, 32, v81
	s_mov_b32 s16, exec_lo
	v_cmpx_ne_u32_e32 0, v8
	s_cbranch_execz .LBB2_7102
; %bb.7168:                             ;   in Loop: Header=BB2_7103 Depth=2
	v_add_co_u32 v38, vcc_lo, v38, 2
	v_add_co_ci_u32_e64 v39, null, 0, v39, vcc_lo
	s_waitcnt vmcnt(0) lgkmcnt(0)
	s_waitcnt_vscnt null, 0x0
	flat_store_dwordx2 v[20:21], v[38:39]
	s_branch .LBB2_7102
.LBB2_7169:
	s_or_b32 exec_lo, exec_lo, s27
.LBB2_7170:
	s_or_b32 exec_lo, exec_lo, s26
	v_and_b32_e32 v0, 0x800, v81
	s_mov_b32 s5, exec_lo
	v_cmpx_eq_u32_e32 0, v0
	s_cbranch_execz .LBB2_7203
; %bb.7171:
	v_and_b32_e32 v0, 48, v81
	s_mov_b32 s4, exec_lo
	v_cmpx_ne_u32_e32 0, v0
	s_cbranch_execz .LBB2_7173
; %bb.7172:
	flat_store_dwordx2 v[18:19], v[38:39] offset:104
.LBB2_7173:
	s_or_b32 exec_lo, exec_lo, s4
	v_and_b32_e32 v0, 0x88, v81
	s_mov_b32 s6, exec_lo
	v_cmpx_eq_u32_e32 0x88, v0
	s_cbranch_execz .LBB2_7183
; %bb.7174:
	v_add_nc_u32_e32 v0, 6, v38
	s_mov_b32 s7, 0
	v_and_b32_e32 v0, 7, v0
	v_mad_u64_u32 v[2:3], null, v0, 24, v[6:7]
	v_and_b32_e32 v0, 64, v81
	v_cmp_eq_u32_e64 s4, 0, v0
	flat_load_dwordx2 v[4:5], v[2:3] offset:8 glc dlc
	s_waitcnt vmcnt(0) lgkmcnt(0)
	v_cmp_ne_u64_e32 vcc_lo, -1, v[4:5]
	s_and_b32 s4, vcc_lo, s4
	s_and_b32 exec_lo, exec_lo, s4
	s_cbranch_execz .LBB2_7183
; %bb.7175:
	s_mov_b32 s11, 0
                                        ; implicit-def: $sgpr4
                                        ; implicit-def: $sgpr10
	s_inst_prefetch 0x1
	s_branch .LBB2_7178
	.p2align	6
.LBB2_7176:                             ;   in Loop: Header=BB2_7178 Depth=1
	flat_load_dwordx2 v[4:5], v[2:3] offset:8 glc dlc
	s_waitcnt vmcnt(0)
	s_andn2_b32 s10, s10, exec_lo
	s_waitcnt lgkmcnt(0)
	v_cmp_eq_u64_e32 vcc_lo, -1, v[4:5]
	s_orn2_b32 s13, vcc_lo, exec_lo
.LBB2_7177:                             ;   in Loop: Header=BB2_7178 Depth=1
	s_or_b32 exec_lo, exec_lo, s14
	s_and_b32 s12, exec_lo, s13
	s_or_b32 s7, s12, s7
	s_andn2_b32 s4, s4, exec_lo
	s_and_b32 s12, s10, exec_lo
	s_or_b32 s4, s4, s12
	s_andn2_b32 exec_lo, exec_lo, s7
	s_cbranch_execz .LBB2_7181
.LBB2_7178:                             ; =>This Inner Loop Header: Depth=1
	s_cmpk_lt_i32 s11, 0x270f
	s_cselect_b32 s12, -1, 0
	s_and_b32 vcc_lo, exec_lo, s12
	s_cbranch_vccnz .LBB2_7180
; %bb.7179:                             ;   in Loop: Header=BB2_7178 Depth=1
	s_trap 2
	ds_read_b64 v[4:5], v0
	s_andn2_b32 s12, s12, exec_lo
	s_mov_b32 s11, 0
	s_waitcnt lgkmcnt(0)
	s_waitcnt_vscnt null, 0x0
	flat_load_dword v0, v[4:5] glc dlc
	s_waitcnt vmcnt(0) lgkmcnt(0)
	buffer_gl1_inv
	buffer_gl0_inv
	v_cmp_eq_u32_e32 vcc_lo, 0, v0
	s_and_b32 s13, vcc_lo, exec_lo
	s_or_b32 s12, s12, s13
	s_mov_b32 s13, -1
	s_or_b32 s10, s10, exec_lo
	s_and_saveexec_b32 s14, s12
	s_cbranch_execz .LBB2_7177
	s_branch .LBB2_7176
	.p2align	6
.LBB2_7180:                             ;   in Loop: Header=BB2_7178 Depth=1
	s_add_i32 s11, s11, 1
                                        ; implicit-def: $vgpr0
	s_mov_b32 s13, -1
	s_or_b32 s10, s10, exec_lo
	s_and_saveexec_b32 s14, s12
	s_cbranch_execz .LBB2_7177
	s_branch .LBB2_7176
.LBB2_7181:
	s_inst_prefetch 0x2
	s_or_b32 exec_lo, exec_lo, s7
	s_and_saveexec_b32 s7, s4
	s_xor_b32 s7, exec_lo, s7
	s_cbranch_execz .LBB2_7183
; %bb.7182:
	s_waitcnt_vscnt null, 0x0
	ds_write_b32 v0, v0
	s_trap 2
.LBB2_7183:
	s_or_b32 exec_lo, exec_lo, s6
	v_and_b32_e32 v0, 0x2000, v81
	s_mov_b32 s4, exec_lo
	v_cmpx_ne_u32_e32 0, v0
	s_cbranch_execz .LBB2_7185
; %bb.7184:
	s_trap 2
	ds_read_b64 v[2:3], v0
	s_waitcnt lgkmcnt(0)
	flat_store_dwordx2 v[16:17], v[2:3] offset:16
.LBB2_7185:
	s_or_b32 exec_lo, exec_lo, s4
	v_cmp_ne_u32_e32 vcc_lo, 32, v1
	s_and_b32 exec_lo, exec_lo, vcc_lo
	s_cbranch_execz .LBB2_7203
; %bb.7186:
	s_waitcnt vmcnt(0)
	v_cmp_ne_u32_sdwa s4, v1, v80 src0_sel:DWORD src1_sel:WORD_0
	s_and_saveexec_b32 s6, s4
	s_xor_b32 s4, exec_lo, s6
	s_cbranch_execz .LBB2_7201
; %bb.7187:
	v_and_b32_e32 v0, 31, v31
	s_mov_b32 s6, exec_lo
	v_cmpx_eq_u32_e32 0, v0
	s_cbranch_execz .LBB2_7200
; %bb.7188:
	s_mov_b32 s10, exec_lo
	s_mov_b32 s7, exec_lo
	v_mbcnt_lo_u32_b32 v0, s10, 0
	s_waitcnt lgkmcnt(0)
	s_waitcnt_vscnt null, 0x0
	buffer_gl1_inv
	buffer_gl0_inv
	v_cmpx_eq_u32_e32 0, v0
	s_cbranch_execz .LBB2_7190
; %bb.7189:
	s_bcnt1_i32_b32 s10, s10
	v_mov_b32_e32 v3, 0
	v_mov_b32_e32 v2, s10
	ds_add_u64 v0, v[2:3]
	s_trap 2
.LBB2_7190:
	s_or_b32 exec_lo, exec_lo, s7
	s_trap 2
	ds_read_b64 v[2:3], v0
	s_waitcnt lgkmcnt(0)
	buffer_gl0_inv
	v_lshrrev_b32_e32 v0, 5, v1
	s_mov_b32 s7, exec_lo
	v_add_co_u32 v0, vcc_lo, v12, v0
	v_add_co_ci_u32_e64 v1, null, 0, v13, vcc_lo
	v_cmpx_lt_u64_e64 v[2:3], v[0:1]
	s_cbranch_execz .LBB2_7199
; %bb.7191:
	s_mov_b32 s10, 0
	s_mov_b32 s13, 0
                                        ; implicit-def: $sgpr11
                                        ; implicit-def: $sgpr12
	s_inst_prefetch 0x1
	s_branch .LBB2_7193
	.p2align	6
.LBB2_7192:                             ;   in Loop: Header=BB2_7193 Depth=1
	s_or_b32 exec_lo, exec_lo, s15
	s_and_b32 s14, exec_lo, s16
	s_or_b32 s10, s14, s10
	s_andn2_b32 s11, s11, exec_lo
	s_and_b32 s14, s12, exec_lo
	s_or_b32 s11, s11, s14
	s_andn2_b32 exec_lo, exec_lo, s10
	s_cbranch_execz .LBB2_7197
.LBB2_7193:                             ; =>This Inner Loop Header: Depth=1
	s_add_i32 s13, s13, 1
	s_cmpk_lg_i32 s13, 0x2710
	s_cselect_b32 s14, -1, 0
	s_and_b32 vcc_lo, exec_lo, s14
	s_cbranch_vccz .LBB2_7195
; %bb.7194:                             ;   in Loop: Header=BB2_7193 Depth=1
	s_mov_b32 s16, -1
	s_or_b32 s12, s12, exec_lo
	s_and_saveexec_b32 s15, s14
	s_cbranch_execz .LBB2_7192
	s_branch .LBB2_7196
.LBB2_7195:                             ;   in Loop: Header=BB2_7193 Depth=1
	s_trap 2
	ds_read_b64 v[2:3], v0
	s_andn2_b32 s14, s14, exec_lo
	s_mov_b32 s13, 0
	s_waitcnt lgkmcnt(0)
	flat_load_dword v2, v[2:3] glc dlc
	s_waitcnt vmcnt(0) lgkmcnt(0)
	buffer_gl1_inv
	buffer_gl0_inv
	v_cmp_eq_u32_e32 vcc_lo, 0, v2
	s_and_b32 s15, vcc_lo, exec_lo
	s_or_b32 s14, s14, s15
	s_mov_b32 s16, -1
	s_or_b32 s12, s12, exec_lo
	s_and_saveexec_b32 s15, s14
	s_cbranch_execz .LBB2_7192
.LBB2_7196:                             ;   in Loop: Header=BB2_7193 Depth=1
	s_sleep 1
	s_trap 2
	ds_read_b64 v[2:3], v0
	s_waitcnt lgkmcnt(0)
	buffer_gl0_inv
	s_andn2_b32 s12, s12, exec_lo
	v_cmp_ge_u64_e32 vcc_lo, v[2:3], v[0:1]
	s_orn2_b32 s16, vcc_lo, exec_lo
	s_branch .LBB2_7192
.LBB2_7197:
	s_inst_prefetch 0x2
	s_or_b32 exec_lo, exec_lo, s10
	s_and_saveexec_b32 s10, s11
	s_xor_b32 s10, exec_lo, s10
	s_cbranch_execz .LBB2_7199
; %bb.7198:
	v_mov_b32_e32 v0, 1
	ds_write_b32 v0, v0
	s_trap 2
.LBB2_7199:
	s_or_b32 exec_lo, exec_lo, s7
	;;#ASMSTART
	s_wakeup
	;;#ASMEND
.LBB2_7200:
	s_or_b32 exec_lo, exec_lo, s6
.LBB2_7201:
	s_andn2_saveexec_b32 s4, s4
	s_cbranch_execz .LBB2_7203
; %bb.7202:
	s_waitcnt lgkmcnt(0)
	s_waitcnt_vscnt null, 0x0
	buffer_gl1_inv
	buffer_gl0_inv
	s_barrier
.LBB2_7203:
	s_or_b32 exec_lo, exec_lo, s5
.LBB2_7204:
	s_andn2_saveexec_b32 s25, s24
	s_cbranch_execz .LBB2_7206
; %bb.7205:
	s_getpc_b64 s[4:5]
	s_add_u32 s4, s4, __PRETTY_FUNCTION__._ZN10PrimitivesI12rccl_bfloat813FuncPreMulSumIS0_E12FanSymmetricILi1EELi0E11ProtoSimpleILi2ELi2ELi0ELi1ELi0ELi0EELi0ELb0ELi0ELi0ELi0EEC2EiiPKiS9_PKvPvmhhhP15ncclDevWorkCollP14ncclDevWorkP2pii@rel32@lo+4
	s_addc_u32 s5, s5, __PRETTY_FUNCTION__._ZN10PrimitivesI12rccl_bfloat813FuncPreMulSumIS0_E12FanSymmetricILi1EELi0E11ProtoSimpleILi2ELi2ELi0ELi1ELi0ELi0EELi0ELb0ELi0ELi0ELi0EEC2EiiPKiS9_PKvPvmhhhP15ncclDevWorkCollP14ncclDevWorkP2pii@rel32@hi+12
	v_mov_b32_e32 v0, s4
	v_mov_b32_e32 v1, s5
	s_getpc_b64 s[6:7]
	s_add_u32 s6, s6, __assert_fail@rel32@lo+4
	s_addc_u32 s7, s7, __assert_fail@rel32@hi+12
	s_swappc_b64 s[30:31], s[6:7]
	; divergent unreachable
.LBB2_7206:
	s_or_b32 exec_lo, exec_lo, s25
	s_clause 0x29
	buffer_load_dword v121, off, s[0:3], s33
	buffer_load_dword v120, off, s[0:3], s33 offset:4
	buffer_load_dword v111, off, s[0:3], s33 offset:8
	;; [unrolled: 1-line block ×41, first 2 shown]
	v_readlane_b32 s30, v122, 0
	v_readlane_b32 s31, v122, 1
	s_mov_b32 s32, s33
	s_or_saveexec_b32 s4, -1
	buffer_load_dword v122, off, s[0:3], s33 offset:168 ; 4-byte Folded Reload
	s_mov_b32 exec_lo, s4
	s_mov_b32 s33, s88
	s_waitcnt vmcnt(0) lgkmcnt(0)
	s_setpc_b64 s[30:31]
.Lfunc_end2:
	.size	_ZN12_GLOBAL__N_17runRingI12rccl_bfloat813FuncPreMulSumIS1_E11ProtoSimpleILi2ELi2ELi0ELi1ELi0ELi0EELi0ELi0ELi1ELi0EEEviiP15ncclDevWorkColl, .Lfunc_end2-_ZN12_GLOBAL__N_17runRingI12rccl_bfloat813FuncPreMulSumIS1_E11ProtoSimpleILi2ELi2ELi0ELi1ELi0ELi0EELi0ELi0ELi1ELi0EEEviiP15ncclDevWorkColl
                                        ; -- End function
	.set .L_ZN12_GLOBAL__N_17runRingI12rccl_bfloat813FuncPreMulSumIS1_E11ProtoSimpleILi2ELi2ELi0ELi1ELi0ELi0EELi0ELi0ELi1ELi0EEEviiP15ncclDevWorkColl.num_vgpr, max(123, .L__assert_fail.num_vgpr)
	.set .L_ZN12_GLOBAL__N_17runRingI12rccl_bfloat813FuncPreMulSumIS1_E11ProtoSimpleILi2ELi2ELi0ELi1ELi0ELi0EELi0ELi0ELi1ELi0EEEviiP15ncclDevWorkColl.num_agpr, max(0, .L__assert_fail.num_agpr)
	.set .L_ZN12_GLOBAL__N_17runRingI12rccl_bfloat813FuncPreMulSumIS1_E11ProtoSimpleILi2ELi2ELi0ELi1ELi0ELi0EELi0ELi0ELi1ELi0EEEviiP15ncclDevWorkColl.numbered_sgpr, max(89, .L__assert_fail.numbered_sgpr)
	.set .L_ZN12_GLOBAL__N_17runRingI12rccl_bfloat813FuncPreMulSumIS1_E11ProtoSimpleILi2ELi2ELi0ELi1ELi0ELi0EELi0ELi0ELi1ELi0EEEviiP15ncclDevWorkColl.num_named_barrier, max(0, .L__assert_fail.num_named_barrier)
	.set .L_ZN12_GLOBAL__N_17runRingI12rccl_bfloat813FuncPreMulSumIS1_E11ProtoSimpleILi2ELi2ELi0ELi1ELi0ELi0EELi0ELi0ELi1ELi0EEEviiP15ncclDevWorkColl.private_seg_size, 176+max(.L__assert_fail.private_seg_size)
	.set .L_ZN12_GLOBAL__N_17runRingI12rccl_bfloat813FuncPreMulSumIS1_E11ProtoSimpleILi2ELi2ELi0ELi1ELi0ELi0EELi0ELi0ELi1ELi0EEEviiP15ncclDevWorkColl.uses_vcc, or(1, .L__assert_fail.uses_vcc)
	.set .L_ZN12_GLOBAL__N_17runRingI12rccl_bfloat813FuncPreMulSumIS1_E11ProtoSimpleILi2ELi2ELi0ELi1ELi0ELi0EELi0ELi0ELi1ELi0EEEviiP15ncclDevWorkColl.uses_flat_scratch, or(1, .L__assert_fail.uses_flat_scratch)
	.set .L_ZN12_GLOBAL__N_17runRingI12rccl_bfloat813FuncPreMulSumIS1_E11ProtoSimpleILi2ELi2ELi0ELi1ELi0ELi0EELi0ELi0ELi1ELi0EEEviiP15ncclDevWorkColl.has_dyn_sized_stack, or(0, .L__assert_fail.has_dyn_sized_stack)
	.set .L_ZN12_GLOBAL__N_17runRingI12rccl_bfloat813FuncPreMulSumIS1_E11ProtoSimpleILi2ELi2ELi0ELi1ELi0ELi0EELi0ELi0ELi1ELi0EEEviiP15ncclDevWorkColl.has_recursion, or(1, .L__assert_fail.has_recursion)
	.set .L_ZN12_GLOBAL__N_17runRingI12rccl_bfloat813FuncPreMulSumIS1_E11ProtoSimpleILi2ELi2ELi0ELi1ELi0ELi0EELi0ELi0ELi1ELi0EEEviiP15ncclDevWorkColl.has_indirect_call, or(0, .L__assert_fail.has_indirect_call)
	.section	.AMDGPU.csdata,"",@progbits
; Function info:
; codeLenInByte = 258288
; TotalNumSgprs: 91
; NumVgprs: 123
; ScratchSize: 240
; MemoryBound: 1
	.text
	.p2align	2                               ; -- Begin function _Z56ncclDevFunc_AllReduce_RING_SIMPLE_PreMulSum_f8e5m2_0_0_1v
	.type	_Z56ncclDevFunc_AllReduce_RING_SIMPLE_PreMulSum_f8e5m2_0_0_1v,@function
_Z56ncclDevFunc_AllReduce_RING_SIMPLE_PreMulSum_f8e5m2_0_0_1v: ; @_Z56ncclDevFunc_AllReduce_RING_SIMPLE_PreMulSum_f8e5m2_0_0_1v
; %bb.0:
	s_waitcnt vmcnt(0) expcnt(0) lgkmcnt(0)
	s_mov_b32 s94, s33
	s_mov_b32 s33, s32
	s_or_saveexec_b32 s4, -1
	buffer_store_dword v43, off, s[0:3], s33 offset:16 ; 4-byte Folded Spill
	s_mov_b32 exec_lo, s4
	s_addk_i32 s32, 0x400
	buffer_store_dword v40, off, s[0:3], s33 offset:12 ; 4-byte Folded Spill
	buffer_store_dword v41, off, s[0:3], s33 offset:8 ; 4-byte Folded Spill
	;; [unrolled: 1-line block ×3, first 2 shown]
	buffer_store_dword v122, off, s[0:3], s33 ; 4-byte Folded Spill
	v_writelane_b32 v43, s34, 0
	v_writelane_b32 v43, s35, 1
	v_writelane_b32 v43, s30, 2
	v_writelane_b32 v43, s31, 3
	s_trap 2
	ds_read_b32 v0, v0
	v_mov_b32_e32 v40, v31
	s_mov_b32 s89, s12
	s_mov_b64 s[90:91], s[8:9]
	s_mov_b32 s4, exec_lo
	v_and_b32_e32 v41, 0x3ff, v40
	s_waitcnt lgkmcnt(0)
	v_cmpx_lt_i32_e64 v41, v0
	s_cbranch_execz .LBB3_5
; %bb.1:
	s_load_dword s5, s[90:91], 0x0
	v_mov_b32_e32 v1, 0
	v_mov_b32_e32 v3, v41
                                        ; implicit-def: $vgpr4
	s_waitcnt lgkmcnt(0)
	s_cmp_lt_u32 s89, s5
	s_cselect_b32 s5, 12, 18
	s_add_u32 s6, s90, s5
	s_addc_u32 s7, s91, 0
	s_mov_b32 s5, 0
	global_load_ushort v1, v1, s[6:7]
	s_trap 2
	ds_read_b32 v2, v0
	s_mov_b32 s6, 0
	s_waitcnt vmcnt(0) lgkmcnt(0)
	v_mul_lo_u32 v2, v2, v1
	s_branch .LBB3_3
	.p2align	6
.LBB3_2:                                ;   in Loop: Header=BB3_3 Depth=1
	s_or_b32 exec_lo, exec_lo, s7
	v_add_nc_u32_e32 v3, v3, v1
	v_add_nc_u32_e32 v4, v4, v2
	v_cmp_ge_i32_e32 vcc_lo, v3, v0
	s_or_b32 s6, vcc_lo, s6
	s_andn2_b32 exec_lo, exec_lo, s6
	s_cbranch_execz .LBB3_5
.LBB3_3:                                ; =>This Inner Loop Header: Depth=1
	ds_read_b32 v5, v4
	s_mov_b32 s7, exec_lo
	s_waitcnt lgkmcnt(0)
	v_and_b32_e32 v5, 0x1000000, v5
	v_cmpx_ne_u32_e32 0, v5
	s_cbranch_execz .LBB3_2
; %bb.4:                                ;   in Loop: Header=BB3_3 Depth=1
	ds_read_b64 v[5:6], v4 offset:104
	s_waitcnt lgkmcnt(0)
	flat_load_ubyte v5, v[5:6]
	v_mov_b32_e32 v6, s5
	s_waitcnt vmcnt(0) lgkmcnt(0)
	v_and_b32_e32 v5, 0xffff, v5
	ds_write_b64 v4, v[5:6] offset:104
	s_branch .LBB3_2
.LBB3_5:
	s_or_b32 exec_lo, exec_lo, s4
	s_waitcnt lgkmcnt(0)
	s_waitcnt_vscnt null, 0x0
	s_barrier
	buffer_gl0_inv
	s_trap 2
	ds_read_b32 v0, v0
	s_waitcnt lgkmcnt(0)
	v_cmp_gt_i32_e32 vcc_lo, 1, v0
	s_cbranch_vccnz .LBB3_13
; %bb.6:
	v_mov_b32_e32 v42, 5
	s_mov_b32 s92, 0
	s_inst_prefetch 0x1
	s_branch .LBB3_8
	.p2align	6
.LBB3_7:                                ;   in Loop: Header=BB3_8 Depth=1
	s_or_b32 exec_lo, exec_lo, s93
	s_trap 2
	ds_read_b32 v0, v0
	s_add_i32 s92, s92, 1
	s_waitcnt lgkmcnt(0)
	v_cmp_lt_i32_e32 vcc_lo, s92, v0
	s_cbranch_vccz .LBB3_13
.LBB3_8:                                ; =>This Inner Loop Header: Depth=1
	s_trap 2
	ds_read_b32 v0, v0
	s_cmp_eq_u32 s92, 0
	s_cbranch_scc1 .LBB3_11
; %bb.9:                                ;   in Loop: Header=BB3_8 Depth=1
	s_trap 2
	s_waitcnt lgkmcnt(0)
	ds_read_b32 v1, v0
	s_waitcnt lgkmcnt(0)
	v_xor_b32_e32 v1, v1, v0
	v_and_b32_e32 v1, 0xff0000, v1
	v_cmp_eq_u32_e32 vcc_lo, 0, v1
	s_cbranch_vccnz .LBB3_11
; %bb.10:                               ;   in Loop: Header=BB3_8 Depth=1
	s_barrier
	buffer_gl0_inv
	ds_read_b32 v0, v0
.LBB3_11:                               ;   in Loop: Header=BB3_8 Depth=1
	s_waitcnt lgkmcnt(0)
	v_lshlrev_b32_sdwa v1, v42, v0 dst_sel:DWORD dst_unused:UNUSED_PAD src0_sel:DWORD src1_sel:BYTE_2
	s_mov_b32 s93, exec_lo
	v_cmpx_lt_u32_e64 v41, v1
	s_cbranch_execz .LBB3_7
; %bb.12:                               ;   in Loop: Header=BB3_8 Depth=1
	s_mov_b64 s[4:5], src_shared_base
	v_mov_b32_e32 v31, v40
	v_mov_b32_e32 v0, v41
	;; [unrolled: 1-line block ×3, first 2 shown]
	s_getpc_b64 s[6:7]
	s_add_u32 s6, s6, _ZN12_GLOBAL__N_17runRingI12rccl_bfloat813FuncPreMulSumIS1_E11ProtoSimpleILi2ELi2ELi0ELi1ELi0ELi0EELi0ELi0ELi1ELi0EEEviiP15ncclDevWorkColl@rel32@lo+4
	s_addc_u32 s7, s7, _ZN12_GLOBAL__N_17runRingI12rccl_bfloat813FuncPreMulSumIS1_E11ProtoSimpleILi2ELi2ELi0ELi1ELi0ELi0EELi0ELi0ELi1ELi0EEEviiP15ncclDevWorkColl@rel32@hi+12
	s_mov_b64 s[8:9], s[90:91]
	s_mov_b32 s12, s89
	s_swappc_b64 s[30:31], s[6:7]
	s_branch .LBB3_7
.LBB3_13:
	s_inst_prefetch 0x2
	s_clause 0x3
	buffer_load_dword v122, off, s[0:3], s33
	buffer_load_dword v42, off, s[0:3], s33 offset:4
	buffer_load_dword v41, off, s[0:3], s33 offset:8
	;; [unrolled: 1-line block ×3, first 2 shown]
	v_readlane_b32 s30, v43, 2
	v_readlane_b32 s31, v43, 3
	;; [unrolled: 1-line block ×4, first 2 shown]
	s_mov_b32 s32, s33
	s_or_saveexec_b32 s4, -1
	buffer_load_dword v43, off, s[0:3], s33 offset:16 ; 4-byte Folded Reload
	s_mov_b32 exec_lo, s4
	s_mov_b32 s33, s94
	s_waitcnt vmcnt(0)
	s_setpc_b64 s[30:31]
.Lfunc_end3:
	.size	_Z56ncclDevFunc_AllReduce_RING_SIMPLE_PreMulSum_f8e5m2_0_0_1v, .Lfunc_end3-_Z56ncclDevFunc_AllReduce_RING_SIMPLE_PreMulSum_f8e5m2_0_0_1v
                                        ; -- End function
	.set .L_Z56ncclDevFunc_AllReduce_RING_SIMPLE_PreMulSum_f8e5m2_0_0_1v.num_vgpr, max(123, .L_ZN12_GLOBAL__N_17runRingI12rccl_bfloat813FuncPreMulSumIS1_E11ProtoSimpleILi2ELi2ELi0ELi1ELi0ELi0EELi0ELi0ELi1ELi0EEEviiP15ncclDevWorkColl.num_vgpr)
	.set .L_Z56ncclDevFunc_AllReduce_RING_SIMPLE_PreMulSum_f8e5m2_0_0_1v.num_agpr, max(0, .L_ZN12_GLOBAL__N_17runRingI12rccl_bfloat813FuncPreMulSumIS1_E11ProtoSimpleILi2ELi2ELi0ELi1ELi0ELi0EELi0ELi0ELi1ELi0EEEviiP15ncclDevWorkColl.num_agpr)
	.set .L_Z56ncclDevFunc_AllReduce_RING_SIMPLE_PreMulSum_f8e5m2_0_0_1v.numbered_sgpr, max(95, .L_ZN12_GLOBAL__N_17runRingI12rccl_bfloat813FuncPreMulSumIS1_E11ProtoSimpleILi2ELi2ELi0ELi1ELi0ELi0EELi0ELi0ELi1ELi0EEEviiP15ncclDevWorkColl.numbered_sgpr)
	.set .L_Z56ncclDevFunc_AllReduce_RING_SIMPLE_PreMulSum_f8e5m2_0_0_1v.num_named_barrier, max(0, .L_ZN12_GLOBAL__N_17runRingI12rccl_bfloat813FuncPreMulSumIS1_E11ProtoSimpleILi2ELi2ELi0ELi1ELi0ELi0EELi0ELi0ELi1ELi0EEEviiP15ncclDevWorkColl.num_named_barrier)
	.set .L_Z56ncclDevFunc_AllReduce_RING_SIMPLE_PreMulSum_f8e5m2_0_0_1v.private_seg_size, 32+max(.L_ZN12_GLOBAL__N_17runRingI12rccl_bfloat813FuncPreMulSumIS1_E11ProtoSimpleILi2ELi2ELi0ELi1ELi0ELi0EELi0ELi0ELi1ELi0EEEviiP15ncclDevWorkColl.private_seg_size)
	.set .L_Z56ncclDevFunc_AllReduce_RING_SIMPLE_PreMulSum_f8e5m2_0_0_1v.uses_vcc, or(1, .L_ZN12_GLOBAL__N_17runRingI12rccl_bfloat813FuncPreMulSumIS1_E11ProtoSimpleILi2ELi2ELi0ELi1ELi0ELi0EELi0ELi0ELi1ELi0EEEviiP15ncclDevWorkColl.uses_vcc)
	.set .L_Z56ncclDevFunc_AllReduce_RING_SIMPLE_PreMulSum_f8e5m2_0_0_1v.uses_flat_scratch, or(0, .L_ZN12_GLOBAL__N_17runRingI12rccl_bfloat813FuncPreMulSumIS1_E11ProtoSimpleILi2ELi2ELi0ELi1ELi0ELi0EELi0ELi0ELi1ELi0EEEviiP15ncclDevWorkColl.uses_flat_scratch)
	.set .L_Z56ncclDevFunc_AllReduce_RING_SIMPLE_PreMulSum_f8e5m2_0_0_1v.has_dyn_sized_stack, or(0, .L_ZN12_GLOBAL__N_17runRingI12rccl_bfloat813FuncPreMulSumIS1_E11ProtoSimpleILi2ELi2ELi0ELi1ELi0ELi0EELi0ELi0ELi1ELi0EEEviiP15ncclDevWorkColl.has_dyn_sized_stack)
	.set .L_Z56ncclDevFunc_AllReduce_RING_SIMPLE_PreMulSum_f8e5m2_0_0_1v.has_recursion, or(1, .L_ZN12_GLOBAL__N_17runRingI12rccl_bfloat813FuncPreMulSumIS1_E11ProtoSimpleILi2ELi2ELi0ELi1ELi0ELi0EELi0ELi0ELi1ELi0EEEviiP15ncclDevWorkColl.has_recursion)
	.set .L_Z56ncclDevFunc_AllReduce_RING_SIMPLE_PreMulSum_f8e5m2_0_0_1v.has_indirect_call, or(0, .L_ZN12_GLOBAL__N_17runRingI12rccl_bfloat813FuncPreMulSumIS1_E11ProtoSimpleILi2ELi2ELi0ELi1ELi0ELi0EELi0ELi0ELi1ELi0EEEviiP15ncclDevWorkColl.has_indirect_call)
	.section	.AMDGPU.csdata,"",@progbits
; Function info:
; codeLenInByte = 744
; TotalNumSgprs: 97
; NumVgprs: 123
; ScratchSize: 272
; MemoryBound: 0
	.text
	.p2align	2                               ; -- Begin function _ZN12_GLOBAL__N_17runRingI12rccl_bfloat813FuncPreMulSumIS1_E11ProtoSimpleILi2ELi2ELi0ELi2ELi0ELi0EELi0ELi0ELi2ELi0EEEviiP15ncclDevWorkColl
	.type	_ZN12_GLOBAL__N_17runRingI12rccl_bfloat813FuncPreMulSumIS1_E11ProtoSimpleILi2ELi2ELi0ELi2ELi0ELi0EELi0ELi0ELi2ELi0EEEviiP15ncclDevWorkColl,@function
_ZN12_GLOBAL__N_17runRingI12rccl_bfloat813FuncPreMulSumIS1_E11ProtoSimpleILi2ELi2ELi0ELi2ELi0ELi0EELi0ELi0ELi2ELi0EEEviiP15ncclDevWorkColl: ; @_ZN12_GLOBAL__N_17runRingI12rccl_bfloat813FuncPreMulSumIS1_E11ProtoSimpleILi2ELi2ELi0ELi2ELi0ELi0EELi0ELi0ELi2ELi0EEEviiP15ncclDevWorkColl
; %bb.0:
	s_waitcnt vmcnt(0) expcnt(0) lgkmcnt(0)
	s_mov_b32 s88, s33
	s_mov_b32 s33, s32
	s_or_saveexec_b32 s4, -1
	buffer_store_dword v127, off, s[0:3], s33 offset:280 ; 4-byte Folded Spill
	s_mov_b32 exec_lo, s4
	s_addk_i32 s32, 0x2400
	buffer_store_dword v40, off, s[0:3], s33 offset:184 ; 4-byte Folded Spill
	buffer_store_dword v41, off, s[0:3], s33 offset:180 ; 4-byte Folded Spill
	;; [unrolled: 1-line block ×46, first 2 shown]
	buffer_store_dword v126, off, s[0:3], s33 ; 4-byte Folded Spill
	v_writelane_b32 v127, s30, 0
	v_writelane_b32 v127, s31, 1
	s_trap 2
	flat_load_dword v4, v[2:3]
	ds_read_b32 v5, v0
	v_mov_b32_e32 v17, v1
                                        ; implicit-def: $vgpr14_vgpr15
                                        ; implicit-def: $vgpr6_vgpr7
                                        ; kill: killed $vgpr6_vgpr7
                                        ; implicit-def: $vgpr19_vgpr20
	s_waitcnt lgkmcnt(0)
	v_readfirstlane_b32 s25, v5
	s_waitcnt vmcnt(0)
	v_cmp_ne_u32_sdwa s4, v5, v4 src0_sel:DWORD src1_sel:BYTE_0
	s_and_saveexec_b32 s5, s4
	s_xor_b32 s4, exec_lo, s5
	s_cbranch_execz .LBB4_6
; %bb.1:
	v_not_b32_sdwa v1, v4 dst_sel:DWORD dst_unused:UNUSED_PAD src0_sel:BYTE_0
	v_cmp_ne_u32_sdwa s5, v5, v4 src0_sel:DWORD src1_sel:BYTE_1
                                        ; implicit-def: $vgpr14_vgpr15
                                        ; implicit-def: $vgpr6_vgpr7
                                        ; kill: killed $vgpr6_vgpr7
                                        ; implicit-def: $vgpr19_vgpr20
	s_and_saveexec_b32 s6, s5
	s_xor_b32 s5, exec_lo, s6
	s_cbranch_execz .LBB4_3
; %bb.2:
	s_clause 0x1
	flat_load_dwordx4 v[6:9], v[2:3] offset:72
	flat_load_dwordx2 v[10:11], v[2:3] offset:96
	v_add_nc_u32_e32 v1, v5, v1
	v_ashrrev_i32_e32 v4, 31, v1
	s_waitcnt vmcnt(1) lgkmcnt(1)
	v_mul_lo_u32 v4, v8, v4
	v_mad_u64_u32 v[5:6], null, v8, v1, v[6:7]
	v_mul_lo_u32 v1, v9, v1
	v_mov_b32_e32 v20, v9
	s_waitcnt vmcnt(0) lgkmcnt(0)
	v_lshrrev_b64 v[14:15], 12, v[10:11]
	v_mov_b32_e32 v19, v8
	v_add3_u32 v6, v1, v6, v4
                                        ; implicit-def: $vgpr4
                                        ; implicit-def: $vgpr1
	buffer_store_dword v5, off, s[0:3], s33 offset:220 ; 4-byte Folded Spill
	buffer_store_dword v6, off, s[0:3], s33 offset:224 ; 4-byte Folded Spill
.LBB4_3:
	s_andn2_saveexec_b32 s5, s5
	s_cbranch_execz .LBB4_5
; %bb.4:
	s_clause 0x1
	flat_load_dwordx4 v[5:8], v[2:3] offset:72
	flat_load_dwordx4 v[19:22], v[2:3] offset:88
	v_add_nc_u32_sdwa v1, v4, v1 dst_sel:DWORD dst_unused:UNUSED_PAD src0_sel:BYTE_1 src1_sel:DWORD
	v_ashrrev_i32_e32 v4, 31, v1
	s_waitcnt vmcnt(1) lgkmcnt(1)
	v_mul_lo_u32 v4, v7, v4
	v_mad_u64_u32 v[5:6], null, v7, v1, v[5:6]
	v_mul_lo_u32 v1, v8, v1
	s_waitcnt vmcnt(0) lgkmcnt(0)
	v_lshrrev_b32_e32 v14, 1, v22
	v_add3_u32 v6, v1, v6, v4
	buffer_store_dword v5, off, s[0:3], s33 offset:220 ; 4-byte Folded Spill
	buffer_store_dword v6, off, s[0:3], s33 offset:224 ; 4-byte Folded Spill
.LBB4_5:
	s_or_b32 exec_lo, exec_lo, s5
.LBB4_6:
	s_andn2_saveexec_b32 s4, s4
	s_cbranch_execz .LBB4_8
; %bb.7:
	s_clause 0x1
	flat_load_dwordx2 v[4:5], v[2:3] offset:96
	flat_load_dwordx2 v[19:20], v[2:3] offset:72
	s_waitcnt vmcnt(1) lgkmcnt(1)
	v_lshlrev_b64 v[14:15], 9, v[4:5]
	v_mov_b32_e32 v4, 0
	v_mov_b32_e32 v5, 0
	buffer_store_dword v4, off, s[0:3], s33 offset:220 ; 4-byte Folded Spill
	buffer_store_dword v5, off, s[0:3], s33 offset:224 ; 4-byte Folded Spill
.LBB4_8:
	s_or_b32 exec_lo, exec_lo, s4
	s_trap 2
	ds_read_b64 v[4:5], v0
	s_mov_b32 s5, exec_lo
	s_waitcnt lgkmcnt(0)
	v_cmp_ne_u32_e32 vcc_lo, -1, v4
	v_cndmask_b32_e64 v1, 0, 1, vcc_lo
	v_cmp_ne_u32_e32 vcc_lo, -1, v5
	v_add_co_ci_u32_e64 v4, null, 0, v1, vcc_lo
	v_lshlrev_b32_e32 v5, 1, v4
	v_cmpx_le_u32_e64 v5, v17
	s_xor_b32 s24, exec_lo, s5
	s_cbranch_execnz .LBB4_9
; %bb.10727:
	s_getpc_b64 s[34:35]
.Lpost_getpc7:
	s_add_u32 s34, s34, (.LBB4_10720-.Lpost_getpc7)&4294967295
	s_addc_u32 s35, s35, (.LBB4_10720-.Lpost_getpc7)>>32
	s_setpc_b64 s[34:35]
.LBB4_9:
	s_clause 0x3
	flat_load_dwordx4 v[10:13], v[2:3] offset:16
	flat_load_dwordx2 v[28:29], v[2:3] offset:104
	flat_load_ushort v7, v[2:3] offset:8
	flat_load_dword v6, v[2:3] offset:4
	s_trap 2
	s_load_dword s4, s[8:9], 0x0
	v_mov_b32_e32 v5, 0
	v_mov_b32_e32 v84, 4
	s_waitcnt lgkmcnt(0)
	s_cmp_lt_u32 s12, s4
	s_cselect_b32 s4, 12, 18
	s_add_u32 s4, s8, s4
	s_addc_u32 s5, s9, 0
	global_load_ushort v18, v5, s[4:5]
	ds_read_b32 v5, v0
	s_mov_b32 s5, exec_lo
	s_waitcnt lgkmcnt(0)
	v_readfirstlane_b32 s15, v5
	v_cmpx_ge_u32_e64 v0, v1
	s_cbranch_execz .LBB4_19
; %bb.10:
	v_cmp_ge_u32_e64 s4, v0, v4
                                        ; implicit-def: $vgpr84
	s_and_saveexec_b32 s6, s4
	s_xor_b32 s4, exec_lo, s6
	s_cbranch_execz .LBB4_16
; %bb.11:
	v_cndmask_b32_e64 v5, 0, 1, vcc_lo
	s_mov_b32 s6, exec_lo
	v_sub_nc_u32_e32 v5, v17, v5
	v_cmpx_ge_u32_e64 v0, v5
	s_xor_b32 s6, exec_lo, s6
; %bb.12:
                                        ; implicit-def: $vgpr4
; %bb.13:
	s_or_saveexec_b32 s6, s6
	v_mov_b32_e32 v84, 16
	s_xor_b32 exec_lo, exec_lo, s6
; %bb.14:
	v_sub_nc_u32_e32 v4, v17, v4
	v_cmp_lt_i32_e32 vcc_lo, v0, v4
	v_cndmask_b32_e64 v84, 32, 0, vcc_lo
; %bb.15:
	s_or_b32 exec_lo, exec_lo, s6
.LBB4_16:
	s_andn2_saveexec_b32 s4, s4
; %bb.17:
	v_mov_b32_e32 v84, 8
; %bb.18:
	s_or_b32 exec_lo, exec_lo, s4
.LBB4_19:
	s_or_b32 exec_lo, exec_lo, s5
	v_and_b32_e32 v4, 36, v84
	v_mov_b32_e32 v8, -1
	v_cmp_ne_u32_e32 vcc_lo, 0, v4
	s_and_saveexec_b32 s4, vcc_lo
	s_cbranch_execz .LBB4_21
; %bb.20:
	s_trap 2
	ds_read_b32 v8, v0
.LBB4_21:
	s_or_b32 exec_lo, exec_lo, s4
	v_and_b32_e32 v4, 24, v84
	s_mov_b32 s5, exec_lo
	v_cmpx_ne_u32_e32 0, v4
	s_cbranch_execz .LBB4_23
; %bb.22:
	s_trap 2
	s_waitcnt lgkmcnt(0)
	ds_read_b32 v8, v0
.LBB4_23:
	s_or_b32 exec_lo, exec_lo, s5
	s_waitcnt vmcnt(1)
	v_lshrrev_b64 v[4:5], 31, v[6:7]
	v_mov_b32_e32 v34, 0
	v_mov_b32_e32 v6, 0
	;; [unrolled: 1-line block ×4, first 2 shown]
                                        ; implicit-def: $vgpr15_vgpr16
                                        ; kill: killed $vgpr15_vgpr16
                                        ; implicit-def: $vgpr85
                                        ; implicit-def: $vgpr48_vgpr49
                                        ; implicit-def: $vgpr24_vgpr25
                                        ; implicit-def: $vgpr32_vgpr33
                                        ; implicit-def: $vgpr22_vgpr23
	v_and_b32_e32 v4, 3, v4
	s_and_saveexec_b32 s4, vcc_lo
	s_cbranch_execz .LBB4_33
; %bb.24:
	s_trap 2
	ds_read_b64 v[5:6], v0
	s_waitcnt lgkmcnt(1)
	v_ashrrev_i32_e32 v9, 31, v8
	v_and_b32_e32 v7, 0xffff, v4
	v_lshlrev_b64 v[15:16], 3, v[8:9]
	s_waitcnt lgkmcnt(0)
	v_add_co_u32 v5, vcc_lo, v5, v15
	v_add_co_ci_u32_e64 v6, null, v6, v16, vcc_lo
	flat_load_dwordx2 v[5:6], v[5:6]
	s_waitcnt vmcnt(0) lgkmcnt(0)
	v_mad_u64_u32 v[26:27], null, 0xa8, v7, v[5:6]
	flat_load_dword v5, v[26:27] offset:640
	s_waitcnt vmcnt(0) lgkmcnt(0)
	v_cmp_eq_u32_e32 vcc_lo, 1, v5
                                        ; implicit-def: $vgpr5_vgpr6
                                        ; kill: killed $vgpr5_vgpr6
	s_and_saveexec_b32 s5, vcc_lo
	s_cbranch_execz .LBB4_26
; %bb.25:
	flat_load_dwordx2 v[15:16], v[26:27] offset:648
	v_or_b32_e32 v84, 0x2000, v84
	s_waitcnt vmcnt(0) lgkmcnt(0)
	flat_load_dwordx2 v[5:6], v[15:16]
	s_trap 2
	s_waitcnt vmcnt(0) lgkmcnt(0)
	ds_write_b64 v0, v[5:6]
	flat_load_dwordx2 v[5:6], v[15:16] offset:8
	s_waitcnt vmcnt(0) lgkmcnt(0)
	ds_write_b64 v0, v[5:6]
	buffer_store_dword v15, off, s[0:3], s33 offset:272 ; 4-byte Folded Spill
	buffer_store_dword v16, off, s[0:3], s33 offset:276 ; 4-byte Folded Spill
	flat_load_dwordx2 v[5:6], v[15:16] offset:16
	s_waitcnt vmcnt(0) lgkmcnt(0)
	ds_write_b64 v0, v[5:6]
.LBB4_26:
	s_or_b32 exec_lo, exec_lo, s5
	flat_load_dwordx2 v[5:6], v[26:27] offset:608
	v_and_b32_e32 v7, 32, v84
	s_mov_b32 s5, exec_lo
                                        ; implicit-def: $vgpr22_vgpr23
	s_waitcnt vmcnt(0) lgkmcnt(0)
	v_add_co_u32 v5, vcc_lo, v5, 3
	v_add_co_ci_u32_e64 v49, null, 0, v6, vcc_lo
	v_and_b32_e32 v48, -4, v5
	v_cmpx_ne_u32_e32 0, v7
	s_cbranch_execz .LBB4_28
; %bb.27:
	flat_load_dwordx2 v[22:23], v[26:27] offset:560
	s_waitcnt vmcnt(0) lgkmcnt(0)
	s_waitcnt_vscnt null, 0x0
	flat_store_dwordx2 v[22:23], v[48:49]
.LBB4_28:
	s_or_b32 exec_lo, exec_lo, s5
	v_add_co_u32 v34, vcc_lo, 0x1f8, v26
	v_mov_b32_e32 v6, 0
	v_and_b32_e32 v5, 4, v84
	v_add_co_ci_u32_e64 v35, null, 0, v27, vcc_lo
	v_mov_b32_e32 v7, 0
	s_mov_b32 s5, exec_lo
                                        ; implicit-def: $vgpr85
                                        ; implicit-def: $vgpr24_vgpr25
                                        ; implicit-def: $vgpr32_vgpr33
	v_cmpx_ne_u32_e32 0, v5
	s_cbranch_execz .LBB4_32
; %bb.29:
	v_and_b32_e32 v5, 0x800, v84
	s_mov_b32 s6, exec_lo
	v_cmpx_eq_u32_e32 0, v5
	s_cbranch_execz .LBB4_31
; %bb.30:
	s_trap 2
	ds_write_b64 v0, v[34:35]
.LBB4_31:
	s_or_b32 exec_lo, exec_lo, s6
	flat_load_dwordx2 v[22:23], v[26:27] offset:552
	v_or_b32_e32 v5, 0x100, v84
	s_waitcnt vmcnt(0) lgkmcnt(0)
	flat_load_dwordx2 v[32:33], v[22:23] glc dlc
	s_clause 0x2
	flat_load_dwordx2 v[6:7], v[26:27] offset:600
	flat_load_dword v85, v[26:27] offset:576
	flat_load_dwordx2 v[24:25], v[26:27] offset:520
	s_waitcnt vmcnt(2) lgkmcnt(2)
	v_cmp_eq_u64_e32 vcc_lo, 0, v[6:7]
	v_cndmask_b32_e32 v84, v5, v84, vcc_lo
.LBB4_32:
	s_or_b32 exec_lo, exec_lo, s5
.LBB4_33:
	s_or_b32 exec_lo, exec_lo, s4
	v_and_b32_e32 v5, 24, v84
	s_mov_b32 s4, exec_lo
                                        ; implicit-def: $vgpr26_vgpr27
	v_cmpx_ne_u32_e32 0, v5
	s_cbranch_execz .LBB4_41
; %bb.34:
	s_trap 2
	ds_read_b64 v[5:6], v0
	s_waitcnt lgkmcnt(1)
	v_ashrrev_i32_e32 v9, 31, v8
	v_and_b32_e32 v4, 0xffff, v4
	s_mov_b32 s5, exec_lo
                                        ; implicit-def: $vgpr26_vgpr27
	v_lshlrev_b64 v[7:8], 3, v[8:9]
	s_waitcnt lgkmcnt(0)
	v_add_co_u32 v5, vcc_lo, v5, v7
	v_add_co_ci_u32_e64 v6, null, v6, v8, vcc_lo
	flat_load_dwordx2 v[5:6], v[5:6]
	s_waitcnt vmcnt(0) lgkmcnt(0)
	v_mad_u64_u32 v[34:35], null, 0xa8, v4, v[5:6]
	v_or_b32_e32 v4, 0x100, v84
	flat_load_dwordx4 v[6:9], v[34:35] offset:96
	s_waitcnt vmcnt(0) lgkmcnt(0)
	v_cmp_eq_u64_e32 vcc_lo, 0, v[6:7]
	v_cndmask_b32_e32 v84, v4, v84, vcc_lo
	v_and_b32_e32 v4, 16, v84
	v_cmpx_ne_u32_e32 0, v4
	s_cbranch_execz .LBB4_36
; %bb.35:
	s_clause 0x2
	flat_load_dwordx2 v[22:23], v[34:35] offset:48
	flat_load_dwordx2 v[26:27], v[34:35] offset:120
	;; [unrolled: 1-line block ×3, first 2 shown]
.LBB4_36:
	s_or_b32 exec_lo, exec_lo, s5
	v_add_co_u32 v4, vcc_lo, v8, 3
	v_and_b32_e32 v5, 8, v84
	v_add_co_ci_u32_e64 v49, null, 0, v9, vcc_lo
	v_and_b32_e32 v48, -4, v4
	s_mov_b32 s5, exec_lo
	v_cmpx_ne_u32_e32 0, v5
	s_cbranch_execz .LBB4_40
; %bb.37:
	v_and_b32_e32 v4, 0x800, v84
	s_mov_b32 s6, exec_lo
	v_cmpx_eq_u32_e32 0, v4
	s_cbranch_execz .LBB4_39
; %bb.38:
	s_trap 2
	ds_write_b64 v0, v[34:35]
.LBB4_39:
	s_or_b32 exec_lo, exec_lo, s6
	s_waitcnt vmcnt(2) lgkmcnt(2)
	flat_load_dwordx2 v[22:23], v[34:35] offset:56
	s_waitcnt vmcnt(0) lgkmcnt(0)
	flat_load_dwordx2 v[32:33], v[22:23] glc dlc
	s_clause 0x1
	flat_load_dword v85, v[34:35] offset:72
	flat_load_dwordx2 v[24:25], v[34:35] offset:16
.LBB4_40:
	s_or_b32 exec_lo, exec_lo, s5
.LBB4_41:
	s_or_b32 exec_lo, exec_lo, s4
	v_cmp_eq_u32_e64 s4, 0, v0
	s_and_saveexec_b32 s5, s4
	s_cbranch_execz .LBB4_43
; %bb.42:
	flat_load_dwordx2 v[4:5], v[2:3] offset:32
	s_waitcnt lgkmcnt(1)
	v_mov_b32_e32 v8, v12
	v_mov_b32_e32 v9, v13
	ds_write2_b64 v0, v[8:9], v[10:11] offset1:1
	s_trap 2
	s_waitcnt vmcnt(0) lgkmcnt(1)
	ds_write_b64 v0, v[4:5]
	ds_write_b64 v0, v[28:29]
.LBB4_43:
	s_or_b32 exec_lo, exec_lo, s5
	v_mov_b32_e32 v28, 0
	v_mov_b32_e32 v29, 0
	s_mov_b32 s26, exec_lo
	v_cmpx_lt_i64_e32 0, v[19:20]
	s_cbranch_execnz .LBB4_44
; %bb.10729:
	s_getpc_b64 s[34:35]
.Lpost_getpc8:
	s_add_u32 s34, s34, (.LBB4_10686-.Lpost_getpc8)&4294967295
	s_addc_u32 s35, s35, (.LBB4_10686-.Lpost_getpc8)>>32
	s_setpc_b64 s[34:35]
.LBB4_44:
	buffer_store_dword v34, off, s[0:3], s33 offset:264 ; 4-byte Folded Spill
	buffer_store_dword v35, off, s[0:3], s33 offset:268 ; 4-byte Folded Spill
	flat_load_dword v3, v[2:3] offset:4
	s_ashr_i32 s28, s25, 31
	v_and_b32_e32 v4, 31, v31
	v_and_b32_e32 v5, 31, v0
	s_add_u32 s40, s25, -1
	s_addc_u32 s41, s28, -1
	s_add_i32 s42, s25, s25
	s_not_b32 s11, s25
	s_cmp_gt_i32 s25, 0
	s_waitcnt lgkmcnt(1)
	v_lshrrev_b32_e32 v8, 5, v0
	s_cselect_b32 s16, s11, -1
	v_cmp_eq_u32_e64 s11, 0, v4
	v_lshlrev_b32_e32 v4, 4, v5
	v_lshrrev_b32_e32 v87, 5, v17
	v_cmp_lt_u32_e64 s13, v5, v1
	v_cmp_le_u32_e64 s14, v5, v1
	v_and_b32_e32 v98, 0x1fe0, v17
	v_lshl_or_b32 v1, v8, 10, v4
	v_lshlrev_b32_e32 v117, 9, v87
	s_ashr_i32 s17, s15, 31
	s_add_i32 s43, s16, s42
	v_subrev_nc_u32_e32 v119, 32, v98
	buffer_store_dword v1, off, s[0:3], s33 offset:196 ; 4-byte Folded Spill
	s_lshr_b32 s16, s17, 25
	v_add_nc_u32_e32 v41, 0xfffffe00, v117
	s_add_i32 s15, s15, s16
	s_ashr_i32 s44, s43, 31
	s_ashr_i32 s45, s15, 7
	v_ashrrev_i32_e32 v42, 31, v119
	s_cmp_gt_i32 s25, 2
	v_ashrrev_i32_e32 v44, 31, v41
	v_mov_b32_e32 v2, 0
	s_cselect_b32 s46, -1, 0
	s_add_i32 s17, s25, 1
	v_add_co_u32 v45, s16, v119, 32
	v_and_b32_e32 v38, 0x3ffffe00, v14
	v_add_co_ci_u32_e64 v46, null, 0, v42, s16
	v_add_co_u32 v47, s16, 0x200, v41
	v_cmp_ge_u32_e32 vcc_lo, v0, v17
	v_mov_b32_e32 v15, 0
	s_waitcnt vmcnt(2)
	v_cmp_eq_u64_e64 s7, 0, v[26:27]
	v_cmp_ne_u64_e64 s10, 0, v[26:27]
	v_mov_b32_e32 v28, 0
	v_add_co_ci_u32_e64 v56, null, 0, v44, s16
	v_ashrrev_i32_e32 v86, 31, v85
	v_cmp_eq_u32_e64 s5, 32, v17
	v_cmp_ne_u32_e64 s6, 32, v17
	s_waitcnt vmcnt(1)
	v_cmp_ne_u32_sdwa s29, v17, v18 src0_sel:DWORD src1_sel:WORD_0
	v_mov_b32_e32 v16, 0
	v_mov_b32_e32 v99, 1
	;; [unrolled: 1-line block ×11, first 2 shown]
	v_cmp_eq_u32_e64 s12, 0, v5
	v_lshlrev_b32_e32 v116, 11, v87
	v_lshlrev_b32_e32 v118, 10, v87
	v_lshl_or_b32 v43, v8, 11, v4
	buffer_store_dword v18, off, s[0:3], s33 offset:260 ; 4-byte Folded Spill
	buffer_store_dword v17, off, s[0:3], s33 offset:252 ; 4-byte Folded Spill
	v_mad_i64_i32 v[17:18], null, v38, s25, 0
	s_mov_b32 s27, 0
	buffer_store_dword v31, off, s[0:3], s33 offset:256 ; 4-byte Folded Spill
	s_trap 2
	buffer_store_dword v19, off, s[0:3], s33 offset:228 ; 4-byte Folded Spill
	buffer_store_dword v20, off, s[0:3], s33 offset:232 ; 4-byte Folded Spill
	;; [unrolled: 1-line block ×6, first 2 shown]
	s_waitcnt vmcnt(0) lgkmcnt(0)
	v_and_b32_e32 v1, 1, v3
	v_cmp_eq_u32_e64 s15, 1, v1
	s_xor_b32 s47, s15, -1
	s_cmp_ge_i32 s17, s25
	s_cselect_b32 s16, s25, 0
	s_add_i32 s56, s25, -2
	s_sub_i32 s58, s17, s16
	s_xor_b32 s57, vcc_lo, -1
	s_ashr_i32 s20, s28, 31
	s_ashr_i32 s59, s58, 31
	s_sub_i32 s60, 0, s25
	s_branch .LBB4_47
.LBB4_45:                               ;   in Loop: Header=BB4_47 Depth=1
	s_or_b32 exec_lo, exec_lo, s18
.LBB4_46:                               ;   in Loop: Header=BB4_47 Depth=1
	s_or_b32 exec_lo, exec_lo, s17
	s_waitcnt vmcnt(1)
	v_add_co_u32 v15, vcc_lo, v15, v17
	s_waitcnt vmcnt(0)
	v_add_co_ci_u32_e64 v16, null, v16, v18, vcc_lo
	v_cmp_ge_i64_e32 vcc_lo, v[15:16], v[19:20]
	s_or_b32 s27, vcc_lo, s27
	s_andn2_b32 exec_lo, exec_lo, s27
	s_cbranch_execnz .LBB4_47
; %bb.10731:
	s_getpc_b64 s[34:35]
.Lpost_getpc9:
	s_add_u32 s34, s34, (.LBB4_10685-.Lpost_getpc9)&4294967295
	s_addc_u32 s35, s35, (.LBB4_10685-.Lpost_getpc9)>>32
	s_setpc_b64 s[34:35]
.LBB4_47:                               ; =>This Loop Header: Depth=1
                                        ;     Child Loop BB4_57 Depth 2
                                        ;       Child Loop BB4_65 Depth 3
                                        ;       Child Loop BB4_89 Depth 3
	;; [unrolled: 1-line block ×9, first 2 shown]
                                        ;     Child Loop BB4_1781 Depth 2
                                        ;       Child Loop BB4_1787 Depth 3
                                        ;       Child Loop BB4_1811 Depth 3
                                        ;       Child Loop BB4_1834 Depth 3
                                        ;     Child Loop BB4_1853 Depth 2
                                        ;       Child Loop BB4_1856 Depth 3
                                        ;         Child Loop BB4_1864 Depth 4
                                        ;         Child Loop BB4_1892 Depth 4
	;; [unrolled: 1-line block ×9, first 2 shown]
                                        ;       Child Loop BB4_4632 Depth 3
                                        ;         Child Loop BB4_4638 Depth 4
                                        ;         Child Loop BB4_4666 Depth 4
	;; [unrolled: 1-line block ×3, first 2 shown]
                                        ;     Child Loop BB4_4707 Depth 2
                                        ;       Child Loop BB4_4715 Depth 3
                                        ;       Child Loop BB4_4743 Depth 3
	;; [unrolled: 1-line block ×5, first 2 shown]
                                        ;         Child Loop BB4_6635 Depth 4
                                        ;       Child Loop BB4_6741 Depth 3
                                        ;       Child Loop BB4_7391 Depth 3
                                        ;         Child Loop BB4_7434 Depth 4
                                        ;       Child Loop BB4_7456 Depth 3
                                        ;       Child Loop BB4_8749 Depth 3
	;; [unrolled: 1-line block ×6, first 2 shown]
                                        ;     Child Loop BB4_10148 Depth 2
                                        ;       Child Loop BB4_10154 Depth 3
                                        ;       Child Loop BB4_10182 Depth 3
	;; [unrolled: 1-line block ×3, first 2 shown]
                                        ;     Child Loop BB4_10223 Depth 2
                                        ;       Child Loop BB4_10226 Depth 3
                                        ;         Child Loop BB4_10234 Depth 4
                                        ;         Child Loop BB4_10262 Depth 4
	;; [unrolled: 1-line block ×5, first 2 shown]
                                        ;           Child Loop BB4_10314 Depth 5
                                        ;         Child Loop BB4_10321 Depth 4
                                        ;         Child Loop BB4_10326 Depth 4
                                        ;           Child Loop BB4_10327 Depth 5
                                        ;         Child Loop BB4_10339 Depth 4
                                        ;         Child Loop BB4_10344 Depth 4
	;; [unrolled: 1-line block ×6, first 2 shown]
                                        ;       Child Loop BB4_10403 Depth 3
                                        ;         Child Loop BB4_10409 Depth 4
                                        ;         Child Loop BB4_10437 Depth 4
	;; [unrolled: 1-line block ×3, first 2 shown]
                                        ;     Child Loop BB4_10481 Depth 2
                                        ;       Child Loop BB4_10489 Depth 3
                                        ;       Child Loop BB4_10513 Depth 3
	;; [unrolled: 1-line block ×9, first 2 shown]
                                        ;     Child Loop BB4_10619 Depth 2
                                        ;       Child Loop BB4_10625 Depth 3
                                        ;       Child Loop BB4_10649 Depth 3
	;; [unrolled: 1-line block ×3, first 2 shown]
	v_sub_co_u32 v3, vcc_lo, v19, v15
	v_sub_co_ci_u32_e64 v4, null, v20, v16, vcc_lo
	s_mov_b32 s17, exec_lo
	buffer_store_dword v3, off, s[0:3], s33 offset:188 ; 4-byte Folded Spill
	buffer_store_dword v4, off, s[0:3], s33 offset:192 ; 4-byte Folded Spill
	v_cmpx_lt_i64_e64 v[3:4], v[17:18]
	s_cbranch_execz .LBB4_53
; %bb.48:                               ;   in Loop: Header=BB4_47 Depth=1
	s_clause 0x1
	buffer_load_dword v3, off, s[0:3], s33 offset:188
	buffer_load_dword v4, off, s[0:3], s33 offset:192
                                        ; implicit-def: $vgpr8_vgpr9
	s_mov_b32 s16, exec_lo
	s_waitcnt vmcnt(1)
	v_add_co_u32 v1, vcc_lo, s40, v3
	s_waitcnt vmcnt(0)
	v_add_co_ci_u32_e64 v4, null, s41, v4, vcc_lo
	v_or_b32_e32 v3, s28, v4
	v_cmpx_ne_u64_e32 0, v[2:3]
	s_xor_b32 s22, exec_lo, s16
	s_cbranch_execz .LBB4_50
; %bb.49:                               ;   in Loop: Header=BB4_47 Depth=1
	s_add_u32 s18, s25, s20
	s_mov_b32 s21, s20
	s_addc_u32 s19, s28, s20
	v_ashrrev_i32_e32 v12, 31, v4
	s_xor_b64 s[18:19], s[18:19], s[20:21]
	v_cvt_f32_u32_e32 v3, s18
	v_cvt_f32_u32_e32 v5, s19
	s_sub_u32 s16, 0, s18
	s_subb_u32 s61, 0, s19
	v_add_co_u32 v1, vcc_lo, v1, v12
	v_fmac_f32_e32 v3, 0x4f800000, v5
	v_xor_b32_e32 v1, v1, v12
	v_rcp_f32_e32 v3, v3
	v_mul_f32_e32 v3, 0x5f7ffffc, v3
	v_mul_f32_e32 v5, 0x2f800000, v3
	v_trunc_f32_e32 v5, v5
	v_fmac_f32_e32 v3, 0xcf800000, v5
	v_cvt_u32_f32_e32 v5, v5
	v_cvt_u32_f32_e32 v3, v3
	v_readfirstlane_b32 s21, v5
	v_readfirstlane_b32 s23, v3
	s_mul_i32 s62, s16, s21
	v_add_co_ci_u32_e64 v3, null, v4, v12, vcc_lo
	s_mul_hi_u32 s72, s16, s23
	s_mul_i32 s63, s61, s23
	s_add_i32 s62, s72, s62
	s_mul_i32 s73, s16, s23
	s_add_i32 s62, s62, s63
	s_mul_hi_u32 s72, s23, s73
	s_mul_i32 s75, s23, s62
	s_mul_hi_u32 s74, s21, s73
	s_mul_i32 s63, s21, s73
	s_mul_hi_u32 s73, s23, s62
	s_add_u32 s72, s72, s75
	s_addc_u32 s73, 0, s73
	s_mul_hi_u32 s76, s21, s62
	s_add_u32 s63, s72, s63
	s_mul_i32 s62, s21, s62
	s_addc_u32 s63, s73, s74
	s_addc_u32 s72, s76, 0
	s_add_u32 s62, s63, s62
	s_addc_u32 s63, 0, s72
	s_add_u32 s23, s23, s62
	s_cselect_b32 s62, -1, 0
	s_mul_hi_u32 s72, s16, s23
	s_cmp_lg_u32 s62, 0
	s_mul_i32 s62, s16, s23
	s_addc_u32 s21, s21, s63
	s_mul_i32 s61, s61, s23
	s_mul_i32 s16, s16, s21
	s_mul_hi_u32 s63, s23, s62
	s_add_i32 s16, s72, s16
	s_mul_hi_u32 s72, s21, s62
	s_add_i32 s16, s16, s61
	s_mul_i32 s61, s21, s62
	s_mul_i32 s74, s23, s16
	s_mul_hi_u32 s73, s23, s16
	s_add_u32 s63, s63, s74
	s_addc_u32 s73, 0, s73
	s_mul_hi_u32 s62, s21, s16
	s_add_u32 s61, s63, s61
	s_mul_i32 s16, s21, s16
	s_addc_u32 s61, s73, s72
	s_addc_u32 s62, s62, 0
	s_add_u32 s16, s61, s16
	s_addc_u32 s61, 0, s62
	s_add_u32 s16, s23, s16
	s_cselect_b32 s23, -1, 0
	v_xor_b32_e32 v5, v3, v12
	s_cmp_lg_u32 s23, 0
	v_mul_hi_u32 v13, v1, s16
	s_addc_u32 s21, s21, s61
	v_mad_u64_u32 v[3:4], null, v1, s21, 0
	v_mad_u64_u32 v[8:9], null, v5, s16, 0
	;; [unrolled: 1-line block ×3, first 2 shown]
	v_add_co_u32 v3, vcc_lo, v13, v3
	v_add_co_ci_u32_e64 v4, null, 0, v4, vcc_lo
	v_add_co_u32 v3, vcc_lo, v3, v8
	v_add_co_ci_u32_e32 v3, vcc_lo, v4, v9, vcc_lo
	v_add_co_ci_u32_e32 v4, vcc_lo, 0, v11, vcc_lo
	v_add_co_u32 v8, vcc_lo, v3, v10
	v_add_co_ci_u32_e64 v9, null, 0, v4, vcc_lo
	v_mul_lo_u32 v10, s19, v8
	v_mad_u64_u32 v[3:4], null, s18, v8, 0
	v_mul_lo_u32 v11, s18, v9
	v_sub_co_u32 v1, vcc_lo, v1, v3
	v_add3_u32 v4, v4, v11, v10
	v_sub_nc_u32_e32 v10, v5, v4
	v_sub_co_ci_u32_e64 v4, null, v5, v4, vcc_lo
	v_subrev_co_ci_u32_e64 v3, null, s19, v10, vcc_lo
	v_add_co_u32 v10, s16, v8, 2
	v_add_co_ci_u32_e64 v11, null, 0, v9, s16
	v_sub_co_u32 v13, s16, v1, s18
	v_subrev_co_ci_u32_e64 v3, null, 0, v3, s16
	v_cmp_le_u32_e32 vcc_lo, s18, v13
	v_cndmask_b32_e64 v5, 0, -1, vcc_lo
	v_cmp_le_u32_e32 vcc_lo, s19, v3
	v_cndmask_b32_e64 v13, 0, -1, vcc_lo
	;; [unrolled: 2-line block ×4, first 2 shown]
	v_cmp_eq_u32_e32 vcc_lo, s19, v3
	v_cndmask_b32_e32 v3, v13, v5, vcc_lo
	v_add_co_u32 v5, vcc_lo, v8, 1
	v_add_co_ci_u32_e64 v13, null, 0, v9, vcc_lo
	v_cmp_eq_u32_e32 vcc_lo, s19, v4
	v_xor_b32_e32 v4, s20, v12
	v_cndmask_b32_e32 v1, v14, v1, vcc_lo
	v_cmp_ne_u32_e32 vcc_lo, 0, v3
	v_cmp_ne_u32_e64 s16, 0, v1
	v_cndmask_b32_e32 v1, v5, v10, vcc_lo
	v_cndmask_b32_e32 v3, v13, v11, vcc_lo
	v_cndmask_b32_e64 v1, v8, v1, s16
	v_cndmask_b32_e64 v3, v9, v3, s16
	v_xor_b32_e32 v1, v1, v4
	v_xor_b32_e32 v3, v3, v4
	v_sub_co_u32 v8, vcc_lo, v1, v4
	v_sub_co_ci_u32_e64 v9, null, v3, v4, vcc_lo
                                        ; implicit-def: $vgpr1
.LBB4_50:                               ;   in Loop: Header=BB4_47 Depth=1
	s_andn2_saveexec_b32 s16, s22
	s_cbranch_execz .LBB4_52
; %bb.51:                               ;   in Loop: Header=BB4_47 Depth=1
	v_cvt_f32_u32_e32 v3, s25
	v_mov_b32_e32 v9, v2
	v_rcp_iflag_f32_e32 v3, v3
	v_mul_f32_e32 v3, 0x4f7ffffe, v3
	v_cvt_u32_f32_e32 v3, v3
	v_mul_lo_u32 v4, s60, v3
	v_mul_hi_u32 v4, v3, v4
	v_add_nc_u32_e32 v3, v3, v4
	v_mul_hi_u32 v3, v1, v3
	v_mul_lo_u32 v4, v3, s25
	v_sub_nc_u32_e32 v1, v1, v4
	v_add_nc_u32_e32 v4, 1, v3
	v_subrev_nc_u32_e32 v5, s25, v1
	v_cmp_le_u32_e32 vcc_lo, s25, v1
	v_cndmask_b32_e32 v1, v1, v5, vcc_lo
	v_cndmask_b32_e32 v3, v3, v4, vcc_lo
	v_cmp_le_u32_e32 vcc_lo, s25, v1
	v_add_nc_u32_e32 v4, 1, v3
	v_cndmask_b32_e32 v8, v3, v4, vcc_lo
.LBB4_52:                               ;   in Loop: Header=BB4_47 Depth=1
	s_or_b32 exec_lo, exec_lo, s16
	v_add_co_u32 v1, vcc_lo, v8, 15
	v_add_co_ci_u32_e64 v39, null, 0, v9, vcc_lo
	v_and_b32_e32 v38, -16, v1
.LBB4_53:                               ;   in Loop: Header=BB4_47 Depth=1
	s_or_b32 exec_lo, exec_lo, s17
	v_mul_lo_u32 v1, v39, s43
	v_mul_lo_u32 v3, v38, s44
	v_mad_u64_u32 v[8:9], null, v38, s43, 0
	v_mov_b32_e32 v71, 0
	v_add3_u32 v9, v9, v3, v1
	s_clause 0x1
	buffer_load_dword v3, off, s[0:3], s33 offset:188
	buffer_load_dword v4, off, s[0:3], s33 offset:192
	s_waitcnt vmcnt(1)
	v_sub_co_u32 v3, vcc_lo, v3, v8
	buffer_store_dword v8, off, s[0:3], s33 offset:200 ; 4-byte Folded Spill
	buffer_store_dword v9, off, s[0:3], s33 offset:204 ; 4-byte Folded Spill
	s_waitcnt vmcnt(0)
	v_sub_co_ci_u32_e64 v4, null, v4, v9, vcc_lo
	s_clause 0x1
	buffer_load_dword v8, off, s[0:3], s33 offset:220
	buffer_load_dword v9, off, s[0:3], s33 offset:224
	v_cmp_lt_i64_e32 vcc_lo, v[38:39], v[3:4]
	v_cndmask_b32_e32 v3, v3, v38, vcc_lo
	v_max_i32_e32 v70, 0, v3
	v_add_nc_u32_e32 v1, 31, v70
	v_lshrrev_b32_e32 v1, 1, v1
	v_and_b32_e32 v4, 0x3ffffff0, v1
	v_mov_b32_e32 v1, 0
	v_max_i32_e32 v12, s45, v4
	s_waitcnt vmcnt(1)
	v_add_co_u32 v57, vcc_lo, v15, v8
	buffer_store_dword v15, off, s[0:3], s33 offset:212 ; 4-byte Folded Spill
	buffer_store_dword v16, off, s[0:3], s33 offset:216 ; 4-byte Folded Spill
	s_waitcnt vmcnt(0)
	v_add_co_ci_u32_e64 v58, null, v16, v9, vcc_lo
	v_cmp_lt_i32_e32 vcc_lo, 0, v3
	s_and_b32 s16, s57, vcc_lo
	s_and_saveexec_b32 s18, s16
	s_cbranch_execz .LBB4_1777
; %bb.54:                               ;   in Loop: Header=BB4_47 Depth=1
	v_mov_b32_e32 v71, 0
	s_mov_b32 s22, 1
	s_mov_b32 s21, -1
	s_mov_b32 s19, 0
	s_branch .LBB4_57
.LBB4_55:                               ;   in Loop: Header=BB4_57 Depth=2
	s_or_b32 exec_lo, exec_lo, s17
	v_add_co_u32 v48, vcc_lo, v48, 2
	v_add_co_ci_u32_e64 v49, null, 0, v49, vcc_lo
	s_waitcnt vmcnt(0) lgkmcnt(0)
	s_waitcnt_vscnt null, 0x0
	flat_store_dwordx2 v[22:23], v[48:49]
.LBB4_56:                               ;   in Loop: Header=BB4_57 Depth=2
	s_or_b32 exec_lo, exec_lo, s16
	v_add_nc_u32_e32 v71, v12, v71
	s_xor_b32 s16, s21, -1
	v_mov_b32_e32 v1, s22
	s_mov_b32 s21, 0
	s_mov_b32 s22, 2
	v_cmp_ge_i32_e32 vcc_lo, v71, v70
	s_or_b32 s16, s16, vcc_lo
	s_and_b32 s16, exec_lo, s16
	s_or_b32 s19, s16, s19
	s_andn2_b32 exec_lo, exec_lo, s19
	s_cbranch_execz .LBB4_1776
.LBB4_57:                               ;   Parent Loop BB4_47 Depth=1
                                        ; =>  This Loop Header: Depth=2
                                        ;       Child Loop BB4_65 Depth 3
                                        ;       Child Loop BB4_89 Depth 3
	;; [unrolled: 1-line block ×9, first 2 shown]
	s_and_saveexec_b32 s16, s4
	s_cbranch_execz .LBB4_59
; %bb.58:                               ;   in Loop: Header=BB4_57 Depth=2
	s_trap 2
	ds_read_b64 v[3:4], v0
	s_clause 0x1
	buffer_load_dword v8, off, s[0:3], s33 offset:200
	buffer_load_dword v9, off, s[0:3], s33 offset:204
	v_ashrrev_i32_e32 v5, 31, v71
	s_waitcnt lgkmcnt(0)
	v_add_co_u32 v1, vcc_lo, v3, v57
	v_add_co_ci_u32_e64 v3, null, v4, v58, vcc_lo
	s_waitcnt vmcnt(1)
	v_add_co_u32 v1, vcc_lo, v1, v8
	s_waitcnt vmcnt(0)
	v_add_co_ci_u32_e64 v3, null, v3, v9, vcc_lo
	v_add_co_u32 v4, vcc_lo, v1, v71
	v_add_co_ci_u32_e64 v5, null, v3, v5, vcc_lo
	v_mov_b32_e32 v3, v2
	ds_write_b64 v0, v[4:5]
	ds_write_b64 v0, v[2:3]
.LBB4_59:                               ;   in Loop: Header=BB4_57 Depth=2
	s_or_b32 exec_lo, exec_lo, s16
	v_sub_nc_u32_e32 v1, v70, v71
	v_and_b32_e32 v3, 8, v84
	s_mov_b32 s17, exec_lo
	v_min_i32_e32 v12, v12, v1
	v_cmpx_ne_u32_e32 0, v3
	s_cbranch_execz .LBB4_81
; %bb.60:                               ;   in Loop: Header=BB4_57 Depth=2
	s_waitcnt vmcnt(0) lgkmcnt(1)
	v_add_co_u32 v3, vcc_lo, v32, 8
	v_add_co_ci_u32_e64 v4, null, 0, v33, vcc_lo
	v_add_co_u32 v8, vcc_lo, v48, 2
	v_add_co_ci_u32_e64 v9, null, 0, v49, vcc_lo
	s_mov_b32 s23, exec_lo
	v_cmpx_lt_u64_e64 v[3:4], v[8:9]
	s_cbranch_execz .LBB4_72
; %bb.61:                               ;   in Loop: Header=BB4_57 Depth=2
	v_and_b32_e32 v1, 64, v84
	s_mov_b32 s61, 0
	s_mov_b32 s73, 0
                                        ; implicit-def: $sgpr62
                                        ; implicit-def: $sgpr63
                                        ; implicit-def: $sgpr72
	v_cmp_eq_u32_e32 vcc_lo, 0, v1
	s_branch .LBB4_65
.LBB4_62:                               ;   in Loop: Header=BB4_65 Depth=3
	s_waitcnt vmcnt(0) lgkmcnt(0)
	v_add_co_u32 v3, s16, v32, 8
	v_add_co_ci_u32_e64 v4, null, 0, v33, s16
	s_or_b32 s76, s76, exec_lo
	v_cmp_ge_u64_e64 s16, v[3:4], v[8:9]
	s_orn2_b32 s75, s16, exec_lo
.LBB4_63:                               ;   in Loop: Header=BB4_65 Depth=3
	s_or_b32 exec_lo, exec_lo, s78
	s_andn2_b32 s16, s72, exec_lo
	s_and_b32 s72, s76, exec_lo
	s_andn2_b32 s63, s63, exec_lo
	s_and_b32 s75, s75, exec_lo
	s_or_b32 s72, s16, s72
	s_or_b32 s63, s63, s75
.LBB4_64:                               ;   in Loop: Header=BB4_65 Depth=3
	s_or_b32 exec_lo, exec_lo, s74
	s_and_b32 s16, exec_lo, s63
	s_or_b32 s61, s16, s61
	s_andn2_b32 s16, s62, exec_lo
	s_and_b32 s62, s72, exec_lo
	s_or_b32 s62, s16, s62
	s_andn2_b32 exec_lo, exec_lo, s61
	s_cbranch_execz .LBB4_69
.LBB4_65:                               ;   Parent Loop BB4_47 Depth=1
                                        ;     Parent Loop BB4_57 Depth=2
                                        ; =>    This Inner Loop Header: Depth=3
	s_sleep 1
	s_waitcnt vmcnt(0) lgkmcnt(0)
	flat_load_dwordx2 v[32:33], v[22:23] glc dlc
	s_or_b32 s72, s72, exec_lo
	s_or_b32 s63, s63, exec_lo
                                        ; implicit-def: $vgpr1
	s_and_saveexec_b32 s74, vcc_lo
	s_cbranch_execz .LBB4_64
; %bb.66:                               ;   in Loop: Header=BB4_65 Depth=3
	s_cmpk_lt_i32 s73, 0x270f
	s_mov_b32 s75, -1
	s_cselect_b32 s77, -1, 0
	s_cmpk_gt_i32 s73, 0x270e
	s_cbranch_scc0 .LBB4_68
; %bb.67:                               ;   in Loop: Header=BB4_65 Depth=3
	s_trap 2
	ds_read_b64 v[3:4], v0
	s_andn2_b32 s73, s77, exec_lo
	s_mov_b32 s76, 0
	s_waitcnt vmcnt(0) lgkmcnt(0)
	s_waitcnt_vscnt null, 0x0
	flat_load_dword v1, v[3:4] glc dlc
	s_waitcnt vmcnt(0) lgkmcnt(0)
	buffer_gl1_inv
	buffer_gl0_inv
	v_cmp_eq_u32_e64 s16, 0, v1
	s_and_b32 s16, s16, exec_lo
	s_or_b32 s77, s73, s16
	s_mov_b32 s73, 0
	s_and_saveexec_b32 s78, s77
	s_cbranch_execz .LBB4_63
	s_branch .LBB4_62
.LBB4_68:                               ;   in Loop: Header=BB4_65 Depth=3
	s_add_i32 s73, s73, 1
	s_mov_b32 s76, -1
                                        ; implicit-def: $vgpr1
	s_and_saveexec_b32 s78, s77
	s_cbranch_execz .LBB4_63
	s_branch .LBB4_62
.LBB4_69:                               ;   in Loop: Header=BB4_57 Depth=2
	s_or_b32 exec_lo, exec_lo, s61
	s_xor_b32 s16, s62, -1
	s_and_saveexec_b32 s61, s16
	s_xor_b32 s16, exec_lo, s61
	s_cbranch_execz .LBB4_71
; %bb.70:                               ;   in Loop: Header=BB4_57 Depth=2
	v_or_b32_e32 v84, 64, v84
	s_waitcnt vmcnt(0) lgkmcnt(0)
	s_waitcnt_vscnt null, 0x0
	ds_write_b32 v0, v1
	s_trap 2
.LBB4_71:                               ;   in Loop: Header=BB4_57 Depth=2
	s_or_b32 exec_lo, exec_lo, s16
.LBB4_72:                               ;   in Loop: Header=BB4_57 Depth=2
	s_or_b32 exec_lo, exec_lo, s23
	v_and_b32_e32 v1, 0x100, v84
	s_mov_b32 s16, -1
	;;#ASMSTART
	s_wakeup
	;;#ASMEND
                                        ; implicit-def: $vgpr10_vgpr11
	v_cmp_ne_u32_e32 vcc_lo, 0, v1
	v_and_b32_e32 v1, 7, v48
	s_and_saveexec_b32 s23, vcc_lo
	s_cbranch_execz .LBB4_76
; %bb.73:                               ;   in Loop: Header=BB4_57 Depth=2
	v_mad_u64_u32 v[48:49], null, v1, 24, v[6:7]
	v_ashrrev_i32_e32 v13, 31, v12
	s_mov_b32 s61, exec_lo
                                        ; implicit-def: $vgpr10_vgpr11
	flat_load_dword v3, v[48:49]
	flat_store_dwordx2 v[48:49], v[12:13] offset:8
	s_waitcnt vmcnt(0) lgkmcnt(1)
	v_cmp_ne_u32_e32 vcc_lo, 1, v3
	v_cmpx_eq_u32_e32 1, v3
	s_cbranch_execz .LBB4_75
; %bb.74:                               ;   in Loop: Header=BB4_57 Depth=2
	flat_load_dword v10, v[48:49] offset:4 glc dlc
	s_waitcnt vmcnt(0) lgkmcnt(0)
	v_ashrrev_i32_e32 v11, 31, v10
.LBB4_75:                               ;   in Loop: Header=BB4_57 Depth=2
	s_or_b32 exec_lo, exec_lo, s61
	s_orn2_b32 s16, vcc_lo, exec_lo
.LBB4_76:                               ;   in Loop: Header=BB4_57 Depth=2
	s_or_b32 exec_lo, exec_lo, s23
	s_and_saveexec_b32 s23, s16
; %bb.77:                               ;   in Loop: Header=BB4_57 Depth=2
	v_mad_i64_i32 v[10:11], null, v1, v85, 0
; %bb.78:                               ;   in Loop: Header=BB4_57 Depth=2
	s_or_b32 exec_lo, exec_lo, s23
	v_add_co_u32 v3, vcc_lo, v24, v10
	v_and_b32_e32 v1, 0x2000, v84
	v_add_co_ci_u32_e64 v4, null, v25, v11, vcc_lo
	s_mov_b32 s16, exec_lo
	ds_write_b64 v0, v[3:4] offset:784
	v_cmpx_ne_u32_e32 0, v1
	s_cbranch_execz .LBB4_80
; %bb.79:                               ;   in Loop: Header=BB4_57 Depth=2
	ds_read_b64 v[3:4], v0 offset:872
	s_waitcnt lgkmcnt(0)
	v_add_co_u32 v3, vcc_lo, v3, 1
	v_add_co_ci_u32_e64 v4, null, 0, v4, vcc_lo
	ds_write_b64 v0, v[3:4] offset:872
.LBB4_80:                               ;   in Loop: Header=BB4_57 Depth=2
	s_or_b32 exec_lo, exec_lo, s16
	v_mov_b32_e32 v49, v9
	v_mov_b32_e32 v48, v8
.LBB4_81:                               ;   in Loop: Header=BB4_57 Depth=2
	s_or_b32 exec_lo, exec_lo, s17
	s_and_saveexec_b32 s16, s6
	s_cbranch_execz .LBB4_100
; %bb.82:                               ;   in Loop: Header=BB4_57 Depth=2
	s_and_saveexec_b32 s17, s29
	s_xor_b32 s17, exec_lo, s17
	s_cbranch_execz .LBB4_97
; %bb.83:                               ;   in Loop: Header=BB4_57 Depth=2
	s_and_saveexec_b32 s23, s11
	s_cbranch_execz .LBB4_96
; %bb.84:                               ;   in Loop: Header=BB4_57 Depth=2
	s_mov_b32 s62, exec_lo
	s_mov_b32 s61, exec_lo
	v_mbcnt_lo_u32_b32 v1, s62, 0
	s_waitcnt vmcnt(0) lgkmcnt(0)
	s_waitcnt_vscnt null, 0x0
	buffer_gl1_inv
	buffer_gl0_inv
	v_cmpx_eq_u32_e32 0, v1
	s_cbranch_execz .LBB4_86
; %bb.85:                               ;   in Loop: Header=BB4_57 Depth=2
	s_bcnt1_i32_b32 s62, s62
	v_mov_b32_e32 v4, v2
	v_mov_b32_e32 v3, s62
	ds_add_u64 v0, v[3:4]
	s_trap 2
.LBB4_86:                               ;   in Loop: Header=BB4_57 Depth=2
	s_or_b32 exec_lo, exec_lo, s61
	s_trap 2
	ds_read_b64 v[3:4], v0
	s_waitcnt lgkmcnt(0)
	buffer_gl0_inv
	v_add_co_u32 v28, vcc_lo, v28, v87
	v_add_co_ci_u32_e64 v29, null, 0, v29, vcc_lo
	s_mov_b32 s61, exec_lo
	v_cmpx_lt_u64_e64 v[3:4], v[28:29]
	s_cbranch_execz .LBB4_95
; %bb.87:                               ;   in Loop: Header=BB4_57 Depth=2
	s_mov_b32 s62, 0
	s_mov_b32 s73, 0
                                        ; implicit-def: $sgpr63
                                        ; implicit-def: $sgpr72
	s_inst_prefetch 0x1
	s_branch .LBB4_89
	.p2align	6
.LBB4_88:                               ;   in Loop: Header=BB4_89 Depth=3
	s_or_b32 exec_lo, exec_lo, s75
	s_and_b32 s74, exec_lo, s76
	s_or_b32 s62, s74, s62
	s_andn2_b32 s63, s63, exec_lo
	s_and_b32 s74, s72, exec_lo
	s_or_b32 s63, s63, s74
	s_andn2_b32 exec_lo, exec_lo, s62
	s_cbranch_execz .LBB4_93
.LBB4_89:                               ;   Parent Loop BB4_47 Depth=1
                                        ;     Parent Loop BB4_57 Depth=2
                                        ; =>    This Inner Loop Header: Depth=3
	s_add_i32 s73, s73, 1
	s_cmpk_lg_i32 s73, 0x2710
	s_cselect_b32 s74, -1, 0
	s_and_b32 vcc_lo, exec_lo, s74
	s_cbranch_vccz .LBB4_91
; %bb.90:                               ;   in Loop: Header=BB4_89 Depth=3
	s_mov_b32 s76, -1
	s_or_b32 s72, s72, exec_lo
	s_and_saveexec_b32 s75, s74
	s_cbranch_execz .LBB4_88
	s_branch .LBB4_92
	.p2align	6
.LBB4_91:                               ;   in Loop: Header=BB4_89 Depth=3
	s_trap 2
	ds_read_b64 v[3:4], v0
	s_andn2_b32 s74, s74, exec_lo
	s_mov_b32 s73, 0
	s_waitcnt lgkmcnt(0)
	flat_load_dword v1, v[3:4] glc dlc
	s_waitcnt vmcnt(0) lgkmcnt(0)
	buffer_gl1_inv
	buffer_gl0_inv
	v_cmp_eq_u32_e32 vcc_lo, 0, v1
	s_and_b32 s75, vcc_lo, exec_lo
	s_or_b32 s74, s74, s75
	s_mov_b32 s76, -1
	s_or_b32 s72, s72, exec_lo
	s_and_saveexec_b32 s75, s74
	s_cbranch_execz .LBB4_88
.LBB4_92:                               ;   in Loop: Header=BB4_89 Depth=3
	s_sleep 1
	s_trap 2
	ds_read_b64 v[3:4], v0
	s_waitcnt lgkmcnt(0)
	buffer_gl0_inv
	s_andn2_b32 s72, s72, exec_lo
	v_cmp_ge_u64_e32 vcc_lo, v[3:4], v[28:29]
	s_orn2_b32 s76, vcc_lo, exec_lo
	s_branch .LBB4_88
.LBB4_93:                               ;   in Loop: Header=BB4_57 Depth=2
	s_inst_prefetch 0x2
	s_or_b32 exec_lo, exec_lo, s62
	s_and_saveexec_b32 s62, s63
	s_xor_b32 s62, exec_lo, s62
	s_cbranch_execz .LBB4_95
; %bb.94:                               ;   in Loop: Header=BB4_57 Depth=2
	ds_write_b32 v0, v99
	s_trap 2
.LBB4_95:                               ;   in Loop: Header=BB4_57 Depth=2
	s_or_b32 exec_lo, exec_lo, s61
	;;#ASMSTART
	s_wakeup
	;;#ASMEND
.LBB4_96:                               ;   in Loop: Header=BB4_57 Depth=2
	s_or_b32 exec_lo, exec_lo, s23
.LBB4_97:                               ;   in Loop: Header=BB4_57 Depth=2
	s_andn2_saveexec_b32 s17, s17
	s_cbranch_execz .LBB4_99
; %bb.98:                               ;   in Loop: Header=BB4_57 Depth=2
	s_waitcnt vmcnt(0) lgkmcnt(0)
	s_waitcnt_vscnt null, 0x0
	buffer_gl1_inv
	buffer_gl0_inv
	s_barrier
.LBB4_99:                               ;   in Loop: Header=BB4_57 Depth=2
	s_or_b32 exec_lo, exec_lo, s17
.LBB4_100:                              ;   in Loop: Header=BB4_57 Depth=2
	s_or_b32 exec_lo, exec_lo, s16
	s_trap 2
	ds_read_b32 v1, v0
	v_and_b32_e32 v3, 0x4000, v84
	s_xor_b32 s16, s5, -1
	v_cmp_ne_u32_e32 vcc_lo, 0, v3
	s_and_b32 s17, s16, vcc_lo
	s_and_saveexec_b32 s16, s17
	s_cbranch_execz .LBB4_119
; %bb.101:                              ;   in Loop: Header=BB4_57 Depth=2
	s_and_saveexec_b32 s17, s29
	s_xor_b32 s17, exec_lo, s17
	s_cbranch_execz .LBB4_116
; %bb.102:                              ;   in Loop: Header=BB4_57 Depth=2
	s_and_saveexec_b32 s23, s11
	s_cbranch_execz .LBB4_115
; %bb.103:                              ;   in Loop: Header=BB4_57 Depth=2
	s_mov_b32 s62, exec_lo
	s_mov_b32 s61, exec_lo
	v_mbcnt_lo_u32_b32 v3, s62, 0
	s_waitcnt vmcnt(0) lgkmcnt(0)
	s_waitcnt_vscnt null, 0x0
	buffer_gl1_inv
	buffer_gl0_inv
	v_cmpx_eq_u32_e32 0, v3
	s_cbranch_execz .LBB4_105
; %bb.104:                              ;   in Loop: Header=BB4_57 Depth=2
	s_bcnt1_i32_b32 s62, s62
	v_mov_b32_e32 v4, v2
	v_mov_b32_e32 v3, s62
	ds_add_u64 v0, v[3:4]
	s_trap 2
.LBB4_105:                              ;   in Loop: Header=BB4_57 Depth=2
	s_or_b32 exec_lo, exec_lo, s61
	s_trap 2
	ds_read_b64 v[3:4], v0
	s_waitcnt lgkmcnt(0)
	buffer_gl0_inv
	v_add_co_u32 v28, vcc_lo, v28, v87
	v_add_co_ci_u32_e64 v29, null, 0, v29, vcc_lo
	s_mov_b32 s61, exec_lo
	v_cmpx_lt_u64_e64 v[3:4], v[28:29]
	s_cbranch_execz .LBB4_114
; %bb.106:                              ;   in Loop: Header=BB4_57 Depth=2
	s_mov_b32 s62, 0
	s_mov_b32 s73, 0
                                        ; implicit-def: $sgpr63
                                        ; implicit-def: $sgpr72
	s_inst_prefetch 0x1
	s_branch .LBB4_108
	.p2align	6
.LBB4_107:                              ;   in Loop: Header=BB4_108 Depth=3
	s_or_b32 exec_lo, exec_lo, s75
	s_and_b32 s74, exec_lo, s76
	s_or_b32 s62, s74, s62
	s_andn2_b32 s63, s63, exec_lo
	s_and_b32 s74, s72, exec_lo
	s_or_b32 s63, s63, s74
	s_andn2_b32 exec_lo, exec_lo, s62
	s_cbranch_execz .LBB4_112
.LBB4_108:                              ;   Parent Loop BB4_47 Depth=1
                                        ;     Parent Loop BB4_57 Depth=2
                                        ; =>    This Inner Loop Header: Depth=3
	s_add_i32 s73, s73, 1
	s_cmpk_lg_i32 s73, 0x2710
	s_cselect_b32 s74, -1, 0
	s_and_b32 vcc_lo, exec_lo, s74
	s_cbranch_vccz .LBB4_110
; %bb.109:                              ;   in Loop: Header=BB4_108 Depth=3
	s_mov_b32 s76, -1
	s_or_b32 s72, s72, exec_lo
	s_and_saveexec_b32 s75, s74
	s_cbranch_execz .LBB4_107
	s_branch .LBB4_111
	.p2align	6
.LBB4_110:                              ;   in Loop: Header=BB4_108 Depth=3
	s_trap 2
	ds_read_b64 v[3:4], v0
	s_andn2_b32 s74, s74, exec_lo
	s_mov_b32 s73, 0
	s_waitcnt lgkmcnt(0)
	flat_load_dword v3, v[3:4] glc dlc
	s_waitcnt vmcnt(0) lgkmcnt(0)
	buffer_gl1_inv
	buffer_gl0_inv
	v_cmp_eq_u32_e32 vcc_lo, 0, v3
	s_and_b32 s75, vcc_lo, exec_lo
	s_or_b32 s74, s74, s75
	s_mov_b32 s76, -1
	s_or_b32 s72, s72, exec_lo
	s_and_saveexec_b32 s75, s74
	s_cbranch_execz .LBB4_107
.LBB4_111:                              ;   in Loop: Header=BB4_108 Depth=3
	s_sleep 1
	s_trap 2
	ds_read_b64 v[3:4], v0
	s_waitcnt lgkmcnt(0)
	buffer_gl0_inv
	s_andn2_b32 s72, s72, exec_lo
	v_cmp_ge_u64_e32 vcc_lo, v[3:4], v[28:29]
	s_orn2_b32 s76, vcc_lo, exec_lo
	s_branch .LBB4_107
.LBB4_112:                              ;   in Loop: Header=BB4_57 Depth=2
	s_inst_prefetch 0x2
	s_or_b32 exec_lo, exec_lo, s62
	s_and_saveexec_b32 s62, s63
	s_xor_b32 s62, exec_lo, s62
	s_cbranch_execz .LBB4_114
; %bb.113:                              ;   in Loop: Header=BB4_57 Depth=2
	ds_write_b32 v0, v99
	s_trap 2
.LBB4_114:                              ;   in Loop: Header=BB4_57 Depth=2
	s_or_b32 exec_lo, exec_lo, s61
	;;#ASMSTART
	s_wakeup
	;;#ASMEND
.LBB4_115:                              ;   in Loop: Header=BB4_57 Depth=2
	s_or_b32 exec_lo, exec_lo, s23
.LBB4_116:                              ;   in Loop: Header=BB4_57 Depth=2
	s_andn2_saveexec_b32 s17, s17
	s_cbranch_execz .LBB4_118
; %bb.117:                              ;   in Loop: Header=BB4_57 Depth=2
	s_waitcnt vmcnt(0) lgkmcnt(0)
	s_waitcnt_vscnt null, 0x0
	buffer_gl1_inv
	buffer_gl0_inv
	s_barrier
.LBB4_118:                              ;   in Loop: Header=BB4_57 Depth=2
	s_or_b32 exec_lo, exec_lo, s17
.LBB4_119:                              ;   in Loop: Header=BB4_57 Depth=2
	s_or_b32 exec_lo, exec_lo, s16
	s_trap 2
	ds_read_b64 v[52:53], v0
	s_waitcnt lgkmcnt(0)
	v_cmp_eq_u64_e32 vcc_lo, 0, v[52:53]
	s_cbranch_vccnz .LBB4_127
; %bb.120:                              ;   in Loop: Header=BB4_57 Depth=2
	s_trap 2
	ds_read_b64 v[54:55], v0
	s_waitcnt lgkmcnt(0)
	v_cmp_eq_u64_e32 vcc_lo, 0, v[54:55]
	s_cbranch_vccnz .LBB4_127
; %bb.121:                              ;   in Loop: Header=BB4_57 Depth=2
	s_mov_b32 s16, -1
	s_and_saveexec_b32 s17, s12
	s_cbranch_execz .LBB4_123
; %bb.122:                              ;   in Loop: Header=BB4_57 Depth=2
	ds_read_b32 v3, v0 offset:720
	s_waitcnt lgkmcnt(0)
	v_and_b32_e32 v3, 15, v3
	v_cmp_eq_u32_e32 vcc_lo, 0, v3
	s_orn2_b32 s16, vcc_lo, exec_lo
.LBB4_123:                              ;   in Loop: Header=BB4_57 Depth=2
	s_or_b32 exec_lo, exec_lo, s17
	s_and_saveexec_b32 s17, s13
	s_cbranch_execz .LBB4_125
; %bb.124:                              ;   in Loop: Header=BB4_57 Depth=2
	ds_read_b32 v3, v0 offset:784
	s_waitcnt lgkmcnt(0)
	v_and_b32_e32 v3, 15, v3
	v_cmp_eq_u32_e32 vcc_lo, 0, v3
	s_and_b32 s23, s16, vcc_lo
	s_andn2_b32 s16, s16, exec_lo
	s_and_b32 s23, s23, exec_lo
	s_or_b32 s16, s16, s23
.LBB4_125:                              ;   in Loop: Header=BB4_57 Depth=2
	s_or_b32 exec_lo, exec_lo, s17
	v_cmp_eq_u32_e32 vcc_lo, 0, v1
	s_xor_b32 s16, s16, -1
	v_mov_b32_e32 v11, v0
	v_cndmask_b32_e64 v4, 0, 1, s16
	s_mov_b32 s16, -1
	v_cndmask_b32_e32 v3, 0, v12, vcc_lo
	v_cmp_ne_u32_e32 vcc_lo, 0, v4
	v_mov_b32_e32 v4, 0
	v_mov_b32_e32 v10, v3
	s_cbranch_vccz .LBB4_132
; %bb.126:                              ;   in Loop: Header=BB4_57 Depth=2
	s_and_saveexec_b32 s17, s16
	s_cbranch_execnz .LBB4_1439
	s_branch .LBB4_1735
.LBB4_127:                              ;   in Loop: Header=BB4_57 Depth=2
	s_mov_b32 s16, 0
	s_and_saveexec_b32 s17, s6
	s_cbranch_execnz .LBB4_1736
.LBB4_128:                              ;   in Loop: Header=BB4_57 Depth=2
	s_or_b32 exec_lo, exec_lo, s17
                                        ; implicit-def: $vgpr1
	s_and_saveexec_b32 s17, s15
	s_xor_b32 s17, exec_lo, s17
	s_cbranch_execz .LBB4_1754
.LBB4_129:                              ;   in Loop: Header=BB4_57 Depth=2
	v_and_b32_e32 v1, 16, v84
	v_cmp_ne_u32_e32 vcc_lo, 0, v1
	v_and_b32_e32 v1, 16, v84
	s_and_b32 s23, vcc_lo, s16
	s_and_saveexec_b32 s16, s23
	s_cbranch_execz .LBB4_131
; %bb.130:                              ;   in Loop: Header=BB4_57 Depth=2
	v_mov_b32_e32 v1, 1
	s_waitcnt vmcnt(0) lgkmcnt(0)
	s_waitcnt_vscnt null, 0x0
	buffer_gl1_inv
	buffer_gl0_inv
.LBB4_131:                              ;   in Loop: Header=BB4_57 Depth=2
	s_or_b32 exec_lo, exec_lo, s16
	s_andn2_saveexec_b32 s16, s17
	s_cbranch_execz .LBB4_1773
	s_branch .LBB4_1755
.LBB4_132:                              ;   in Loop: Header=BB4_57 Depth=2
	v_ashrrev_i32_e32 v1, 31, v3
	s_mov_b32 s17, exec_lo
	v_lshrrev_b32_e32 v1, 21, v1
	v_add_nc_u32_e32 v1, v3, v1
	v_ashrrev_i32_e32 v4, 11, v1
	v_lshrrev_b32_e32 v1, 5, v0
	v_sub_nc_u32_e32 v13, v4, v1
	v_cmpx_lt_i32_e32 0, v13
	s_cbranch_execz .LBB4_1168
; %bb.133:                              ;   in Loop: Header=BB4_57 Depth=2
	buffer_store_dword v4, off, s[0:3], s33 offset:208 ; 4-byte Folded Spill
	s_trap 2
	ds_read_b64 v[4:5], v0
	v_mov_b32_e32 v65, v55
	v_mov_b32_e32 v67, v53
	;; [unrolled: 1-line block ×4, first 2 shown]
	s_waitcnt lgkmcnt(0)
	v_readfirstlane_b32 s16, v4
	s_and_b32 s23, s16, 3
	s_bfe_u32 s63, s16, 0x50002
	s_flbit_i32_b32 s61, s23
	s_min_u32 s61, s61, 32
	s_sub_i32 s62, s61, 29
	s_sub_i32 s61, 30, s61
	s_lshl_b32 s62, s16, s62
	s_and_b32 s62, s62, 3
	s_cmp_eq_u32 s63, 0
	s_cselect_b32 s61, s61, s63
	s_cselect_b32 s23, s62, s23
	s_lshl_b32 s62, s16, 24
	s_lshl_b32 s61, s61, 23
	s_and_b32 s62, s62, 0x80000000
	s_add_i32 s61, s61, 0x37800000
	s_lshl_b32 s63, s23, 21
	s_or_b32 s61, s62, s61
	s_mov_b32 s23, 0
	s_or_b32 s61, s61, s63
	s_and_b32 s62, s16, 0xff
	s_branch .LBB4_137
.LBB4_134:                              ;   in Loop: Header=BB4_137 Depth=3
	s_or_b32 exec_lo, exec_lo, s16
	v_lshrrev_b32_e32 v14, 21, v14
	v_min_i32_e32 v51, 31, v15
	v_cmp_gt_i32_e32 vcc_lo, 32, v15
	v_and_b32_sdwa v11, v11, v101 dst_sel:DWORD dst_unused:UNUSED_PAD src0_sel:BYTE_3 src1_sel:DWORD
	v_lshlrev_b32_e32 v51, 2, v51
	v_cndmask_b32_e32 v14, 3, v14, vcc_lo
	v_and_b32_e32 v51, 0xfc, v51
	v_or_b32_e32 v15, v15, v14
	v_and_b32_e32 v14, 3, v14
	v_cmp_ne_u32_e32 vcc_lo, 0, v15
	v_or3_b32 v11, v11, v51, v14
	v_lshlrev_b32_e32 v11, 8, v11
	v_cndmask_b32_e32 v51, 0, v11, vcc_lo
.LBB4_135:                              ;   in Loop: Header=BB4_137 Depth=3
	s_or_b32 exec_lo, exec_lo, s72
.LBB4_136:                              ;   in Loop: Header=BB4_137 Depth=3
	s_or_b32 exec_lo, exec_lo, s63
	v_or_b32_sdwa v11, v63, v62 dst_sel:WORD_1 dst_unused:UNUSED_PAD src0_sel:DWORD src1_sel:DWORD
	v_or_b32_sdwa v14, v59, v83 dst_sel:WORD_1 dst_unused:UNUSED_PAD src0_sel:DWORD src1_sel:DWORD
	;; [unrolled: 1-line block ×3, first 2 shown]
	v_sub_nc_u32_e32 v13, v13, v87
	v_or_b32_sdwa v9, v9, v35 dst_sel:WORD_1 dst_unused:UNUSED_PAD src0_sel:DWORD src1_sel:DWORD
	v_or3_b32 v60, v61, v60, v11
	v_or_b32_sdwa v11, v75, v74 dst_sel:WORD_1 dst_unused:UNUSED_PAD src0_sel:DWORD src1_sel:DWORD
	v_or3_b32 v59, v82, v81, v14
	v_add_co_u32 v14, vcc_lo, v43, v64
	v_add_co_ci_u32_e64 v15, null, 0, v65, vcc_lo
	v_or3_b32 v61, v73, v72, v11
	v_or_b32_sdwa v11, v79, v78 dst_sel:WORD_1 dst_unused:UNUSED_PAD src0_sel:DWORD src1_sel:DWORD
	v_or_b32_sdwa v81, v91, v90 dst_sel:WORD_1 dst_unused:UNUSED_PAD src0_sel:DWORD src1_sel:DWORD
	;; [unrolled: 1-line block ×3, first 2 shown]
	v_or3_b32 v10, v31, v96, v1
	v_or_b32_sdwa v1, v51, v50 dst_sel:WORD_1 dst_unused:UNUSED_PAD src0_sel:DWORD src1_sel:DWORD
	v_or3_b32 v62, v77, v76, v11
	v_or_b32_sdwa v11, v95, v94 dst_sel:WORD_1 dst_unused:UNUSED_PAD src0_sel:DWORD src1_sel:DWORD
	v_add_co_u32 v66, vcc_lo, v66, v116
	v_add_co_ci_u32_e64 v67, null, 0, v67, vcc_lo
	global_store_dwordx4 v[14:15], v[59:62], off glc slc
	v_or3_b32 v60, v93, v92, v11
	v_or_b32_sdwa v11, v107, v106 dst_sel:WORD_1 dst_unused:UNUSED_PAD src0_sel:DWORD src1_sel:DWORD
	v_or3_b32 v59, v89, v88, v81
	v_cmp_gt_i32_e32 vcc_lo, 1, v13
	v_add_co_u32 v64, s16, v64, v116
	v_or3_b32 v61, v105, v104, v11
	v_or_b32_sdwa v11, v111, v110 dst_sel:WORD_1 dst_unused:UNUSED_PAD src0_sel:DWORD src1_sel:DWORD
	v_add_co_ci_u32_e64 v65, null, 0, v65, s16
	v_or3_b32 v9, v34, v8, v9
	v_or3_b32 v8, v69, v68, v4
	;; [unrolled: 1-line block ×3, first 2 shown]
	v_or_b32_sdwa v11, v18, v126 dst_sel:WORD_1 dst_unused:UNUSED_PAD src0_sel:DWORD src1_sel:DWORD
	v_or_b32_sdwa v18, v123, v122 dst_sel:WORD_1 dst_unused:UNUSED_PAD src0_sel:DWORD src1_sel:DWORD
	s_or_b32 s23, vcc_lo, s23
	global_store_dwordx4 v[14:15], v[59:62], off offset:512 glc slc
	v_or3_b32 v60, v125, v124, v11
	v_or_b32_sdwa v11, v21, v20 dst_sel:WORD_1 dst_unused:UNUSED_PAD src0_sel:DWORD src1_sel:DWORD
	v_or3_b32 v59, v121, v120, v18
	v_or3_b32 v61, v30, v19, v11
	v_or_b32_sdwa v11, v37, v36 dst_sel:WORD_1 dst_unused:UNUSED_PAD src0_sel:DWORD src1_sel:DWORD
	v_or3_b32 v62, v17, v16, v11
	v_or3_b32 v11, v80, v97, v1
	global_store_dwordx4 v[14:15], v[59:62], off offset:1024 glc slc
	global_store_dwordx4 v[14:15], v[8:11], off offset:1536 glc slc
	s_andn2_b32 exec_lo, exec_lo, s23
	s_cbranch_execz .LBB4_1167
.LBB4_137:                              ;   Parent Loop BB4_47 Depth=1
                                        ;     Parent Loop BB4_57 Depth=2
                                        ; =>    This Inner Loop Header: Depth=3
	s_cmpk_lt_i32 s62, 0x80
	s_cbranch_scc1 .LBB4_141
; %bb.138:                              ;   in Loop: Header=BB4_137 Depth=3
	s_and_b32 s16, 0xffff, s62
	s_cmpk_eq_i32 s16, 0x80
	s_mov_b32 s16, -1
	s_cbranch_scc0 .LBB4_140
; %bb.139:                              ;   in Loop: Header=BB4_137 Depth=3
	s_mov_b32 s16, 0
.LBB4_140:                              ;   in Loop: Header=BB4_137 Depth=3
	s_mov_b32 s63, 0x7f800001
	s_branch .LBB4_143
.LBB4_141:                              ;   in Loop: Header=BB4_137 Depth=3
	s_mov_b32 s16, 0
	s_mov_b32 s63, 0x7f800001
	s_cbranch_execz .LBB4_143
; %bb.142:                              ;   in Loop: Header=BB4_137 Depth=3
	s_and_b32 s16, 0xffff, s62
	s_mov_b32 s63, 0
	s_cmp_lg_u32 s16, 0
	s_cselect_b32 s16, -1, 0
.LBB4_143:                              ;   in Loop: Header=BB4_137 Depth=3
	s_andn2_b32 vcc_lo, exec_lo, s16
	s_cbranch_vccnz .LBB4_145
; %bb.144:                              ;   in Loop: Header=BB4_137 Depth=3
	s_mov_b32 s63, s61
.LBB4_145:                              ;   in Loop: Header=BB4_137 Depth=3
	v_add_co_u32 v68, vcc_lo, v43, v66
	v_add_co_ci_u32_e64 v69, null, 0, v67, vcc_lo
	s_mov_b32 s16, 0
	global_load_dwordx4 v[8:11], v[68:69], off slc
	s_waitcnt vmcnt(0)
	v_cmp_gt_i16_sdwa s72, v8, v100 src0_sel:BYTE_0 src1_sel:DWORD
	s_and_saveexec_b32 s73, s72
	s_xor_b32 s72, exec_lo, s73
	s_cbranch_execz .LBB4_1039
; %bb.146:                              ;   in Loop: Header=BB4_137 Depth=3
	v_cmp_eq_u16_sdwa s74, v8, v101 src0_sel:BYTE_0 src1_sel:DWORD
	s_mov_b32 s16, -1
	s_and_saveexec_b32 s73, s74
; %bb.147:                              ;   in Loop: Header=BB4_137 Depth=3
	s_xor_b32 s16, exec_lo, -1
; %bb.148:                              ;   in Loop: Header=BB4_137 Depth=3
	s_or_b32 exec_lo, exec_lo, s73
	s_and_b32 s16, s16, exec_lo
	s_or_saveexec_b32 s72, s72
	v_mov_b32_e32 v1, 0x7f800001
	s_xor_b32 exec_lo, exec_lo, s72
	s_cbranch_execnz .LBB4_1040
.LBB4_149:                              ;   in Loop: Header=BB4_137 Depth=3
	s_or_b32 exec_lo, exec_lo, s72
	s_and_saveexec_b32 s72, s16
	s_cbranch_execz .LBB4_151
.LBB4_150:                              ;   in Loop: Header=BB4_137 Depth=3
	v_and_b32_e32 v1, 3, v8
	v_bfe_u32 v14, v8, 2, 5
	v_lshlrev_b32_e32 v15, 24, v8
	v_ffbh_u32_e32 v4, v1
	v_cmp_eq_u32_e32 vcc_lo, 0, v14
	v_min_u32_e32 v4, 32, v4
	v_subrev_nc_u32_e32 v5, 29, v4
	v_sub_nc_u32_e32 v4, 30, v4
	v_lshlrev_b32_e32 v5, v5, v8
	v_cndmask_b32_e32 v4, v14, v4, vcc_lo
	v_and_b32_e32 v5, 3, v5
	v_lshl_add_u32 v4, v4, 23, 0x37800000
	v_cndmask_b32_e32 v1, v1, v5, vcc_lo
	v_and_b32_e32 v5, 0x80000000, v15
	v_lshlrev_b32_e32 v1, 21, v1
	v_or3_b32 v1, v5, v4, v1
.LBB4_151:                              ;   in Loop: Header=BB4_137 Depth=3
	s_or_b32 exec_lo, exec_lo, s72
	v_mul_f32_e32 v1, s63, v1
	v_mov_b32_e32 v81, 0x80
	s_mov_b32 s72, exec_lo
	v_and_b32_e32 v4, 0x7f800000, v1
	v_cmpx_ne_u32_e32 0x7f800000, v4
	s_cbranch_execz .LBB4_159
; %bb.152:                              ;   in Loop: Header=BB4_137 Depth=3
	v_mov_b32_e32 v81, 0
	s_mov_b32 s73, exec_lo
	v_cmpx_ne_u32_e32 0, v1
	s_cbranch_execz .LBB4_158
; %bb.153:                              ;   in Loop: Header=BB4_137 Depth=3
	v_bfe_u32 v4, v1, 23, 8
	v_and_b32_e32 v5, 0x7fffff, v1
	v_sub_nc_u32_e32 v14, 0x70, v4
	v_cmp_gt_u32_e32 vcc_lo, 0x71, v4
	v_or_b32_e32 v15, 0x800000, v5
	v_cndmask_b32_e32 v14, 0, v14, vcc_lo
	v_cmp_eq_u32_e32 vcc_lo, 0, v4
	v_add_nc_u32_e32 v4, 0xffffff91, v4
	v_cndmask_b32_e64 v14, v14, 0x6f, vcc_lo
	v_cndmask_b32_e32 v5, v15, v5, vcc_lo
	v_cndmask_b32_e64 v4, v4, 0xffffff92, vcc_lo
	v_lshl_add_u32 v15, 0x200000, v14, -1
	v_lshrrev_b32_e32 v16, v14, v5
	v_lshlrev_b32_e64 v18, v14, 0x100000
	v_add_nc_u32_e32 v14, v14, v4
	v_and_b32_e32 v5, v15, v5
	v_bfe_u32 v17, v16, 21, 1
	v_cmp_eq_u32_e64 s16, v5, v18
	v_add_nc_u32_e32 v15, -1, v17
	v_cndmask_b32_e64 v5, 0, v15, s16
	v_lshrrev_b32_e32 v15, 23, v16
	s_mov_b32 s16, exec_lo
	v_add_nc_u32_e32 v5, v5, v16
	v_xor_b32_e32 v15, 1, v15
	v_and_b32_e32 v4, 0x1fffff, v5
	v_add_nc_u32_e32 v5, v4, v16
                                        ; implicit-def: $vgpr4
	v_cmpx_ne_u32_e64 v14, v15
	s_xor_b32 s16, exec_lo, s16
; %bb.154:                              ;   in Loop: Header=BB4_137 Depth=3
	v_cmp_lt_u32_e32 vcc_lo, 0xffffff, v5
	v_sub_nc_u32_e32 v4, v14, v15
	v_cndmask_b32_e64 v14, 0, 1, vcc_lo
	v_add_co_ci_u32_e64 v4, null, 0, v4, vcc_lo
	v_lshrrev_b32_e32 v5, v14, v5
; %bb.155:                              ;   in Loop: Header=BB4_137 Depth=3
	s_andn2_saveexec_b32 s16, s16
; %bb.156:                              ;   in Loop: Header=BB4_137 Depth=3
	v_bfe_u32 v4, v5, 23, 1
; %bb.157:                              ;   in Loop: Header=BB4_137 Depth=3
	s_or_b32 exec_lo, exec_lo, s16
	v_lshrrev_b32_e32 v5, 21, v5
	v_min_i32_e32 v14, 31, v4
	v_cmp_gt_i32_e32 vcc_lo, 32, v4
	v_and_b32_sdwa v1, v1, v101 dst_sel:DWORD dst_unused:UNUSED_PAD src0_sel:BYTE_3 src1_sel:DWORD
	v_lshlrev_b32_e32 v14, 2, v14
	v_cndmask_b32_e32 v5, 3, v5, vcc_lo
	v_and_b32_e32 v14, 0xfc, v14
	v_and_b32_e32 v15, 3, v5
	v_or_b32_e32 v4, v4, v5
	v_or3_b32 v1, v14, v1, v15
	v_cmp_ne_u32_e32 vcc_lo, 0, v4
	v_cndmask_b32_e32 v81, 0, v1, vcc_lo
.LBB4_158:                              ;   in Loop: Header=BB4_137 Depth=3
	s_or_b32 exec_lo, exec_lo, s73
.LBB4_159:                              ;   in Loop: Header=BB4_137 Depth=3
	s_or_b32 exec_lo, exec_lo, s72
	v_cmp_gt_i16_sdwa s72, v8, v100 src0_sel:BYTE_1 src1_sel:DWORD
	s_mov_b32 s16, 0
	s_and_saveexec_b32 s73, s72
	s_xor_b32 s72, exec_lo, s73
	s_cbranch_execz .LBB4_1041
; %bb.160:                              ;   in Loop: Header=BB4_137 Depth=3
	v_cmp_eq_u16_sdwa s74, v8, v101 src0_sel:BYTE_1 src1_sel:DWORD
	s_mov_b32 s16, -1
	s_and_saveexec_b32 s73, s74
; %bb.161:                              ;   in Loop: Header=BB4_137 Depth=3
	s_xor_b32 s16, exec_lo, -1
; %bb.162:                              ;   in Loop: Header=BB4_137 Depth=3
	s_or_b32 exec_lo, exec_lo, s73
	s_and_b32 s16, s16, exec_lo
	s_or_saveexec_b32 s72, s72
	v_mov_b32_e32 v1, 0x7f800001
	s_xor_b32 exec_lo, exec_lo, s72
	s_cbranch_execnz .LBB4_1042
.LBB4_163:                              ;   in Loop: Header=BB4_137 Depth=3
	s_or_b32 exec_lo, exec_lo, s72
	s_and_saveexec_b32 s72, s16
	s_cbranch_execz .LBB4_165
.LBB4_164:                              ;   in Loop: Header=BB4_137 Depth=3
	v_and_b32_sdwa v1, v102, v8 dst_sel:DWORD dst_unused:UNUSED_PAD src0_sel:DWORD src1_sel:BYTE_1
	v_and_b32_e32 v4, 3, v1
	v_bfe_u32 v15, v1, 2, 5
	v_ffbh_u32_e32 v5, v4
	v_cmp_eq_u32_e32 vcc_lo, 0, v15
	v_min_u32_e32 v5, 32, v5
	v_subrev_nc_u32_e32 v14, 29, v5
	v_sub_nc_u32_e32 v5, 30, v5
	v_lshlrev_b32_e32 v1, v14, v1
	v_lshlrev_b32_sdwa v14, v103, v8 dst_sel:DWORD dst_unused:UNUSED_PAD src0_sel:DWORD src1_sel:BYTE_1
	v_cndmask_b32_e32 v5, v15, v5, vcc_lo
	v_and_b32_e32 v1, 3, v1
	v_lshl_add_u32 v5, v5, 23, 0x37800000
	v_cndmask_b32_e32 v1, v4, v1, vcc_lo
	v_and_b32_e32 v4, 0x80000000, v14
	v_lshlrev_b32_e32 v1, 21, v1
	v_or3_b32 v1, v4, v5, v1
.LBB4_165:                              ;   in Loop: Header=BB4_137 Depth=3
	s_or_b32 exec_lo, exec_lo, s72
	v_mul_f32_e32 v1, s63, v1
	v_mov_b32_e32 v82, 0x8000
	s_mov_b32 s72, exec_lo
	v_and_b32_e32 v4, 0x7f800000, v1
	v_cmpx_ne_u32_e32 0x7f800000, v4
	s_cbranch_execz .LBB4_173
; %bb.166:                              ;   in Loop: Header=BB4_137 Depth=3
	v_mov_b32_e32 v82, 0
	s_mov_b32 s73, exec_lo
	v_cmpx_ne_u32_e32 0, v1
	s_cbranch_execz .LBB4_172
; %bb.167:                              ;   in Loop: Header=BB4_137 Depth=3
	v_bfe_u32 v4, v1, 23, 8
	v_and_b32_e32 v5, 0x7fffff, v1
	v_sub_nc_u32_e32 v14, 0x70, v4
	v_cmp_gt_u32_e32 vcc_lo, 0x71, v4
	v_or_b32_e32 v15, 0x800000, v5
	v_cndmask_b32_e32 v14, 0, v14, vcc_lo
	v_cmp_eq_u32_e32 vcc_lo, 0, v4
	v_add_nc_u32_e32 v4, 0xffffff91, v4
	v_cndmask_b32_e64 v14, v14, 0x6f, vcc_lo
	v_cndmask_b32_e32 v5, v15, v5, vcc_lo
	v_cndmask_b32_e64 v4, v4, 0xffffff92, vcc_lo
	v_lshl_add_u32 v15, 0x200000, v14, -1
	v_lshrrev_b32_e32 v16, v14, v5
	v_lshlrev_b32_e64 v18, v14, 0x100000
	v_add_nc_u32_e32 v14, v14, v4
	v_and_b32_e32 v5, v15, v5
	v_bfe_u32 v17, v16, 21, 1
	v_cmp_eq_u32_e64 s16, v5, v18
	v_add_nc_u32_e32 v15, -1, v17
	v_cndmask_b32_e64 v5, 0, v15, s16
	v_lshrrev_b32_e32 v15, 23, v16
	s_mov_b32 s16, exec_lo
	v_add_nc_u32_e32 v5, v5, v16
	v_xor_b32_e32 v15, 1, v15
	v_and_b32_e32 v4, 0x1fffff, v5
	v_add_nc_u32_e32 v5, v4, v16
                                        ; implicit-def: $vgpr4
	v_cmpx_ne_u32_e64 v14, v15
	s_xor_b32 s16, exec_lo, s16
; %bb.168:                              ;   in Loop: Header=BB4_137 Depth=3
	v_cmp_lt_u32_e32 vcc_lo, 0xffffff, v5
	v_sub_nc_u32_e32 v4, v14, v15
	v_cndmask_b32_e64 v14, 0, 1, vcc_lo
	v_add_co_ci_u32_e64 v4, null, 0, v4, vcc_lo
	v_lshrrev_b32_e32 v5, v14, v5
; %bb.169:                              ;   in Loop: Header=BB4_137 Depth=3
	s_andn2_saveexec_b32 s16, s16
; %bb.170:                              ;   in Loop: Header=BB4_137 Depth=3
	v_bfe_u32 v4, v5, 23, 1
; %bb.171:                              ;   in Loop: Header=BB4_137 Depth=3
	s_or_b32 exec_lo, exec_lo, s16
	v_lshrrev_b32_e32 v5, 21, v5
	v_min_i32_e32 v14, 31, v4
	v_cmp_gt_i32_e32 vcc_lo, 32, v4
	v_and_b32_sdwa v1, v1, v101 dst_sel:DWORD dst_unused:UNUSED_PAD src0_sel:BYTE_3 src1_sel:DWORD
	v_lshlrev_b32_e32 v14, 2, v14
	v_cndmask_b32_e32 v5, 3, v5, vcc_lo
	v_and_b32_e32 v14, 0xfc, v14
	v_and_b32_e32 v15, 3, v5
	v_or_b32_e32 v4, v4, v5
	v_or3_b32 v1, v1, v14, v15
	v_cmp_ne_u32_e32 vcc_lo, 0, v4
	v_lshlrev_b32_e32 v1, 8, v1
	v_cndmask_b32_e32 v82, 0, v1, vcc_lo
.LBB4_172:                              ;   in Loop: Header=BB4_137 Depth=3
	s_or_b32 exec_lo, exec_lo, s73
.LBB4_173:                              ;   in Loop: Header=BB4_137 Depth=3
	s_or_b32 exec_lo, exec_lo, s72
	v_and_b32_sdwa v4, v8, v112 dst_sel:DWORD dst_unused:UNUSED_PAD src0_sel:WORD_1 src1_sel:DWORD
	s_mov_b32 s16, 0
	s_mov_b32 s72, exec_lo
	v_cmpx_lt_i16_e32 0x7f, v4
	s_xor_b32 s72, exec_lo, s72
	s_cbranch_execz .LBB4_1043
; %bb.174:                              ;   in Loop: Header=BB4_137 Depth=3
	s_mov_b32 s16, -1
	s_mov_b32 s73, exec_lo
	v_cmpx_eq_u16_e32 0x80, v4
; %bb.175:                              ;   in Loop: Header=BB4_137 Depth=3
	s_xor_b32 s16, exec_lo, -1
; %bb.176:                              ;   in Loop: Header=BB4_137 Depth=3
	s_or_b32 exec_lo, exec_lo, s73
	s_and_b32 s16, s16, exec_lo
                                        ; implicit-def: $vgpr4
	s_or_saveexec_b32 s72, s72
	v_mov_b32_e32 v1, 0x7f800001
	s_xor_b32 exec_lo, exec_lo, s72
	s_cbranch_execnz .LBB4_1044
.LBB4_177:                              ;   in Loop: Header=BB4_137 Depth=3
	s_or_b32 exec_lo, exec_lo, s72
	s_and_saveexec_b32 s72, s16
	s_cbranch_execz .LBB4_179
.LBB4_178:                              ;   in Loop: Header=BB4_137 Depth=3
	v_bfe_u32 v1, v8, 16, 2
	v_bfe_u32 v14, v8, 18, 5
	v_lshlrev_b32_e32 v15, 8, v8
	v_ffbh_u32_e32 v4, v1
	v_cmp_eq_u32_e32 vcc_lo, 0, v14
	v_min_u32_e32 v4, 32, v4
	v_subrev_nc_u32_e32 v5, 29, v4
	v_sub_nc_u32_e32 v4, 30, v4
	v_lshlrev_b32_sdwa v5, v5, v8 dst_sel:DWORD dst_unused:UNUSED_PAD src0_sel:DWORD src1_sel:WORD_1
	v_cndmask_b32_e32 v4, v14, v4, vcc_lo
	v_and_b32_e32 v5, 3, v5
	v_lshl_add_u32 v4, v4, 23, 0x37800000
	v_cndmask_b32_e32 v1, v1, v5, vcc_lo
	v_and_b32_e32 v5, 0x80000000, v15
	v_lshlrev_b32_e32 v1, 21, v1
	v_or3_b32 v1, v5, v4, v1
.LBB4_179:                              ;   in Loop: Header=BB4_137 Depth=3
	s_or_b32 exec_lo, exec_lo, s72
	v_mul_f32_e32 v1, s63, v1
	v_mov_b32_e32 v83, 0x80
	s_mov_b32 s72, exec_lo
	v_and_b32_e32 v4, 0x7f800000, v1
	v_cmpx_ne_u32_e32 0x7f800000, v4
	s_cbranch_execz .LBB4_187
; %bb.180:                              ;   in Loop: Header=BB4_137 Depth=3
	v_mov_b32_e32 v83, 0
	s_mov_b32 s73, exec_lo
	v_cmpx_ne_u32_e32 0, v1
	s_cbranch_execz .LBB4_186
; %bb.181:                              ;   in Loop: Header=BB4_137 Depth=3
	v_bfe_u32 v4, v1, 23, 8
	v_and_b32_e32 v5, 0x7fffff, v1
	v_sub_nc_u32_e32 v14, 0x70, v4
	v_cmp_gt_u32_e32 vcc_lo, 0x71, v4
	v_or_b32_e32 v15, 0x800000, v5
	v_cndmask_b32_e32 v14, 0, v14, vcc_lo
	v_cmp_eq_u32_e32 vcc_lo, 0, v4
	v_add_nc_u32_e32 v4, 0xffffff91, v4
	v_cndmask_b32_e64 v14, v14, 0x6f, vcc_lo
	v_cndmask_b32_e32 v5, v15, v5, vcc_lo
	v_cndmask_b32_e64 v4, v4, 0xffffff92, vcc_lo
	v_lshl_add_u32 v15, 0x200000, v14, -1
	v_lshrrev_b32_e32 v16, v14, v5
	v_lshlrev_b32_e64 v18, v14, 0x100000
	v_add_nc_u32_e32 v14, v14, v4
	v_and_b32_e32 v5, v15, v5
	v_bfe_u32 v17, v16, 21, 1
	v_cmp_eq_u32_e64 s16, v5, v18
	v_add_nc_u32_e32 v15, -1, v17
	v_cndmask_b32_e64 v5, 0, v15, s16
	v_lshrrev_b32_e32 v15, 23, v16
	s_mov_b32 s16, exec_lo
	v_add_nc_u32_e32 v5, v5, v16
	v_xor_b32_e32 v15, 1, v15
	v_and_b32_e32 v4, 0x1fffff, v5
	v_add_nc_u32_e32 v5, v4, v16
                                        ; implicit-def: $vgpr4
	v_cmpx_ne_u32_e64 v14, v15
	s_xor_b32 s16, exec_lo, s16
; %bb.182:                              ;   in Loop: Header=BB4_137 Depth=3
	v_cmp_lt_u32_e32 vcc_lo, 0xffffff, v5
	v_sub_nc_u32_e32 v4, v14, v15
	v_cndmask_b32_e64 v14, 0, 1, vcc_lo
	v_add_co_ci_u32_e64 v4, null, 0, v4, vcc_lo
	v_lshrrev_b32_e32 v5, v14, v5
; %bb.183:                              ;   in Loop: Header=BB4_137 Depth=3
	s_andn2_saveexec_b32 s16, s16
; %bb.184:                              ;   in Loop: Header=BB4_137 Depth=3
	v_bfe_u32 v4, v5, 23, 1
; %bb.185:                              ;   in Loop: Header=BB4_137 Depth=3
	s_or_b32 exec_lo, exec_lo, s16
	v_lshrrev_b32_e32 v5, 21, v5
	v_min_i32_e32 v14, 31, v4
	v_cmp_gt_i32_e32 vcc_lo, 32, v4
	v_and_b32_sdwa v1, v1, v101 dst_sel:DWORD dst_unused:UNUSED_PAD src0_sel:BYTE_3 src1_sel:DWORD
	v_lshlrev_b32_e32 v14, 2, v14
	v_cndmask_b32_e32 v5, 3, v5, vcc_lo
	v_and_b32_e32 v14, 0xfc, v14
	v_and_b32_e32 v15, 3, v5
	v_or_b32_e32 v4, v4, v5
	v_or3_b32 v1, v14, v1, v15
	v_cmp_ne_u32_e32 vcc_lo, 0, v4
	v_cndmask_b32_e32 v83, 0, v1, vcc_lo
.LBB4_186:                              ;   in Loop: Header=BB4_137 Depth=3
	s_or_b32 exec_lo, exec_lo, s73
.LBB4_187:                              ;   in Loop: Header=BB4_137 Depth=3
	s_or_b32 exec_lo, exec_lo, s72
	v_cmp_gt_i16_sdwa s72, v8, v100 src0_sel:BYTE_3 src1_sel:DWORD
	s_mov_b32 s16, 0
	s_and_saveexec_b32 s73, s72
	s_xor_b32 s72, exec_lo, s73
	s_cbranch_execz .LBB4_1045
; %bb.188:                              ;   in Loop: Header=BB4_137 Depth=3
	v_cmp_eq_u16_sdwa s74, v8, v101 src0_sel:BYTE_3 src1_sel:DWORD
	s_mov_b32 s16, -1
	s_and_saveexec_b32 s73, s74
; %bb.189:                              ;   in Loop: Header=BB4_137 Depth=3
	s_xor_b32 s16, exec_lo, -1
; %bb.190:                              ;   in Loop: Header=BB4_137 Depth=3
	s_or_b32 exec_lo, exec_lo, s73
	s_and_b32 s16, s16, exec_lo
	s_or_saveexec_b32 s72, s72
	v_mov_b32_e32 v1, 0x7f800001
	s_xor_b32 exec_lo, exec_lo, s72
	s_cbranch_execnz .LBB4_1046
.LBB4_191:                              ;   in Loop: Header=BB4_137 Depth=3
	s_or_b32 exec_lo, exec_lo, s72
	s_and_saveexec_b32 s72, s16
	s_cbranch_execz .LBB4_193
.LBB4_192:                              ;   in Loop: Header=BB4_137 Depth=3
	v_bfe_u32 v1, v8, 24, 2
	v_bfe_u32 v14, v8, 26, 5
	v_ffbh_u32_e32 v4, v1
	v_cmp_eq_u32_e32 vcc_lo, 0, v14
	v_min_u32_e32 v4, 32, v4
	v_subrev_nc_u32_e32 v5, 29, v4
	v_sub_nc_u32_e32 v4, 30, v4
	v_lshlrev_b32_sdwa v5, v5, v8 dst_sel:DWORD dst_unused:UNUSED_PAD src0_sel:DWORD src1_sel:BYTE_3
	v_cndmask_b32_e32 v4, v14, v4, vcc_lo
	v_and_b32_e32 v5, 3, v5
	v_lshl_add_u32 v4, v4, 23, 0x37800000
	v_cndmask_b32_e32 v1, v1, v5, vcc_lo
	v_and_b32_e32 v5, 0x80000000, v8
	v_lshlrev_b32_e32 v1, 21, v1
	v_or3_b32 v1, v5, v4, v1
.LBB4_193:                              ;   in Loop: Header=BB4_137 Depth=3
	s_or_b32 exec_lo, exec_lo, s72
	v_mul_f32_e32 v1, s63, v1
	v_mov_b32_e32 v59, 0x8000
	s_mov_b32 s72, exec_lo
	v_and_b32_e32 v4, 0x7f800000, v1
	v_cmpx_ne_u32_e32 0x7f800000, v4
	s_cbranch_execz .LBB4_201
; %bb.194:                              ;   in Loop: Header=BB4_137 Depth=3
	v_mov_b32_e32 v59, 0
	s_mov_b32 s73, exec_lo
	v_cmpx_ne_u32_e32 0, v1
	s_cbranch_execz .LBB4_200
; %bb.195:                              ;   in Loop: Header=BB4_137 Depth=3
	v_bfe_u32 v4, v1, 23, 8
	v_and_b32_e32 v5, 0x7fffff, v1
	v_sub_nc_u32_e32 v8, 0x70, v4
	v_cmp_gt_u32_e32 vcc_lo, 0x71, v4
	v_or_b32_e32 v14, 0x800000, v5
	v_cndmask_b32_e32 v8, 0, v8, vcc_lo
	v_cmp_eq_u32_e32 vcc_lo, 0, v4
	v_add_nc_u32_e32 v4, 0xffffff91, v4
	v_cndmask_b32_e64 v8, v8, 0x6f, vcc_lo
	v_cndmask_b32_e32 v5, v14, v5, vcc_lo
	v_cndmask_b32_e64 v4, v4, 0xffffff92, vcc_lo
	v_lshl_add_u32 v14, 0x200000, v8, -1
	v_lshrrev_b32_e32 v15, v8, v5
	v_lshlrev_b32_e64 v17, v8, 0x100000
	v_add_nc_u32_e32 v8, v8, v4
	v_and_b32_e32 v5, v14, v5
	v_bfe_u32 v16, v15, 21, 1
	v_cmp_eq_u32_e64 s16, v5, v17
	v_add_nc_u32_e32 v14, -1, v16
	v_cndmask_b32_e64 v5, 0, v14, s16
	v_lshrrev_b32_e32 v14, 23, v15
	s_mov_b32 s16, exec_lo
	v_add_nc_u32_e32 v5, v5, v15
	v_xor_b32_e32 v14, 1, v14
	v_and_b32_e32 v4, 0x1fffff, v5
	v_add_nc_u32_e32 v5, v4, v15
                                        ; implicit-def: $vgpr4
	v_cmpx_ne_u32_e64 v8, v14
	s_xor_b32 s16, exec_lo, s16
; %bb.196:                              ;   in Loop: Header=BB4_137 Depth=3
	v_cmp_lt_u32_e32 vcc_lo, 0xffffff, v5
	v_sub_nc_u32_e32 v4, v8, v14
	v_cndmask_b32_e64 v8, 0, 1, vcc_lo
	v_add_co_ci_u32_e64 v4, null, 0, v4, vcc_lo
	v_lshrrev_b32_e32 v5, v8, v5
; %bb.197:                              ;   in Loop: Header=BB4_137 Depth=3
	s_andn2_saveexec_b32 s16, s16
; %bb.198:                              ;   in Loop: Header=BB4_137 Depth=3
	v_bfe_u32 v4, v5, 23, 1
; %bb.199:                              ;   in Loop: Header=BB4_137 Depth=3
	s_or_b32 exec_lo, exec_lo, s16
	v_lshrrev_b32_e32 v5, 21, v5
	v_min_i32_e32 v8, 31, v4
	v_cmp_gt_i32_e32 vcc_lo, 32, v4
	v_and_b32_sdwa v1, v1, v101 dst_sel:DWORD dst_unused:UNUSED_PAD src0_sel:BYTE_3 src1_sel:DWORD
	v_lshlrev_b32_e32 v8, 2, v8
	v_cndmask_b32_e32 v5, 3, v5, vcc_lo
	v_and_b32_e32 v8, 0xfc, v8
	v_and_b32_e32 v14, 3, v5
	v_or_b32_e32 v4, v4, v5
	v_or3_b32 v1, v1, v8, v14
	v_cmp_ne_u32_e32 vcc_lo, 0, v4
	v_lshlrev_b32_e32 v1, 8, v1
	v_cndmask_b32_e32 v59, 0, v1, vcc_lo
.LBB4_200:                              ;   in Loop: Header=BB4_137 Depth=3
	s_or_b32 exec_lo, exec_lo, s73
.LBB4_201:                              ;   in Loop: Header=BB4_137 Depth=3
	s_or_b32 exec_lo, exec_lo, s72
	v_cmp_gt_i16_sdwa s72, v9, v100 src0_sel:BYTE_0 src1_sel:DWORD
	s_mov_b32 s16, 0
	s_and_saveexec_b32 s73, s72
	s_xor_b32 s72, exec_lo, s73
	s_cbranch_execz .LBB4_1047
; %bb.202:                              ;   in Loop: Header=BB4_137 Depth=3
	v_cmp_eq_u16_sdwa s74, v9, v101 src0_sel:BYTE_0 src1_sel:DWORD
	s_mov_b32 s16, -1
	s_and_saveexec_b32 s73, s74
; %bb.203:                              ;   in Loop: Header=BB4_137 Depth=3
	s_xor_b32 s16, exec_lo, -1
; %bb.204:                              ;   in Loop: Header=BB4_137 Depth=3
	s_or_b32 exec_lo, exec_lo, s73
	s_and_b32 s16, s16, exec_lo
	s_or_saveexec_b32 s72, s72
	v_mov_b32_e32 v1, 0x7f800001
	s_xor_b32 exec_lo, exec_lo, s72
	s_cbranch_execnz .LBB4_1048
.LBB4_205:                              ;   in Loop: Header=BB4_137 Depth=3
	s_or_b32 exec_lo, exec_lo, s72
	s_and_saveexec_b32 s72, s16
	s_cbranch_execz .LBB4_207
.LBB4_206:                              ;   in Loop: Header=BB4_137 Depth=3
	v_and_b32_e32 v1, 3, v9
	v_bfe_u32 v8, v9, 2, 5
	v_lshlrev_b32_e32 v14, 24, v9
	v_ffbh_u32_e32 v4, v1
	v_cmp_eq_u32_e32 vcc_lo, 0, v8
	v_min_u32_e32 v4, 32, v4
	v_subrev_nc_u32_e32 v5, 29, v4
	v_sub_nc_u32_e32 v4, 30, v4
	v_lshlrev_b32_e32 v5, v5, v9
	v_cndmask_b32_e32 v4, v8, v4, vcc_lo
	v_and_b32_e32 v5, 3, v5
	v_lshl_add_u32 v4, v4, 23, 0x37800000
	v_cndmask_b32_e32 v1, v1, v5, vcc_lo
	v_and_b32_e32 v5, 0x80000000, v14
	v_lshlrev_b32_e32 v1, 21, v1
	v_or3_b32 v1, v5, v4, v1
.LBB4_207:                              ;   in Loop: Header=BB4_137 Depth=3
	s_or_b32 exec_lo, exec_lo, s72
	v_mul_f32_e32 v1, s63, v1
	v_mov_b32_e32 v60, 0x80
	s_mov_b32 s72, exec_lo
	v_and_b32_e32 v4, 0x7f800000, v1
	v_cmpx_ne_u32_e32 0x7f800000, v4
	s_cbranch_execz .LBB4_215
; %bb.208:                              ;   in Loop: Header=BB4_137 Depth=3
	v_mov_b32_e32 v60, 0
	s_mov_b32 s73, exec_lo
	v_cmpx_ne_u32_e32 0, v1
	s_cbranch_execz .LBB4_214
; %bb.209:                              ;   in Loop: Header=BB4_137 Depth=3
	v_bfe_u32 v4, v1, 23, 8
	v_and_b32_e32 v5, 0x7fffff, v1
	v_sub_nc_u32_e32 v8, 0x70, v4
	v_cmp_gt_u32_e32 vcc_lo, 0x71, v4
	v_or_b32_e32 v14, 0x800000, v5
	v_cndmask_b32_e32 v8, 0, v8, vcc_lo
	v_cmp_eq_u32_e32 vcc_lo, 0, v4
	v_add_nc_u32_e32 v4, 0xffffff91, v4
	v_cndmask_b32_e64 v8, v8, 0x6f, vcc_lo
	v_cndmask_b32_e32 v5, v14, v5, vcc_lo
	v_cndmask_b32_e64 v4, v4, 0xffffff92, vcc_lo
	v_lshl_add_u32 v14, 0x200000, v8, -1
	v_lshrrev_b32_e32 v15, v8, v5
	v_lshlrev_b32_e64 v17, v8, 0x100000
	v_add_nc_u32_e32 v8, v8, v4
	v_and_b32_e32 v5, v14, v5
	v_bfe_u32 v16, v15, 21, 1
	v_cmp_eq_u32_e64 s16, v5, v17
	v_add_nc_u32_e32 v14, -1, v16
	v_cndmask_b32_e64 v5, 0, v14, s16
	v_lshrrev_b32_e32 v14, 23, v15
	s_mov_b32 s16, exec_lo
	v_add_nc_u32_e32 v5, v5, v15
	v_xor_b32_e32 v14, 1, v14
	v_and_b32_e32 v4, 0x1fffff, v5
	v_add_nc_u32_e32 v5, v4, v15
                                        ; implicit-def: $vgpr4
	v_cmpx_ne_u32_e64 v8, v14
	s_xor_b32 s16, exec_lo, s16
; %bb.210:                              ;   in Loop: Header=BB4_137 Depth=3
	v_cmp_lt_u32_e32 vcc_lo, 0xffffff, v5
	v_sub_nc_u32_e32 v4, v8, v14
	v_cndmask_b32_e64 v8, 0, 1, vcc_lo
	v_add_co_ci_u32_e64 v4, null, 0, v4, vcc_lo
	v_lshrrev_b32_e32 v5, v8, v5
; %bb.211:                              ;   in Loop: Header=BB4_137 Depth=3
	s_andn2_saveexec_b32 s16, s16
; %bb.212:                              ;   in Loop: Header=BB4_137 Depth=3
	v_bfe_u32 v4, v5, 23, 1
; %bb.213:                              ;   in Loop: Header=BB4_137 Depth=3
	s_or_b32 exec_lo, exec_lo, s16
	v_lshrrev_b32_e32 v5, 21, v5
	v_min_i32_e32 v8, 31, v4
	v_cmp_gt_i32_e32 vcc_lo, 32, v4
	v_and_b32_sdwa v1, v1, v101 dst_sel:DWORD dst_unused:UNUSED_PAD src0_sel:BYTE_3 src1_sel:DWORD
	v_lshlrev_b32_e32 v8, 2, v8
	v_cndmask_b32_e32 v5, 3, v5, vcc_lo
	v_and_b32_e32 v8, 0xfc, v8
	v_and_b32_e32 v14, 3, v5
	v_or_b32_e32 v4, v4, v5
	v_or3_b32 v1, v8, v1, v14
	v_cmp_ne_u32_e32 vcc_lo, 0, v4
	v_cndmask_b32_e32 v60, 0, v1, vcc_lo
.LBB4_214:                              ;   in Loop: Header=BB4_137 Depth=3
	s_or_b32 exec_lo, exec_lo, s73
.LBB4_215:                              ;   in Loop: Header=BB4_137 Depth=3
	s_or_b32 exec_lo, exec_lo, s72
	v_cmp_gt_i16_sdwa s72, v9, v100 src0_sel:BYTE_1 src1_sel:DWORD
	s_mov_b32 s16, 0
	s_and_saveexec_b32 s73, s72
	s_xor_b32 s72, exec_lo, s73
	s_cbranch_execz .LBB4_1049
; %bb.216:                              ;   in Loop: Header=BB4_137 Depth=3
	v_cmp_eq_u16_sdwa s74, v9, v101 src0_sel:BYTE_1 src1_sel:DWORD
	s_mov_b32 s16, -1
	s_and_saveexec_b32 s73, s74
; %bb.217:                              ;   in Loop: Header=BB4_137 Depth=3
	s_xor_b32 s16, exec_lo, -1
; %bb.218:                              ;   in Loop: Header=BB4_137 Depth=3
	s_or_b32 exec_lo, exec_lo, s73
	s_and_b32 s16, s16, exec_lo
	s_or_saveexec_b32 s72, s72
	v_mov_b32_e32 v1, 0x7f800001
	s_xor_b32 exec_lo, exec_lo, s72
	s_cbranch_execnz .LBB4_1050
.LBB4_219:                              ;   in Loop: Header=BB4_137 Depth=3
	s_or_b32 exec_lo, exec_lo, s72
	s_and_saveexec_b32 s72, s16
	s_cbranch_execz .LBB4_221
.LBB4_220:                              ;   in Loop: Header=BB4_137 Depth=3
	v_and_b32_sdwa v1, v102, v9 dst_sel:DWORD dst_unused:UNUSED_PAD src0_sel:DWORD src1_sel:BYTE_1
	v_and_b32_e32 v4, 3, v1
	v_bfe_u32 v14, v1, 2, 5
	v_ffbh_u32_e32 v5, v4
	v_cmp_eq_u32_e32 vcc_lo, 0, v14
	v_min_u32_e32 v5, 32, v5
	v_subrev_nc_u32_e32 v8, 29, v5
	v_sub_nc_u32_e32 v5, 30, v5
	v_lshlrev_b32_e32 v1, v8, v1
	v_lshlrev_b32_sdwa v8, v103, v9 dst_sel:DWORD dst_unused:UNUSED_PAD src0_sel:DWORD src1_sel:BYTE_1
	v_cndmask_b32_e32 v5, v14, v5, vcc_lo
	v_and_b32_e32 v1, 3, v1
	v_lshl_add_u32 v5, v5, 23, 0x37800000
	v_cndmask_b32_e32 v1, v4, v1, vcc_lo
	v_and_b32_e32 v4, 0x80000000, v8
	v_lshlrev_b32_e32 v1, 21, v1
	v_or3_b32 v1, v4, v5, v1
.LBB4_221:                              ;   in Loop: Header=BB4_137 Depth=3
	s_or_b32 exec_lo, exec_lo, s72
	v_mul_f32_e32 v1, s63, v1
	v_mov_b32_e32 v61, 0x8000
	s_mov_b32 s72, exec_lo
	v_and_b32_e32 v4, 0x7f800000, v1
	v_cmpx_ne_u32_e32 0x7f800000, v4
	s_cbranch_execz .LBB4_229
; %bb.222:                              ;   in Loop: Header=BB4_137 Depth=3
	v_mov_b32_e32 v61, 0
	s_mov_b32 s73, exec_lo
	v_cmpx_ne_u32_e32 0, v1
	s_cbranch_execz .LBB4_228
; %bb.223:                              ;   in Loop: Header=BB4_137 Depth=3
	v_bfe_u32 v4, v1, 23, 8
	v_and_b32_e32 v5, 0x7fffff, v1
	v_sub_nc_u32_e32 v8, 0x70, v4
	v_cmp_gt_u32_e32 vcc_lo, 0x71, v4
	v_or_b32_e32 v14, 0x800000, v5
	v_cndmask_b32_e32 v8, 0, v8, vcc_lo
	v_cmp_eq_u32_e32 vcc_lo, 0, v4
	v_add_nc_u32_e32 v4, 0xffffff91, v4
	v_cndmask_b32_e64 v8, v8, 0x6f, vcc_lo
	v_cndmask_b32_e32 v5, v14, v5, vcc_lo
	v_cndmask_b32_e64 v4, v4, 0xffffff92, vcc_lo
	v_lshl_add_u32 v14, 0x200000, v8, -1
	v_lshrrev_b32_e32 v15, v8, v5
	v_lshlrev_b32_e64 v17, v8, 0x100000
	v_add_nc_u32_e32 v8, v8, v4
	v_and_b32_e32 v5, v14, v5
	v_bfe_u32 v16, v15, 21, 1
	v_cmp_eq_u32_e64 s16, v5, v17
	v_add_nc_u32_e32 v14, -1, v16
	v_cndmask_b32_e64 v5, 0, v14, s16
	v_lshrrev_b32_e32 v14, 23, v15
	s_mov_b32 s16, exec_lo
	v_add_nc_u32_e32 v5, v5, v15
	v_xor_b32_e32 v14, 1, v14
	v_and_b32_e32 v4, 0x1fffff, v5
	v_add_nc_u32_e32 v5, v4, v15
                                        ; implicit-def: $vgpr4
	v_cmpx_ne_u32_e64 v8, v14
	s_xor_b32 s16, exec_lo, s16
; %bb.224:                              ;   in Loop: Header=BB4_137 Depth=3
	v_cmp_lt_u32_e32 vcc_lo, 0xffffff, v5
	v_sub_nc_u32_e32 v4, v8, v14
	v_cndmask_b32_e64 v8, 0, 1, vcc_lo
	v_add_co_ci_u32_e64 v4, null, 0, v4, vcc_lo
	v_lshrrev_b32_e32 v5, v8, v5
; %bb.225:                              ;   in Loop: Header=BB4_137 Depth=3
	s_andn2_saveexec_b32 s16, s16
; %bb.226:                              ;   in Loop: Header=BB4_137 Depth=3
	v_bfe_u32 v4, v5, 23, 1
; %bb.227:                              ;   in Loop: Header=BB4_137 Depth=3
	s_or_b32 exec_lo, exec_lo, s16
	v_lshrrev_b32_e32 v5, 21, v5
	v_min_i32_e32 v8, 31, v4
	v_cmp_gt_i32_e32 vcc_lo, 32, v4
	v_and_b32_sdwa v1, v1, v101 dst_sel:DWORD dst_unused:UNUSED_PAD src0_sel:BYTE_3 src1_sel:DWORD
	v_lshlrev_b32_e32 v8, 2, v8
	v_cndmask_b32_e32 v5, 3, v5, vcc_lo
	v_and_b32_e32 v8, 0xfc, v8
	v_and_b32_e32 v14, 3, v5
	v_or_b32_e32 v4, v4, v5
	v_or3_b32 v1, v1, v8, v14
	v_cmp_ne_u32_e32 vcc_lo, 0, v4
	v_lshlrev_b32_e32 v1, 8, v1
	v_cndmask_b32_e32 v61, 0, v1, vcc_lo
.LBB4_228:                              ;   in Loop: Header=BB4_137 Depth=3
	s_or_b32 exec_lo, exec_lo, s73
.LBB4_229:                              ;   in Loop: Header=BB4_137 Depth=3
	s_or_b32 exec_lo, exec_lo, s72
	v_and_b32_sdwa v4, v9, v112 dst_sel:DWORD dst_unused:UNUSED_PAD src0_sel:WORD_1 src1_sel:DWORD
	s_mov_b32 s16, 0
	s_mov_b32 s72, exec_lo
	v_cmpx_lt_i16_e32 0x7f, v4
	s_xor_b32 s72, exec_lo, s72
	s_cbranch_execz .LBB4_1051
; %bb.230:                              ;   in Loop: Header=BB4_137 Depth=3
	s_mov_b32 s16, -1
	s_mov_b32 s73, exec_lo
	v_cmpx_eq_u16_e32 0x80, v4
; %bb.231:                              ;   in Loop: Header=BB4_137 Depth=3
	s_xor_b32 s16, exec_lo, -1
; %bb.232:                              ;   in Loop: Header=BB4_137 Depth=3
	s_or_b32 exec_lo, exec_lo, s73
	s_and_b32 s16, s16, exec_lo
                                        ; implicit-def: $vgpr4
	s_or_saveexec_b32 s72, s72
	v_mov_b32_e32 v1, 0x7f800001
	s_xor_b32 exec_lo, exec_lo, s72
	s_cbranch_execnz .LBB4_1052
.LBB4_233:                              ;   in Loop: Header=BB4_137 Depth=3
	s_or_b32 exec_lo, exec_lo, s72
	s_and_saveexec_b32 s72, s16
	s_cbranch_execz .LBB4_235
.LBB4_234:                              ;   in Loop: Header=BB4_137 Depth=3
	v_bfe_u32 v1, v9, 16, 2
	v_bfe_u32 v8, v9, 18, 5
	v_lshlrev_b32_e32 v14, 8, v9
	v_ffbh_u32_e32 v4, v1
	v_cmp_eq_u32_e32 vcc_lo, 0, v8
	v_min_u32_e32 v4, 32, v4
	v_subrev_nc_u32_e32 v5, 29, v4
	v_sub_nc_u32_e32 v4, 30, v4
	v_lshlrev_b32_sdwa v5, v5, v9 dst_sel:DWORD dst_unused:UNUSED_PAD src0_sel:DWORD src1_sel:WORD_1
	v_cndmask_b32_e32 v4, v8, v4, vcc_lo
	v_and_b32_e32 v5, 3, v5
	v_lshl_add_u32 v4, v4, 23, 0x37800000
	v_cndmask_b32_e32 v1, v1, v5, vcc_lo
	v_and_b32_e32 v5, 0x80000000, v14
	v_lshlrev_b32_e32 v1, 21, v1
	v_or3_b32 v1, v5, v4, v1
.LBB4_235:                              ;   in Loop: Header=BB4_137 Depth=3
	s_or_b32 exec_lo, exec_lo, s72
	v_mul_f32_e32 v1, s63, v1
	v_mov_b32_e32 v62, 0x80
	s_mov_b32 s72, exec_lo
	v_and_b32_e32 v4, 0x7f800000, v1
	v_cmpx_ne_u32_e32 0x7f800000, v4
	s_cbranch_execz .LBB4_243
; %bb.236:                              ;   in Loop: Header=BB4_137 Depth=3
	v_mov_b32_e32 v62, 0
	s_mov_b32 s73, exec_lo
	v_cmpx_ne_u32_e32 0, v1
	s_cbranch_execz .LBB4_242
; %bb.237:                              ;   in Loop: Header=BB4_137 Depth=3
	v_bfe_u32 v4, v1, 23, 8
	v_and_b32_e32 v5, 0x7fffff, v1
	v_sub_nc_u32_e32 v8, 0x70, v4
	v_cmp_gt_u32_e32 vcc_lo, 0x71, v4
	v_or_b32_e32 v14, 0x800000, v5
	v_cndmask_b32_e32 v8, 0, v8, vcc_lo
	v_cmp_eq_u32_e32 vcc_lo, 0, v4
	v_add_nc_u32_e32 v4, 0xffffff91, v4
	v_cndmask_b32_e64 v8, v8, 0x6f, vcc_lo
	v_cndmask_b32_e32 v5, v14, v5, vcc_lo
	v_cndmask_b32_e64 v4, v4, 0xffffff92, vcc_lo
	v_lshl_add_u32 v14, 0x200000, v8, -1
	v_lshrrev_b32_e32 v15, v8, v5
	v_lshlrev_b32_e64 v17, v8, 0x100000
	v_add_nc_u32_e32 v8, v8, v4
	v_and_b32_e32 v5, v14, v5
	v_bfe_u32 v16, v15, 21, 1
	v_cmp_eq_u32_e64 s16, v5, v17
	v_add_nc_u32_e32 v14, -1, v16
	v_cndmask_b32_e64 v5, 0, v14, s16
	v_lshrrev_b32_e32 v14, 23, v15
	s_mov_b32 s16, exec_lo
	v_add_nc_u32_e32 v5, v5, v15
	v_xor_b32_e32 v14, 1, v14
	v_and_b32_e32 v4, 0x1fffff, v5
	v_add_nc_u32_e32 v5, v4, v15
                                        ; implicit-def: $vgpr4
	v_cmpx_ne_u32_e64 v8, v14
	s_xor_b32 s16, exec_lo, s16
; %bb.238:                              ;   in Loop: Header=BB4_137 Depth=3
	v_cmp_lt_u32_e32 vcc_lo, 0xffffff, v5
	v_sub_nc_u32_e32 v4, v8, v14
	v_cndmask_b32_e64 v8, 0, 1, vcc_lo
	v_add_co_ci_u32_e64 v4, null, 0, v4, vcc_lo
	v_lshrrev_b32_e32 v5, v8, v5
; %bb.239:                              ;   in Loop: Header=BB4_137 Depth=3
	s_andn2_saveexec_b32 s16, s16
; %bb.240:                              ;   in Loop: Header=BB4_137 Depth=3
	v_bfe_u32 v4, v5, 23, 1
; %bb.241:                              ;   in Loop: Header=BB4_137 Depth=3
	s_or_b32 exec_lo, exec_lo, s16
	v_lshrrev_b32_e32 v5, 21, v5
	v_min_i32_e32 v8, 31, v4
	v_cmp_gt_i32_e32 vcc_lo, 32, v4
	v_and_b32_sdwa v1, v1, v101 dst_sel:DWORD dst_unused:UNUSED_PAD src0_sel:BYTE_3 src1_sel:DWORD
	v_lshlrev_b32_e32 v8, 2, v8
	v_cndmask_b32_e32 v5, 3, v5, vcc_lo
	v_and_b32_e32 v8, 0xfc, v8
	v_and_b32_e32 v14, 3, v5
	v_or_b32_e32 v4, v4, v5
	v_or3_b32 v1, v8, v1, v14
	v_cmp_ne_u32_e32 vcc_lo, 0, v4
	v_cndmask_b32_e32 v62, 0, v1, vcc_lo
.LBB4_242:                              ;   in Loop: Header=BB4_137 Depth=3
	s_or_b32 exec_lo, exec_lo, s73
.LBB4_243:                              ;   in Loop: Header=BB4_137 Depth=3
	s_or_b32 exec_lo, exec_lo, s72
	v_cmp_gt_i16_sdwa s72, v9, v100 src0_sel:BYTE_3 src1_sel:DWORD
	s_mov_b32 s16, 0
	s_and_saveexec_b32 s73, s72
	s_xor_b32 s72, exec_lo, s73
	s_cbranch_execz .LBB4_1053
; %bb.244:                              ;   in Loop: Header=BB4_137 Depth=3
	v_cmp_eq_u16_sdwa s74, v9, v101 src0_sel:BYTE_3 src1_sel:DWORD
	s_mov_b32 s16, -1
	s_and_saveexec_b32 s73, s74
; %bb.245:                              ;   in Loop: Header=BB4_137 Depth=3
	s_xor_b32 s16, exec_lo, -1
; %bb.246:                              ;   in Loop: Header=BB4_137 Depth=3
	s_or_b32 exec_lo, exec_lo, s73
	s_and_b32 s16, s16, exec_lo
	s_or_saveexec_b32 s72, s72
	v_mov_b32_e32 v1, 0x7f800001
	s_xor_b32 exec_lo, exec_lo, s72
	s_cbranch_execnz .LBB4_1054
.LBB4_247:                              ;   in Loop: Header=BB4_137 Depth=3
	s_or_b32 exec_lo, exec_lo, s72
	s_and_saveexec_b32 s72, s16
	s_cbranch_execz .LBB4_249
.LBB4_248:                              ;   in Loop: Header=BB4_137 Depth=3
	v_bfe_u32 v1, v9, 24, 2
	v_bfe_u32 v8, v9, 26, 5
	v_ffbh_u32_e32 v4, v1
	v_cmp_eq_u32_e32 vcc_lo, 0, v8
	v_min_u32_e32 v4, 32, v4
	v_subrev_nc_u32_e32 v5, 29, v4
	v_sub_nc_u32_e32 v4, 30, v4
	v_lshlrev_b32_sdwa v5, v5, v9 dst_sel:DWORD dst_unused:UNUSED_PAD src0_sel:DWORD src1_sel:BYTE_3
	v_cndmask_b32_e32 v4, v8, v4, vcc_lo
	v_and_b32_e32 v5, 3, v5
	v_lshl_add_u32 v4, v4, 23, 0x37800000
	v_cndmask_b32_e32 v1, v1, v5, vcc_lo
	v_and_b32_e32 v5, 0x80000000, v9
	v_lshlrev_b32_e32 v1, 21, v1
	v_or3_b32 v1, v5, v4, v1
.LBB4_249:                              ;   in Loop: Header=BB4_137 Depth=3
	s_or_b32 exec_lo, exec_lo, s72
	v_mul_f32_e32 v1, s63, v1
	v_mov_b32_e32 v63, 0x8000
	s_mov_b32 s72, exec_lo
	v_and_b32_e32 v4, 0x7f800000, v1
	v_cmpx_ne_u32_e32 0x7f800000, v4
	s_cbranch_execz .LBB4_257
; %bb.250:                              ;   in Loop: Header=BB4_137 Depth=3
	v_mov_b32_e32 v63, 0
	s_mov_b32 s73, exec_lo
	v_cmpx_ne_u32_e32 0, v1
	s_cbranch_execz .LBB4_256
; %bb.251:                              ;   in Loop: Header=BB4_137 Depth=3
	v_bfe_u32 v4, v1, 23, 8
	v_and_b32_e32 v5, 0x7fffff, v1
	v_sub_nc_u32_e32 v8, 0x70, v4
	v_cmp_gt_u32_e32 vcc_lo, 0x71, v4
	v_or_b32_e32 v9, 0x800000, v5
	v_cndmask_b32_e32 v8, 0, v8, vcc_lo
	v_cmp_eq_u32_e32 vcc_lo, 0, v4
	v_add_nc_u32_e32 v4, 0xffffff91, v4
	v_cndmask_b32_e64 v8, v8, 0x6f, vcc_lo
	v_cndmask_b32_e32 v5, v9, v5, vcc_lo
	v_cndmask_b32_e64 v4, v4, 0xffffff92, vcc_lo
	v_lshl_add_u32 v9, 0x200000, v8, -1
	v_lshrrev_b32_e32 v14, v8, v5
	v_lshlrev_b32_e64 v16, v8, 0x100000
	v_add_nc_u32_e32 v8, v8, v4
	v_and_b32_e32 v5, v9, v5
	v_bfe_u32 v15, v14, 21, 1
	v_cmp_eq_u32_e64 s16, v5, v16
	v_add_nc_u32_e32 v9, -1, v15
	v_cndmask_b32_e64 v5, 0, v9, s16
	v_lshrrev_b32_e32 v9, 23, v14
	s_mov_b32 s16, exec_lo
	v_add_nc_u32_e32 v5, v5, v14
	v_xor_b32_e32 v9, 1, v9
	v_and_b32_e32 v4, 0x1fffff, v5
	v_add_nc_u32_e32 v5, v4, v14
                                        ; implicit-def: $vgpr4
	v_cmpx_ne_u32_e64 v8, v9
	s_xor_b32 s16, exec_lo, s16
; %bb.252:                              ;   in Loop: Header=BB4_137 Depth=3
	v_cmp_lt_u32_e32 vcc_lo, 0xffffff, v5
	v_sub_nc_u32_e32 v4, v8, v9
	v_cndmask_b32_e64 v8, 0, 1, vcc_lo
	v_add_co_ci_u32_e64 v4, null, 0, v4, vcc_lo
	v_lshrrev_b32_e32 v5, v8, v5
; %bb.253:                              ;   in Loop: Header=BB4_137 Depth=3
	s_andn2_saveexec_b32 s16, s16
; %bb.254:                              ;   in Loop: Header=BB4_137 Depth=3
	v_bfe_u32 v4, v5, 23, 1
; %bb.255:                              ;   in Loop: Header=BB4_137 Depth=3
	s_or_b32 exec_lo, exec_lo, s16
	v_lshrrev_b32_e32 v5, 21, v5
	v_min_i32_e32 v8, 31, v4
	v_cmp_gt_i32_e32 vcc_lo, 32, v4
	v_and_b32_sdwa v1, v1, v101 dst_sel:DWORD dst_unused:UNUSED_PAD src0_sel:BYTE_3 src1_sel:DWORD
	v_lshlrev_b32_e32 v8, 2, v8
	v_cndmask_b32_e32 v5, 3, v5, vcc_lo
	v_and_b32_e32 v8, 0xfc, v8
	v_and_b32_e32 v9, 3, v5
	v_or_b32_e32 v4, v4, v5
	v_or3_b32 v1, v1, v8, v9
	v_cmp_ne_u32_e32 vcc_lo, 0, v4
	v_lshlrev_b32_e32 v1, 8, v1
	v_cndmask_b32_e32 v63, 0, v1, vcc_lo
.LBB4_256:                              ;   in Loop: Header=BB4_137 Depth=3
	s_or_b32 exec_lo, exec_lo, s73
.LBB4_257:                              ;   in Loop: Header=BB4_137 Depth=3
	s_or_b32 exec_lo, exec_lo, s72
	v_cmp_gt_i16_sdwa s72, v10, v100 src0_sel:BYTE_0 src1_sel:DWORD
	s_mov_b32 s16, 0
	s_and_saveexec_b32 s73, s72
	s_xor_b32 s72, exec_lo, s73
	s_cbranch_execz .LBB4_1055
; %bb.258:                              ;   in Loop: Header=BB4_137 Depth=3
	v_cmp_eq_u16_sdwa s74, v10, v101 src0_sel:BYTE_0 src1_sel:DWORD
	s_mov_b32 s16, -1
	s_and_saveexec_b32 s73, s74
; %bb.259:                              ;   in Loop: Header=BB4_137 Depth=3
	s_xor_b32 s16, exec_lo, -1
; %bb.260:                              ;   in Loop: Header=BB4_137 Depth=3
	s_or_b32 exec_lo, exec_lo, s73
	s_and_b32 s16, s16, exec_lo
	s_or_saveexec_b32 s72, s72
	v_mov_b32_e32 v1, 0x7f800001
	s_xor_b32 exec_lo, exec_lo, s72
	s_cbranch_execnz .LBB4_1056
.LBB4_261:                              ;   in Loop: Header=BB4_137 Depth=3
	s_or_b32 exec_lo, exec_lo, s72
	s_and_saveexec_b32 s72, s16
	s_cbranch_execz .LBB4_263
.LBB4_262:                              ;   in Loop: Header=BB4_137 Depth=3
	v_and_b32_e32 v1, 3, v10
	v_bfe_u32 v8, v10, 2, 5
	v_lshlrev_b32_e32 v9, 24, v10
	v_ffbh_u32_e32 v4, v1
	v_cmp_eq_u32_e32 vcc_lo, 0, v8
	v_min_u32_e32 v4, 32, v4
	v_subrev_nc_u32_e32 v5, 29, v4
	v_sub_nc_u32_e32 v4, 30, v4
	v_lshlrev_b32_e32 v5, v5, v10
	v_cndmask_b32_e32 v4, v8, v4, vcc_lo
	v_and_b32_e32 v5, 3, v5
	v_lshl_add_u32 v4, v4, 23, 0x37800000
	v_cndmask_b32_e32 v1, v1, v5, vcc_lo
	v_and_b32_e32 v5, 0x80000000, v9
	v_lshlrev_b32_e32 v1, 21, v1
	v_or3_b32 v1, v5, v4, v1
.LBB4_263:                              ;   in Loop: Header=BB4_137 Depth=3
	s_or_b32 exec_lo, exec_lo, s72
	v_mul_f32_e32 v1, s63, v1
	v_mov_b32_e32 v72, 0x80
	s_mov_b32 s72, exec_lo
	v_and_b32_e32 v4, 0x7f800000, v1
	v_cmpx_ne_u32_e32 0x7f800000, v4
	s_cbranch_execz .LBB4_271
; %bb.264:                              ;   in Loop: Header=BB4_137 Depth=3
	v_mov_b32_e32 v72, 0
	s_mov_b32 s73, exec_lo
	v_cmpx_ne_u32_e32 0, v1
	s_cbranch_execz .LBB4_270
; %bb.265:                              ;   in Loop: Header=BB4_137 Depth=3
	v_bfe_u32 v4, v1, 23, 8
	v_and_b32_e32 v5, 0x7fffff, v1
	v_sub_nc_u32_e32 v8, 0x70, v4
	v_cmp_gt_u32_e32 vcc_lo, 0x71, v4
	v_or_b32_e32 v9, 0x800000, v5
	v_cndmask_b32_e32 v8, 0, v8, vcc_lo
	v_cmp_eq_u32_e32 vcc_lo, 0, v4
	v_add_nc_u32_e32 v4, 0xffffff91, v4
	v_cndmask_b32_e64 v8, v8, 0x6f, vcc_lo
	v_cndmask_b32_e32 v5, v9, v5, vcc_lo
	v_cndmask_b32_e64 v4, v4, 0xffffff92, vcc_lo
	v_lshl_add_u32 v9, 0x200000, v8, -1
	v_lshrrev_b32_e32 v14, v8, v5
	v_lshlrev_b32_e64 v16, v8, 0x100000
	v_add_nc_u32_e32 v8, v8, v4
	v_and_b32_e32 v5, v9, v5
	v_bfe_u32 v15, v14, 21, 1
	v_cmp_eq_u32_e64 s16, v5, v16
	v_add_nc_u32_e32 v9, -1, v15
	v_cndmask_b32_e64 v5, 0, v9, s16
	v_lshrrev_b32_e32 v9, 23, v14
	s_mov_b32 s16, exec_lo
	v_add_nc_u32_e32 v5, v5, v14
	v_xor_b32_e32 v9, 1, v9
	v_and_b32_e32 v4, 0x1fffff, v5
	v_add_nc_u32_e32 v5, v4, v14
                                        ; implicit-def: $vgpr4
	v_cmpx_ne_u32_e64 v8, v9
	s_xor_b32 s16, exec_lo, s16
; %bb.266:                              ;   in Loop: Header=BB4_137 Depth=3
	v_cmp_lt_u32_e32 vcc_lo, 0xffffff, v5
	v_sub_nc_u32_e32 v4, v8, v9
	v_cndmask_b32_e64 v8, 0, 1, vcc_lo
	v_add_co_ci_u32_e64 v4, null, 0, v4, vcc_lo
	v_lshrrev_b32_e32 v5, v8, v5
; %bb.267:                              ;   in Loop: Header=BB4_137 Depth=3
	s_andn2_saveexec_b32 s16, s16
; %bb.268:                              ;   in Loop: Header=BB4_137 Depth=3
	v_bfe_u32 v4, v5, 23, 1
; %bb.269:                              ;   in Loop: Header=BB4_137 Depth=3
	s_or_b32 exec_lo, exec_lo, s16
	v_lshrrev_b32_e32 v5, 21, v5
	v_min_i32_e32 v8, 31, v4
	v_cmp_gt_i32_e32 vcc_lo, 32, v4
	v_and_b32_sdwa v1, v1, v101 dst_sel:DWORD dst_unused:UNUSED_PAD src0_sel:BYTE_3 src1_sel:DWORD
	v_lshlrev_b32_e32 v8, 2, v8
	v_cndmask_b32_e32 v5, 3, v5, vcc_lo
	v_and_b32_e32 v8, 0xfc, v8
	v_and_b32_e32 v9, 3, v5
	v_or_b32_e32 v4, v4, v5
	v_or3_b32 v1, v8, v1, v9
	v_cmp_ne_u32_e32 vcc_lo, 0, v4
	v_cndmask_b32_e32 v72, 0, v1, vcc_lo
.LBB4_270:                              ;   in Loop: Header=BB4_137 Depth=3
	s_or_b32 exec_lo, exec_lo, s73
.LBB4_271:                              ;   in Loop: Header=BB4_137 Depth=3
	s_or_b32 exec_lo, exec_lo, s72
	v_cmp_gt_i16_sdwa s72, v10, v100 src0_sel:BYTE_1 src1_sel:DWORD
	s_mov_b32 s16, 0
	s_and_saveexec_b32 s73, s72
	s_xor_b32 s72, exec_lo, s73
	s_cbranch_execz .LBB4_1057
; %bb.272:                              ;   in Loop: Header=BB4_137 Depth=3
	v_cmp_eq_u16_sdwa s74, v10, v101 src0_sel:BYTE_1 src1_sel:DWORD
	s_mov_b32 s16, -1
	s_and_saveexec_b32 s73, s74
; %bb.273:                              ;   in Loop: Header=BB4_137 Depth=3
	s_xor_b32 s16, exec_lo, -1
; %bb.274:                              ;   in Loop: Header=BB4_137 Depth=3
	s_or_b32 exec_lo, exec_lo, s73
	s_and_b32 s16, s16, exec_lo
	s_or_saveexec_b32 s72, s72
	v_mov_b32_e32 v1, 0x7f800001
	s_xor_b32 exec_lo, exec_lo, s72
	s_cbranch_execnz .LBB4_1058
.LBB4_275:                              ;   in Loop: Header=BB4_137 Depth=3
	s_or_b32 exec_lo, exec_lo, s72
	s_and_saveexec_b32 s72, s16
	s_cbranch_execz .LBB4_277
.LBB4_276:                              ;   in Loop: Header=BB4_137 Depth=3
	v_and_b32_sdwa v1, v102, v10 dst_sel:DWORD dst_unused:UNUSED_PAD src0_sel:DWORD src1_sel:BYTE_1
	v_and_b32_e32 v4, 3, v1
	v_bfe_u32 v9, v1, 2, 5
	v_ffbh_u32_e32 v5, v4
	v_cmp_eq_u32_e32 vcc_lo, 0, v9
	v_min_u32_e32 v5, 32, v5
	v_subrev_nc_u32_e32 v8, 29, v5
	v_sub_nc_u32_e32 v5, 30, v5
	v_lshlrev_b32_e32 v1, v8, v1
	v_lshlrev_b32_sdwa v8, v103, v10 dst_sel:DWORD dst_unused:UNUSED_PAD src0_sel:DWORD src1_sel:BYTE_1
	v_cndmask_b32_e32 v5, v9, v5, vcc_lo
	v_and_b32_e32 v1, 3, v1
	v_lshl_add_u32 v5, v5, 23, 0x37800000
	v_cndmask_b32_e32 v1, v4, v1, vcc_lo
	v_and_b32_e32 v4, 0x80000000, v8
	v_lshlrev_b32_e32 v1, 21, v1
	v_or3_b32 v1, v4, v5, v1
.LBB4_277:                              ;   in Loop: Header=BB4_137 Depth=3
	s_or_b32 exec_lo, exec_lo, s72
	v_mul_f32_e32 v1, s63, v1
	v_mov_b32_e32 v73, 0x8000
	s_mov_b32 s72, exec_lo
	v_and_b32_e32 v4, 0x7f800000, v1
	v_cmpx_ne_u32_e32 0x7f800000, v4
	s_cbranch_execz .LBB4_285
; %bb.278:                              ;   in Loop: Header=BB4_137 Depth=3
	v_mov_b32_e32 v73, 0
	s_mov_b32 s73, exec_lo
	v_cmpx_ne_u32_e32 0, v1
	s_cbranch_execz .LBB4_284
; %bb.279:                              ;   in Loop: Header=BB4_137 Depth=3
	v_bfe_u32 v4, v1, 23, 8
	v_and_b32_e32 v5, 0x7fffff, v1
	v_sub_nc_u32_e32 v8, 0x70, v4
	v_cmp_gt_u32_e32 vcc_lo, 0x71, v4
	v_or_b32_e32 v9, 0x800000, v5
	v_cndmask_b32_e32 v8, 0, v8, vcc_lo
	v_cmp_eq_u32_e32 vcc_lo, 0, v4
	v_add_nc_u32_e32 v4, 0xffffff91, v4
	v_cndmask_b32_e64 v8, v8, 0x6f, vcc_lo
	v_cndmask_b32_e32 v5, v9, v5, vcc_lo
	v_cndmask_b32_e64 v4, v4, 0xffffff92, vcc_lo
	v_lshl_add_u32 v9, 0x200000, v8, -1
	v_lshrrev_b32_e32 v14, v8, v5
	v_lshlrev_b32_e64 v16, v8, 0x100000
	v_add_nc_u32_e32 v8, v8, v4
	v_and_b32_e32 v5, v9, v5
	v_bfe_u32 v15, v14, 21, 1
	v_cmp_eq_u32_e64 s16, v5, v16
	v_add_nc_u32_e32 v9, -1, v15
	v_cndmask_b32_e64 v5, 0, v9, s16
	v_lshrrev_b32_e32 v9, 23, v14
	s_mov_b32 s16, exec_lo
	v_add_nc_u32_e32 v5, v5, v14
	v_xor_b32_e32 v9, 1, v9
	v_and_b32_e32 v4, 0x1fffff, v5
	v_add_nc_u32_e32 v5, v4, v14
                                        ; implicit-def: $vgpr4
	v_cmpx_ne_u32_e64 v8, v9
	s_xor_b32 s16, exec_lo, s16
; %bb.280:                              ;   in Loop: Header=BB4_137 Depth=3
	v_cmp_lt_u32_e32 vcc_lo, 0xffffff, v5
	v_sub_nc_u32_e32 v4, v8, v9
	v_cndmask_b32_e64 v8, 0, 1, vcc_lo
	v_add_co_ci_u32_e64 v4, null, 0, v4, vcc_lo
	v_lshrrev_b32_e32 v5, v8, v5
; %bb.281:                              ;   in Loop: Header=BB4_137 Depth=3
	s_andn2_saveexec_b32 s16, s16
; %bb.282:                              ;   in Loop: Header=BB4_137 Depth=3
	v_bfe_u32 v4, v5, 23, 1
; %bb.283:                              ;   in Loop: Header=BB4_137 Depth=3
	s_or_b32 exec_lo, exec_lo, s16
	v_lshrrev_b32_e32 v5, 21, v5
	v_min_i32_e32 v8, 31, v4
	v_cmp_gt_i32_e32 vcc_lo, 32, v4
	v_and_b32_sdwa v1, v1, v101 dst_sel:DWORD dst_unused:UNUSED_PAD src0_sel:BYTE_3 src1_sel:DWORD
	v_lshlrev_b32_e32 v8, 2, v8
	v_cndmask_b32_e32 v5, 3, v5, vcc_lo
	v_and_b32_e32 v8, 0xfc, v8
	v_and_b32_e32 v9, 3, v5
	v_or_b32_e32 v4, v4, v5
	v_or3_b32 v1, v1, v8, v9
	v_cmp_ne_u32_e32 vcc_lo, 0, v4
	v_lshlrev_b32_e32 v1, 8, v1
	v_cndmask_b32_e32 v73, 0, v1, vcc_lo
.LBB4_284:                              ;   in Loop: Header=BB4_137 Depth=3
	s_or_b32 exec_lo, exec_lo, s73
.LBB4_285:                              ;   in Loop: Header=BB4_137 Depth=3
	s_or_b32 exec_lo, exec_lo, s72
	v_and_b32_sdwa v4, v10, v112 dst_sel:DWORD dst_unused:UNUSED_PAD src0_sel:WORD_1 src1_sel:DWORD
	s_mov_b32 s16, 0
	s_mov_b32 s72, exec_lo
	v_cmpx_lt_i16_e32 0x7f, v4
	s_xor_b32 s72, exec_lo, s72
	s_cbranch_execz .LBB4_1059
; %bb.286:                              ;   in Loop: Header=BB4_137 Depth=3
	s_mov_b32 s16, -1
	s_mov_b32 s73, exec_lo
	v_cmpx_eq_u16_e32 0x80, v4
; %bb.287:                              ;   in Loop: Header=BB4_137 Depth=3
	s_xor_b32 s16, exec_lo, -1
; %bb.288:                              ;   in Loop: Header=BB4_137 Depth=3
	s_or_b32 exec_lo, exec_lo, s73
	s_and_b32 s16, s16, exec_lo
                                        ; implicit-def: $vgpr4
	s_or_saveexec_b32 s72, s72
	v_mov_b32_e32 v1, 0x7f800001
	s_xor_b32 exec_lo, exec_lo, s72
	s_cbranch_execnz .LBB4_1060
.LBB4_289:                              ;   in Loop: Header=BB4_137 Depth=3
	s_or_b32 exec_lo, exec_lo, s72
	s_and_saveexec_b32 s72, s16
	s_cbranch_execz .LBB4_291
.LBB4_290:                              ;   in Loop: Header=BB4_137 Depth=3
	v_bfe_u32 v1, v10, 16, 2
	v_bfe_u32 v8, v10, 18, 5
	v_lshlrev_b32_e32 v9, 8, v10
	v_ffbh_u32_e32 v4, v1
	v_cmp_eq_u32_e32 vcc_lo, 0, v8
	v_min_u32_e32 v4, 32, v4
	v_subrev_nc_u32_e32 v5, 29, v4
	v_sub_nc_u32_e32 v4, 30, v4
	v_lshlrev_b32_sdwa v5, v5, v10 dst_sel:DWORD dst_unused:UNUSED_PAD src0_sel:DWORD src1_sel:WORD_1
	v_cndmask_b32_e32 v4, v8, v4, vcc_lo
	v_and_b32_e32 v5, 3, v5
	v_lshl_add_u32 v4, v4, 23, 0x37800000
	v_cndmask_b32_e32 v1, v1, v5, vcc_lo
	v_and_b32_e32 v5, 0x80000000, v9
	v_lshlrev_b32_e32 v1, 21, v1
	v_or3_b32 v1, v5, v4, v1
.LBB4_291:                              ;   in Loop: Header=BB4_137 Depth=3
	s_or_b32 exec_lo, exec_lo, s72
	v_mul_f32_e32 v1, s63, v1
	v_mov_b32_e32 v74, 0x80
	s_mov_b32 s72, exec_lo
	v_and_b32_e32 v4, 0x7f800000, v1
	v_cmpx_ne_u32_e32 0x7f800000, v4
	s_cbranch_execz .LBB4_299
; %bb.292:                              ;   in Loop: Header=BB4_137 Depth=3
	v_mov_b32_e32 v74, 0
	s_mov_b32 s73, exec_lo
	v_cmpx_ne_u32_e32 0, v1
	s_cbranch_execz .LBB4_298
; %bb.293:                              ;   in Loop: Header=BB4_137 Depth=3
	v_bfe_u32 v4, v1, 23, 8
	v_and_b32_e32 v5, 0x7fffff, v1
	v_sub_nc_u32_e32 v8, 0x70, v4
	v_cmp_gt_u32_e32 vcc_lo, 0x71, v4
	v_or_b32_e32 v9, 0x800000, v5
	v_cndmask_b32_e32 v8, 0, v8, vcc_lo
	v_cmp_eq_u32_e32 vcc_lo, 0, v4
	v_add_nc_u32_e32 v4, 0xffffff91, v4
	v_cndmask_b32_e64 v8, v8, 0x6f, vcc_lo
	v_cndmask_b32_e32 v5, v9, v5, vcc_lo
	v_cndmask_b32_e64 v4, v4, 0xffffff92, vcc_lo
	v_lshl_add_u32 v9, 0x200000, v8, -1
	v_lshrrev_b32_e32 v14, v8, v5
	v_lshlrev_b32_e64 v16, v8, 0x100000
	v_add_nc_u32_e32 v8, v8, v4
	v_and_b32_e32 v5, v9, v5
	v_bfe_u32 v15, v14, 21, 1
	v_cmp_eq_u32_e64 s16, v5, v16
	v_add_nc_u32_e32 v9, -1, v15
	v_cndmask_b32_e64 v5, 0, v9, s16
	v_lshrrev_b32_e32 v9, 23, v14
	s_mov_b32 s16, exec_lo
	v_add_nc_u32_e32 v5, v5, v14
	v_xor_b32_e32 v9, 1, v9
	v_and_b32_e32 v4, 0x1fffff, v5
	v_add_nc_u32_e32 v5, v4, v14
                                        ; implicit-def: $vgpr4
	v_cmpx_ne_u32_e64 v8, v9
	s_xor_b32 s16, exec_lo, s16
; %bb.294:                              ;   in Loop: Header=BB4_137 Depth=3
	v_cmp_lt_u32_e32 vcc_lo, 0xffffff, v5
	v_sub_nc_u32_e32 v4, v8, v9
	v_cndmask_b32_e64 v8, 0, 1, vcc_lo
	v_add_co_ci_u32_e64 v4, null, 0, v4, vcc_lo
	v_lshrrev_b32_e32 v5, v8, v5
; %bb.295:                              ;   in Loop: Header=BB4_137 Depth=3
	s_andn2_saveexec_b32 s16, s16
; %bb.296:                              ;   in Loop: Header=BB4_137 Depth=3
	v_bfe_u32 v4, v5, 23, 1
; %bb.297:                              ;   in Loop: Header=BB4_137 Depth=3
	s_or_b32 exec_lo, exec_lo, s16
	v_lshrrev_b32_e32 v5, 21, v5
	v_min_i32_e32 v8, 31, v4
	v_cmp_gt_i32_e32 vcc_lo, 32, v4
	v_and_b32_sdwa v1, v1, v101 dst_sel:DWORD dst_unused:UNUSED_PAD src0_sel:BYTE_3 src1_sel:DWORD
	v_lshlrev_b32_e32 v8, 2, v8
	v_cndmask_b32_e32 v5, 3, v5, vcc_lo
	v_and_b32_e32 v8, 0xfc, v8
	v_and_b32_e32 v9, 3, v5
	v_or_b32_e32 v4, v4, v5
	v_or3_b32 v1, v8, v1, v9
	v_cmp_ne_u32_e32 vcc_lo, 0, v4
	v_cndmask_b32_e32 v74, 0, v1, vcc_lo
.LBB4_298:                              ;   in Loop: Header=BB4_137 Depth=3
	s_or_b32 exec_lo, exec_lo, s73
.LBB4_299:                              ;   in Loop: Header=BB4_137 Depth=3
	s_or_b32 exec_lo, exec_lo, s72
	v_cmp_gt_i16_sdwa s72, v10, v100 src0_sel:BYTE_3 src1_sel:DWORD
	s_mov_b32 s16, 0
	s_and_saveexec_b32 s73, s72
	s_xor_b32 s72, exec_lo, s73
	s_cbranch_execz .LBB4_1061
; %bb.300:                              ;   in Loop: Header=BB4_137 Depth=3
	v_cmp_eq_u16_sdwa s74, v10, v101 src0_sel:BYTE_3 src1_sel:DWORD
	s_mov_b32 s16, -1
	s_and_saveexec_b32 s73, s74
; %bb.301:                              ;   in Loop: Header=BB4_137 Depth=3
	s_xor_b32 s16, exec_lo, -1
; %bb.302:                              ;   in Loop: Header=BB4_137 Depth=3
	s_or_b32 exec_lo, exec_lo, s73
	s_and_b32 s16, s16, exec_lo
	s_or_saveexec_b32 s72, s72
	v_mov_b32_e32 v1, 0x7f800001
	s_xor_b32 exec_lo, exec_lo, s72
	s_cbranch_execnz .LBB4_1062
.LBB4_303:                              ;   in Loop: Header=BB4_137 Depth=3
	s_or_b32 exec_lo, exec_lo, s72
	s_and_saveexec_b32 s72, s16
	s_cbranch_execz .LBB4_305
.LBB4_304:                              ;   in Loop: Header=BB4_137 Depth=3
	v_bfe_u32 v1, v10, 24, 2
	v_bfe_u32 v8, v10, 26, 5
	v_ffbh_u32_e32 v4, v1
	v_cmp_eq_u32_e32 vcc_lo, 0, v8
	v_min_u32_e32 v4, 32, v4
	v_subrev_nc_u32_e32 v5, 29, v4
	v_sub_nc_u32_e32 v4, 30, v4
	v_lshlrev_b32_sdwa v5, v5, v10 dst_sel:DWORD dst_unused:UNUSED_PAD src0_sel:DWORD src1_sel:BYTE_3
	v_cndmask_b32_e32 v4, v8, v4, vcc_lo
	v_and_b32_e32 v5, 3, v5
	v_lshl_add_u32 v4, v4, 23, 0x37800000
	v_cndmask_b32_e32 v1, v1, v5, vcc_lo
	v_and_b32_e32 v5, 0x80000000, v10
	v_lshlrev_b32_e32 v1, 21, v1
	v_or3_b32 v1, v5, v4, v1
.LBB4_305:                              ;   in Loop: Header=BB4_137 Depth=3
	s_or_b32 exec_lo, exec_lo, s72
	v_mul_f32_e32 v1, s63, v1
	v_mov_b32_e32 v75, 0x8000
	s_mov_b32 s72, exec_lo
	v_and_b32_e32 v4, 0x7f800000, v1
	v_cmpx_ne_u32_e32 0x7f800000, v4
	s_cbranch_execz .LBB4_313
; %bb.306:                              ;   in Loop: Header=BB4_137 Depth=3
	v_mov_b32_e32 v75, 0
	s_mov_b32 s73, exec_lo
	v_cmpx_ne_u32_e32 0, v1
	s_cbranch_execz .LBB4_312
; %bb.307:                              ;   in Loop: Header=BB4_137 Depth=3
	v_bfe_u32 v4, v1, 23, 8
	v_and_b32_e32 v5, 0x7fffff, v1
	v_sub_nc_u32_e32 v8, 0x70, v4
	v_cmp_gt_u32_e32 vcc_lo, 0x71, v4
	v_or_b32_e32 v9, 0x800000, v5
	v_cndmask_b32_e32 v8, 0, v8, vcc_lo
	v_cmp_eq_u32_e32 vcc_lo, 0, v4
	v_add_nc_u32_e32 v4, 0xffffff91, v4
	v_cndmask_b32_e64 v8, v8, 0x6f, vcc_lo
	v_cndmask_b32_e32 v5, v9, v5, vcc_lo
	v_cndmask_b32_e64 v4, v4, 0xffffff92, vcc_lo
	v_lshl_add_u32 v9, 0x200000, v8, -1
	v_lshrrev_b32_e32 v10, v8, v5
	v_lshlrev_b32_e64 v15, v8, 0x100000
	v_add_nc_u32_e32 v8, v8, v4
	v_and_b32_e32 v5, v9, v5
	v_bfe_u32 v14, v10, 21, 1
	v_cmp_eq_u32_e64 s16, v5, v15
	v_add_nc_u32_e32 v9, -1, v14
	v_cndmask_b32_e64 v5, 0, v9, s16
	v_lshrrev_b32_e32 v9, 23, v10
	s_mov_b32 s16, exec_lo
	v_add_nc_u32_e32 v5, v5, v10
	v_xor_b32_e32 v9, 1, v9
	v_and_b32_e32 v4, 0x1fffff, v5
	v_add_nc_u32_e32 v5, v4, v10
                                        ; implicit-def: $vgpr4
	v_cmpx_ne_u32_e64 v8, v9
	s_xor_b32 s16, exec_lo, s16
; %bb.308:                              ;   in Loop: Header=BB4_137 Depth=3
	v_cmp_lt_u32_e32 vcc_lo, 0xffffff, v5
	v_sub_nc_u32_e32 v4, v8, v9
	v_cndmask_b32_e64 v8, 0, 1, vcc_lo
	v_add_co_ci_u32_e64 v4, null, 0, v4, vcc_lo
	v_lshrrev_b32_e32 v5, v8, v5
; %bb.309:                              ;   in Loop: Header=BB4_137 Depth=3
	s_andn2_saveexec_b32 s16, s16
; %bb.310:                              ;   in Loop: Header=BB4_137 Depth=3
	v_bfe_u32 v4, v5, 23, 1
; %bb.311:                              ;   in Loop: Header=BB4_137 Depth=3
	s_or_b32 exec_lo, exec_lo, s16
	v_lshrrev_b32_e32 v5, 21, v5
	v_min_i32_e32 v8, 31, v4
	v_cmp_gt_i32_e32 vcc_lo, 32, v4
	v_and_b32_sdwa v1, v1, v101 dst_sel:DWORD dst_unused:UNUSED_PAD src0_sel:BYTE_3 src1_sel:DWORD
	v_lshlrev_b32_e32 v8, 2, v8
	v_cndmask_b32_e32 v5, 3, v5, vcc_lo
	v_and_b32_e32 v8, 0xfc, v8
	v_and_b32_e32 v9, 3, v5
	v_or_b32_e32 v4, v4, v5
	v_or3_b32 v1, v1, v8, v9
	v_cmp_ne_u32_e32 vcc_lo, 0, v4
	v_lshlrev_b32_e32 v1, 8, v1
	v_cndmask_b32_e32 v75, 0, v1, vcc_lo
.LBB4_312:                              ;   in Loop: Header=BB4_137 Depth=3
	s_or_b32 exec_lo, exec_lo, s73
.LBB4_313:                              ;   in Loop: Header=BB4_137 Depth=3
	s_or_b32 exec_lo, exec_lo, s72
	v_cmp_gt_i16_sdwa s72, v11, v100 src0_sel:BYTE_0 src1_sel:DWORD
	s_mov_b32 s16, 0
	s_and_saveexec_b32 s73, s72
	s_xor_b32 s72, exec_lo, s73
	s_cbranch_execz .LBB4_1063
; %bb.314:                              ;   in Loop: Header=BB4_137 Depth=3
	v_cmp_eq_u16_sdwa s74, v11, v101 src0_sel:BYTE_0 src1_sel:DWORD
	s_mov_b32 s16, -1
	s_and_saveexec_b32 s73, s74
; %bb.315:                              ;   in Loop: Header=BB4_137 Depth=3
	s_xor_b32 s16, exec_lo, -1
; %bb.316:                              ;   in Loop: Header=BB4_137 Depth=3
	s_or_b32 exec_lo, exec_lo, s73
	s_and_b32 s16, s16, exec_lo
	s_or_saveexec_b32 s72, s72
	v_mov_b32_e32 v1, 0x7f800001
	s_xor_b32 exec_lo, exec_lo, s72
	s_cbranch_execnz .LBB4_1064
.LBB4_317:                              ;   in Loop: Header=BB4_137 Depth=3
	s_or_b32 exec_lo, exec_lo, s72
	s_and_saveexec_b32 s72, s16
	s_cbranch_execz .LBB4_319
.LBB4_318:                              ;   in Loop: Header=BB4_137 Depth=3
	v_and_b32_e32 v1, 3, v11
	v_bfe_u32 v8, v11, 2, 5
	v_lshlrev_b32_e32 v9, 24, v11
	v_ffbh_u32_e32 v4, v1
	v_cmp_eq_u32_e32 vcc_lo, 0, v8
	v_min_u32_e32 v4, 32, v4
	v_subrev_nc_u32_e32 v5, 29, v4
	v_sub_nc_u32_e32 v4, 30, v4
	v_lshlrev_b32_e32 v5, v5, v11
	v_cndmask_b32_e32 v4, v8, v4, vcc_lo
	v_and_b32_e32 v5, 3, v5
	v_lshl_add_u32 v4, v4, 23, 0x37800000
	v_cndmask_b32_e32 v1, v1, v5, vcc_lo
	v_and_b32_e32 v5, 0x80000000, v9
	v_lshlrev_b32_e32 v1, 21, v1
	v_or3_b32 v1, v5, v4, v1
.LBB4_319:                              ;   in Loop: Header=BB4_137 Depth=3
	s_or_b32 exec_lo, exec_lo, s72
	v_mul_f32_e32 v1, s63, v1
	v_mov_b32_e32 v76, 0x80
	s_mov_b32 s72, exec_lo
	v_and_b32_e32 v4, 0x7f800000, v1
	v_cmpx_ne_u32_e32 0x7f800000, v4
	s_cbranch_execz .LBB4_327
; %bb.320:                              ;   in Loop: Header=BB4_137 Depth=3
	v_mov_b32_e32 v76, 0
	s_mov_b32 s73, exec_lo
	v_cmpx_ne_u32_e32 0, v1
	s_cbranch_execz .LBB4_326
; %bb.321:                              ;   in Loop: Header=BB4_137 Depth=3
	v_bfe_u32 v4, v1, 23, 8
	v_and_b32_e32 v5, 0x7fffff, v1
	v_sub_nc_u32_e32 v8, 0x70, v4
	v_cmp_gt_u32_e32 vcc_lo, 0x71, v4
	v_or_b32_e32 v9, 0x800000, v5
	v_cndmask_b32_e32 v8, 0, v8, vcc_lo
	v_cmp_eq_u32_e32 vcc_lo, 0, v4
	v_add_nc_u32_e32 v4, 0xffffff91, v4
	v_cndmask_b32_e64 v8, v8, 0x6f, vcc_lo
	v_cndmask_b32_e32 v5, v9, v5, vcc_lo
	v_cndmask_b32_e64 v4, v4, 0xffffff92, vcc_lo
	v_lshl_add_u32 v9, 0x200000, v8, -1
	v_lshrrev_b32_e32 v10, v8, v5
	v_lshlrev_b32_e64 v15, v8, 0x100000
	v_add_nc_u32_e32 v8, v8, v4
	v_and_b32_e32 v5, v9, v5
	v_bfe_u32 v14, v10, 21, 1
	v_cmp_eq_u32_e64 s16, v5, v15
	v_add_nc_u32_e32 v9, -1, v14
	v_cndmask_b32_e64 v5, 0, v9, s16
	v_lshrrev_b32_e32 v9, 23, v10
	s_mov_b32 s16, exec_lo
	v_add_nc_u32_e32 v5, v5, v10
	v_xor_b32_e32 v9, 1, v9
	v_and_b32_e32 v4, 0x1fffff, v5
	v_add_nc_u32_e32 v5, v4, v10
                                        ; implicit-def: $vgpr4
	v_cmpx_ne_u32_e64 v8, v9
	s_xor_b32 s16, exec_lo, s16
; %bb.322:                              ;   in Loop: Header=BB4_137 Depth=3
	v_cmp_lt_u32_e32 vcc_lo, 0xffffff, v5
	v_sub_nc_u32_e32 v4, v8, v9
	v_cndmask_b32_e64 v8, 0, 1, vcc_lo
	v_add_co_ci_u32_e64 v4, null, 0, v4, vcc_lo
	v_lshrrev_b32_e32 v5, v8, v5
; %bb.323:                              ;   in Loop: Header=BB4_137 Depth=3
	s_andn2_saveexec_b32 s16, s16
; %bb.324:                              ;   in Loop: Header=BB4_137 Depth=3
	v_bfe_u32 v4, v5, 23, 1
; %bb.325:                              ;   in Loop: Header=BB4_137 Depth=3
	s_or_b32 exec_lo, exec_lo, s16
	v_lshrrev_b32_e32 v5, 21, v5
	v_min_i32_e32 v8, 31, v4
	v_cmp_gt_i32_e32 vcc_lo, 32, v4
	v_and_b32_sdwa v1, v1, v101 dst_sel:DWORD dst_unused:UNUSED_PAD src0_sel:BYTE_3 src1_sel:DWORD
	v_lshlrev_b32_e32 v8, 2, v8
	v_cndmask_b32_e32 v5, 3, v5, vcc_lo
	v_and_b32_e32 v8, 0xfc, v8
	v_and_b32_e32 v9, 3, v5
	v_or_b32_e32 v4, v4, v5
	v_or3_b32 v1, v8, v1, v9
	v_cmp_ne_u32_e32 vcc_lo, 0, v4
	v_cndmask_b32_e32 v76, 0, v1, vcc_lo
.LBB4_326:                              ;   in Loop: Header=BB4_137 Depth=3
	s_or_b32 exec_lo, exec_lo, s73
.LBB4_327:                              ;   in Loop: Header=BB4_137 Depth=3
	s_or_b32 exec_lo, exec_lo, s72
	v_cmp_gt_i16_sdwa s72, v11, v100 src0_sel:BYTE_1 src1_sel:DWORD
	s_mov_b32 s16, 0
	s_and_saveexec_b32 s73, s72
	s_xor_b32 s72, exec_lo, s73
	s_cbranch_execz .LBB4_1065
; %bb.328:                              ;   in Loop: Header=BB4_137 Depth=3
	v_cmp_eq_u16_sdwa s74, v11, v101 src0_sel:BYTE_1 src1_sel:DWORD
	s_mov_b32 s16, -1
	s_and_saveexec_b32 s73, s74
; %bb.329:                              ;   in Loop: Header=BB4_137 Depth=3
	s_xor_b32 s16, exec_lo, -1
; %bb.330:                              ;   in Loop: Header=BB4_137 Depth=3
	s_or_b32 exec_lo, exec_lo, s73
	s_and_b32 s16, s16, exec_lo
	s_or_saveexec_b32 s72, s72
	v_mov_b32_e32 v1, 0x7f800001
	s_xor_b32 exec_lo, exec_lo, s72
	s_cbranch_execnz .LBB4_1066
.LBB4_331:                              ;   in Loop: Header=BB4_137 Depth=3
	s_or_b32 exec_lo, exec_lo, s72
	s_and_saveexec_b32 s72, s16
	s_cbranch_execz .LBB4_333
.LBB4_332:                              ;   in Loop: Header=BB4_137 Depth=3
	v_and_b32_sdwa v1, v102, v11 dst_sel:DWORD dst_unused:UNUSED_PAD src0_sel:DWORD src1_sel:BYTE_1
	v_and_b32_e32 v4, 3, v1
	v_bfe_u32 v9, v1, 2, 5
	v_ffbh_u32_e32 v5, v4
	v_cmp_eq_u32_e32 vcc_lo, 0, v9
	v_min_u32_e32 v5, 32, v5
	v_subrev_nc_u32_e32 v8, 29, v5
	v_sub_nc_u32_e32 v5, 30, v5
	v_lshlrev_b32_e32 v1, v8, v1
	v_lshlrev_b32_sdwa v8, v103, v11 dst_sel:DWORD dst_unused:UNUSED_PAD src0_sel:DWORD src1_sel:BYTE_1
	v_cndmask_b32_e32 v5, v9, v5, vcc_lo
	v_and_b32_e32 v1, 3, v1
	v_lshl_add_u32 v5, v5, 23, 0x37800000
	v_cndmask_b32_e32 v1, v4, v1, vcc_lo
	v_and_b32_e32 v4, 0x80000000, v8
	v_lshlrev_b32_e32 v1, 21, v1
	v_or3_b32 v1, v4, v5, v1
.LBB4_333:                              ;   in Loop: Header=BB4_137 Depth=3
	s_or_b32 exec_lo, exec_lo, s72
	v_mul_f32_e32 v1, s63, v1
	v_mov_b32_e32 v77, 0x8000
	s_mov_b32 s72, exec_lo
	v_and_b32_e32 v4, 0x7f800000, v1
	v_cmpx_ne_u32_e32 0x7f800000, v4
	s_cbranch_execz .LBB4_341
; %bb.334:                              ;   in Loop: Header=BB4_137 Depth=3
	v_mov_b32_e32 v77, 0
	s_mov_b32 s73, exec_lo
	v_cmpx_ne_u32_e32 0, v1
	s_cbranch_execz .LBB4_340
; %bb.335:                              ;   in Loop: Header=BB4_137 Depth=3
	v_bfe_u32 v4, v1, 23, 8
	v_and_b32_e32 v5, 0x7fffff, v1
	v_sub_nc_u32_e32 v8, 0x70, v4
	v_cmp_gt_u32_e32 vcc_lo, 0x71, v4
	v_or_b32_e32 v9, 0x800000, v5
	v_cndmask_b32_e32 v8, 0, v8, vcc_lo
	v_cmp_eq_u32_e32 vcc_lo, 0, v4
	v_add_nc_u32_e32 v4, 0xffffff91, v4
	v_cndmask_b32_e64 v8, v8, 0x6f, vcc_lo
	v_cndmask_b32_e32 v5, v9, v5, vcc_lo
	v_cndmask_b32_e64 v4, v4, 0xffffff92, vcc_lo
	v_lshl_add_u32 v9, 0x200000, v8, -1
	v_lshrrev_b32_e32 v10, v8, v5
	v_lshlrev_b32_e64 v15, v8, 0x100000
	v_add_nc_u32_e32 v8, v8, v4
	v_and_b32_e32 v5, v9, v5
	v_bfe_u32 v14, v10, 21, 1
	v_cmp_eq_u32_e64 s16, v5, v15
	v_add_nc_u32_e32 v9, -1, v14
	v_cndmask_b32_e64 v5, 0, v9, s16
	v_lshrrev_b32_e32 v9, 23, v10
	s_mov_b32 s16, exec_lo
	v_add_nc_u32_e32 v5, v5, v10
	v_xor_b32_e32 v9, 1, v9
	v_and_b32_e32 v4, 0x1fffff, v5
	v_add_nc_u32_e32 v5, v4, v10
                                        ; implicit-def: $vgpr4
	v_cmpx_ne_u32_e64 v8, v9
	s_xor_b32 s16, exec_lo, s16
; %bb.336:                              ;   in Loop: Header=BB4_137 Depth=3
	v_cmp_lt_u32_e32 vcc_lo, 0xffffff, v5
	v_sub_nc_u32_e32 v4, v8, v9
	v_cndmask_b32_e64 v8, 0, 1, vcc_lo
	v_add_co_ci_u32_e64 v4, null, 0, v4, vcc_lo
	v_lshrrev_b32_e32 v5, v8, v5
; %bb.337:                              ;   in Loop: Header=BB4_137 Depth=3
	s_andn2_saveexec_b32 s16, s16
; %bb.338:                              ;   in Loop: Header=BB4_137 Depth=3
	v_bfe_u32 v4, v5, 23, 1
; %bb.339:                              ;   in Loop: Header=BB4_137 Depth=3
	s_or_b32 exec_lo, exec_lo, s16
	v_lshrrev_b32_e32 v5, 21, v5
	v_min_i32_e32 v8, 31, v4
	v_cmp_gt_i32_e32 vcc_lo, 32, v4
	v_and_b32_sdwa v1, v1, v101 dst_sel:DWORD dst_unused:UNUSED_PAD src0_sel:BYTE_3 src1_sel:DWORD
	v_lshlrev_b32_e32 v8, 2, v8
	v_cndmask_b32_e32 v5, 3, v5, vcc_lo
	v_and_b32_e32 v8, 0xfc, v8
	v_and_b32_e32 v9, 3, v5
	v_or_b32_e32 v4, v4, v5
	v_or3_b32 v1, v1, v8, v9
	v_cmp_ne_u32_e32 vcc_lo, 0, v4
	v_lshlrev_b32_e32 v1, 8, v1
	v_cndmask_b32_e32 v77, 0, v1, vcc_lo
.LBB4_340:                              ;   in Loop: Header=BB4_137 Depth=3
	s_or_b32 exec_lo, exec_lo, s73
.LBB4_341:                              ;   in Loop: Header=BB4_137 Depth=3
	s_or_b32 exec_lo, exec_lo, s72
	v_and_b32_sdwa v4, v11, v112 dst_sel:DWORD dst_unused:UNUSED_PAD src0_sel:WORD_1 src1_sel:DWORD
	s_mov_b32 s16, 0
	s_mov_b32 s72, exec_lo
	v_cmpx_lt_i16_e32 0x7f, v4
	s_xor_b32 s72, exec_lo, s72
	s_cbranch_execz .LBB4_1067
; %bb.342:                              ;   in Loop: Header=BB4_137 Depth=3
	s_mov_b32 s16, -1
	s_mov_b32 s73, exec_lo
	v_cmpx_eq_u16_e32 0x80, v4
; %bb.343:                              ;   in Loop: Header=BB4_137 Depth=3
	s_xor_b32 s16, exec_lo, -1
; %bb.344:                              ;   in Loop: Header=BB4_137 Depth=3
	s_or_b32 exec_lo, exec_lo, s73
	s_and_b32 s16, s16, exec_lo
                                        ; implicit-def: $vgpr4
	s_or_saveexec_b32 s72, s72
	v_mov_b32_e32 v1, 0x7f800001
	s_xor_b32 exec_lo, exec_lo, s72
	s_cbranch_execnz .LBB4_1068
.LBB4_345:                              ;   in Loop: Header=BB4_137 Depth=3
	s_or_b32 exec_lo, exec_lo, s72
	s_and_saveexec_b32 s72, s16
	s_cbranch_execz .LBB4_347
.LBB4_346:                              ;   in Loop: Header=BB4_137 Depth=3
	v_bfe_u32 v1, v11, 16, 2
	v_bfe_u32 v8, v11, 18, 5
	v_lshlrev_b32_e32 v9, 8, v11
	v_ffbh_u32_e32 v4, v1
	v_cmp_eq_u32_e32 vcc_lo, 0, v8
	v_min_u32_e32 v4, 32, v4
	v_subrev_nc_u32_e32 v5, 29, v4
	v_sub_nc_u32_e32 v4, 30, v4
	v_lshlrev_b32_sdwa v5, v5, v11 dst_sel:DWORD dst_unused:UNUSED_PAD src0_sel:DWORD src1_sel:WORD_1
	v_cndmask_b32_e32 v4, v8, v4, vcc_lo
	v_and_b32_e32 v5, 3, v5
	v_lshl_add_u32 v4, v4, 23, 0x37800000
	v_cndmask_b32_e32 v1, v1, v5, vcc_lo
	v_and_b32_e32 v5, 0x80000000, v9
	v_lshlrev_b32_e32 v1, 21, v1
	v_or3_b32 v1, v5, v4, v1
.LBB4_347:                              ;   in Loop: Header=BB4_137 Depth=3
	s_or_b32 exec_lo, exec_lo, s72
	v_mul_f32_e32 v1, s63, v1
	v_mov_b32_e32 v78, 0x80
	s_mov_b32 s72, exec_lo
	v_and_b32_e32 v4, 0x7f800000, v1
	v_cmpx_ne_u32_e32 0x7f800000, v4
	s_cbranch_execz .LBB4_355
; %bb.348:                              ;   in Loop: Header=BB4_137 Depth=3
	v_mov_b32_e32 v78, 0
	s_mov_b32 s73, exec_lo
	v_cmpx_ne_u32_e32 0, v1
	s_cbranch_execz .LBB4_354
; %bb.349:                              ;   in Loop: Header=BB4_137 Depth=3
	v_bfe_u32 v4, v1, 23, 8
	v_and_b32_e32 v5, 0x7fffff, v1
	v_sub_nc_u32_e32 v8, 0x70, v4
	v_cmp_gt_u32_e32 vcc_lo, 0x71, v4
	v_or_b32_e32 v9, 0x800000, v5
	v_cndmask_b32_e32 v8, 0, v8, vcc_lo
	v_cmp_eq_u32_e32 vcc_lo, 0, v4
	v_add_nc_u32_e32 v4, 0xffffff91, v4
	v_cndmask_b32_e64 v8, v8, 0x6f, vcc_lo
	v_cndmask_b32_e32 v5, v9, v5, vcc_lo
	v_cndmask_b32_e64 v4, v4, 0xffffff92, vcc_lo
	v_lshl_add_u32 v9, 0x200000, v8, -1
	v_lshrrev_b32_e32 v10, v8, v5
	v_lshlrev_b32_e64 v15, v8, 0x100000
	v_add_nc_u32_e32 v8, v8, v4
	v_and_b32_e32 v5, v9, v5
	v_bfe_u32 v14, v10, 21, 1
	v_cmp_eq_u32_e64 s16, v5, v15
	v_add_nc_u32_e32 v9, -1, v14
	v_cndmask_b32_e64 v5, 0, v9, s16
	v_lshrrev_b32_e32 v9, 23, v10
	s_mov_b32 s16, exec_lo
	v_add_nc_u32_e32 v5, v5, v10
	v_xor_b32_e32 v9, 1, v9
	v_and_b32_e32 v4, 0x1fffff, v5
	v_add_nc_u32_e32 v5, v4, v10
                                        ; implicit-def: $vgpr4
	v_cmpx_ne_u32_e64 v8, v9
	s_xor_b32 s16, exec_lo, s16
; %bb.350:                              ;   in Loop: Header=BB4_137 Depth=3
	v_cmp_lt_u32_e32 vcc_lo, 0xffffff, v5
	v_sub_nc_u32_e32 v4, v8, v9
	v_cndmask_b32_e64 v8, 0, 1, vcc_lo
	v_add_co_ci_u32_e64 v4, null, 0, v4, vcc_lo
	v_lshrrev_b32_e32 v5, v8, v5
; %bb.351:                              ;   in Loop: Header=BB4_137 Depth=3
	s_andn2_saveexec_b32 s16, s16
; %bb.352:                              ;   in Loop: Header=BB4_137 Depth=3
	v_bfe_u32 v4, v5, 23, 1
; %bb.353:                              ;   in Loop: Header=BB4_137 Depth=3
	s_or_b32 exec_lo, exec_lo, s16
	v_lshrrev_b32_e32 v5, 21, v5
	v_min_i32_e32 v8, 31, v4
	v_cmp_gt_i32_e32 vcc_lo, 32, v4
	v_and_b32_sdwa v1, v1, v101 dst_sel:DWORD dst_unused:UNUSED_PAD src0_sel:BYTE_3 src1_sel:DWORD
	v_lshlrev_b32_e32 v8, 2, v8
	v_cndmask_b32_e32 v5, 3, v5, vcc_lo
	v_and_b32_e32 v8, 0xfc, v8
	v_and_b32_e32 v9, 3, v5
	v_or_b32_e32 v4, v4, v5
	v_or3_b32 v1, v8, v1, v9
	v_cmp_ne_u32_e32 vcc_lo, 0, v4
	v_cndmask_b32_e32 v78, 0, v1, vcc_lo
.LBB4_354:                              ;   in Loop: Header=BB4_137 Depth=3
	s_or_b32 exec_lo, exec_lo, s73
.LBB4_355:                              ;   in Loop: Header=BB4_137 Depth=3
	s_or_b32 exec_lo, exec_lo, s72
	v_cmp_gt_i16_sdwa s72, v11, v100 src0_sel:BYTE_3 src1_sel:DWORD
	s_mov_b32 s16, 0
	s_and_saveexec_b32 s73, s72
	s_xor_b32 s72, exec_lo, s73
	s_cbranch_execz .LBB4_1069
; %bb.356:                              ;   in Loop: Header=BB4_137 Depth=3
	v_cmp_eq_u16_sdwa s74, v11, v101 src0_sel:BYTE_3 src1_sel:DWORD
	s_mov_b32 s16, -1
	s_and_saveexec_b32 s73, s74
; %bb.357:                              ;   in Loop: Header=BB4_137 Depth=3
	s_xor_b32 s16, exec_lo, -1
; %bb.358:                              ;   in Loop: Header=BB4_137 Depth=3
	s_or_b32 exec_lo, exec_lo, s73
	s_and_b32 s16, s16, exec_lo
	s_or_saveexec_b32 s72, s72
	v_mov_b32_e32 v1, 0x7f800001
	s_xor_b32 exec_lo, exec_lo, s72
	s_cbranch_execnz .LBB4_1070
.LBB4_359:                              ;   in Loop: Header=BB4_137 Depth=3
	s_or_b32 exec_lo, exec_lo, s72
	s_and_saveexec_b32 s72, s16
	s_cbranch_execz .LBB4_361
.LBB4_360:                              ;   in Loop: Header=BB4_137 Depth=3
	v_bfe_u32 v1, v11, 24, 2
	v_bfe_u32 v8, v11, 26, 5
	v_ffbh_u32_e32 v4, v1
	v_cmp_eq_u32_e32 vcc_lo, 0, v8
	v_min_u32_e32 v4, 32, v4
	v_subrev_nc_u32_e32 v5, 29, v4
	v_sub_nc_u32_e32 v4, 30, v4
	v_lshlrev_b32_sdwa v5, v5, v11 dst_sel:DWORD dst_unused:UNUSED_PAD src0_sel:DWORD src1_sel:BYTE_3
	v_cndmask_b32_e32 v4, v8, v4, vcc_lo
	v_and_b32_e32 v5, 3, v5
	v_lshl_add_u32 v4, v4, 23, 0x37800000
	v_cndmask_b32_e32 v1, v1, v5, vcc_lo
	v_and_b32_e32 v5, 0x80000000, v11
	v_lshlrev_b32_e32 v1, 21, v1
	v_or3_b32 v1, v5, v4, v1
.LBB4_361:                              ;   in Loop: Header=BB4_137 Depth=3
	s_or_b32 exec_lo, exec_lo, s72
	v_mul_f32_e32 v1, s63, v1
	v_mov_b32_e32 v79, 0x8000
	s_mov_b32 s72, exec_lo
	v_and_b32_e32 v4, 0x7f800000, v1
	v_cmpx_ne_u32_e32 0x7f800000, v4
	s_cbranch_execz .LBB4_369
; %bb.362:                              ;   in Loop: Header=BB4_137 Depth=3
	v_mov_b32_e32 v79, 0
	s_mov_b32 s73, exec_lo
	v_cmpx_ne_u32_e32 0, v1
	s_cbranch_execz .LBB4_368
; %bb.363:                              ;   in Loop: Header=BB4_137 Depth=3
	v_bfe_u32 v4, v1, 23, 8
	v_and_b32_e32 v5, 0x7fffff, v1
	v_sub_nc_u32_e32 v8, 0x70, v4
	v_cmp_gt_u32_e32 vcc_lo, 0x71, v4
	v_or_b32_e32 v9, 0x800000, v5
	v_cndmask_b32_e32 v8, 0, v8, vcc_lo
	v_cmp_eq_u32_e32 vcc_lo, 0, v4
	v_add_nc_u32_e32 v4, 0xffffff91, v4
	v_cndmask_b32_e64 v8, v8, 0x6f, vcc_lo
	v_cndmask_b32_e32 v5, v9, v5, vcc_lo
	v_cndmask_b32_e64 v4, v4, 0xffffff92, vcc_lo
	v_lshl_add_u32 v9, 0x200000, v8, -1
	v_lshrrev_b32_e32 v10, v8, v5
	v_lshlrev_b32_e64 v14, v8, 0x100000
	v_add_nc_u32_e32 v8, v8, v4
	v_and_b32_e32 v5, v9, v5
	v_bfe_u32 v11, v10, 21, 1
	v_cmp_eq_u32_e64 s16, v5, v14
	v_add_nc_u32_e32 v9, -1, v11
	v_cndmask_b32_e64 v5, 0, v9, s16
	v_lshrrev_b32_e32 v9, 23, v10
	s_mov_b32 s16, exec_lo
	v_add_nc_u32_e32 v5, v5, v10
	v_xor_b32_e32 v9, 1, v9
	v_and_b32_e32 v4, 0x1fffff, v5
	v_add_nc_u32_e32 v5, v4, v10
                                        ; implicit-def: $vgpr4
	v_cmpx_ne_u32_e64 v8, v9
	s_xor_b32 s16, exec_lo, s16
; %bb.364:                              ;   in Loop: Header=BB4_137 Depth=3
	v_cmp_lt_u32_e32 vcc_lo, 0xffffff, v5
	v_sub_nc_u32_e32 v4, v8, v9
	v_cndmask_b32_e64 v8, 0, 1, vcc_lo
	v_add_co_ci_u32_e64 v4, null, 0, v4, vcc_lo
	v_lshrrev_b32_e32 v5, v8, v5
; %bb.365:                              ;   in Loop: Header=BB4_137 Depth=3
	s_andn2_saveexec_b32 s16, s16
; %bb.366:                              ;   in Loop: Header=BB4_137 Depth=3
	v_bfe_u32 v4, v5, 23, 1
; %bb.367:                              ;   in Loop: Header=BB4_137 Depth=3
	s_or_b32 exec_lo, exec_lo, s16
	v_lshrrev_b32_e32 v5, 21, v5
	v_min_i32_e32 v8, 31, v4
	v_cmp_gt_i32_e32 vcc_lo, 32, v4
	v_and_b32_sdwa v1, v1, v101 dst_sel:DWORD dst_unused:UNUSED_PAD src0_sel:BYTE_3 src1_sel:DWORD
	v_lshlrev_b32_e32 v8, 2, v8
	v_cndmask_b32_e32 v5, 3, v5, vcc_lo
	v_and_b32_e32 v8, 0xfc, v8
	v_and_b32_e32 v9, 3, v5
	v_or_b32_e32 v4, v4, v5
	v_or3_b32 v1, v1, v8, v9
	v_cmp_ne_u32_e32 vcc_lo, 0, v4
	v_lshlrev_b32_e32 v1, 8, v1
	v_cndmask_b32_e32 v79, 0, v1, vcc_lo
.LBB4_368:                              ;   in Loop: Header=BB4_137 Depth=3
	s_or_b32 exec_lo, exec_lo, s73
.LBB4_369:                              ;   in Loop: Header=BB4_137 Depth=3
	s_or_b32 exec_lo, exec_lo, s72
	global_load_dwordx4 v[8:11], v[68:69], off offset:512 slc
	s_mov_b32 s16, 0
	s_waitcnt vmcnt(0)
	v_cmp_gt_i16_sdwa s72, v8, v100 src0_sel:BYTE_0 src1_sel:DWORD
	s_and_saveexec_b32 s73, s72
	s_xor_b32 s72, exec_lo, s73
	s_cbranch_execz .LBB4_1071
; %bb.370:                              ;   in Loop: Header=BB4_137 Depth=3
	v_cmp_eq_u16_sdwa s74, v8, v101 src0_sel:BYTE_0 src1_sel:DWORD
	s_mov_b32 s16, -1
	s_and_saveexec_b32 s73, s74
; %bb.371:                              ;   in Loop: Header=BB4_137 Depth=3
	s_xor_b32 s16, exec_lo, -1
; %bb.372:                              ;   in Loop: Header=BB4_137 Depth=3
	s_or_b32 exec_lo, exec_lo, s73
	s_and_b32 s16, s16, exec_lo
	s_or_saveexec_b32 s72, s72
	v_mov_b32_e32 v1, 0x7f800001
	s_xor_b32 exec_lo, exec_lo, s72
	s_cbranch_execnz .LBB4_1072
.LBB4_373:                              ;   in Loop: Header=BB4_137 Depth=3
	s_or_b32 exec_lo, exec_lo, s72
	s_and_saveexec_b32 s72, s16
	s_cbranch_execz .LBB4_375
.LBB4_374:                              ;   in Loop: Header=BB4_137 Depth=3
	v_and_b32_e32 v1, 3, v8
	v_bfe_u32 v14, v8, 2, 5
	v_lshlrev_b32_e32 v15, 24, v8
	v_ffbh_u32_e32 v4, v1
	v_cmp_eq_u32_e32 vcc_lo, 0, v14
	v_min_u32_e32 v4, 32, v4
	v_subrev_nc_u32_e32 v5, 29, v4
	v_sub_nc_u32_e32 v4, 30, v4
	v_lshlrev_b32_e32 v5, v5, v8
	v_cndmask_b32_e32 v4, v14, v4, vcc_lo
	v_and_b32_e32 v5, 3, v5
	v_lshl_add_u32 v4, v4, 23, 0x37800000
	v_cndmask_b32_e32 v1, v1, v5, vcc_lo
	v_and_b32_e32 v5, 0x80000000, v15
	v_lshlrev_b32_e32 v1, 21, v1
	v_or3_b32 v1, v5, v4, v1
.LBB4_375:                              ;   in Loop: Header=BB4_137 Depth=3
	s_or_b32 exec_lo, exec_lo, s72
	v_mul_f32_e32 v1, s63, v1
	v_mov_b32_e32 v88, 0x80
	s_mov_b32 s72, exec_lo
	v_and_b32_e32 v4, 0x7f800000, v1
	v_cmpx_ne_u32_e32 0x7f800000, v4
	s_cbranch_execz .LBB4_383
; %bb.376:                              ;   in Loop: Header=BB4_137 Depth=3
	v_mov_b32_e32 v88, 0
	s_mov_b32 s73, exec_lo
	v_cmpx_ne_u32_e32 0, v1
	s_cbranch_execz .LBB4_382
; %bb.377:                              ;   in Loop: Header=BB4_137 Depth=3
	v_bfe_u32 v4, v1, 23, 8
	v_and_b32_e32 v5, 0x7fffff, v1
	v_sub_nc_u32_e32 v14, 0x70, v4
	v_cmp_gt_u32_e32 vcc_lo, 0x71, v4
	v_or_b32_e32 v15, 0x800000, v5
	v_cndmask_b32_e32 v14, 0, v14, vcc_lo
	v_cmp_eq_u32_e32 vcc_lo, 0, v4
	v_add_nc_u32_e32 v4, 0xffffff91, v4
	v_cndmask_b32_e64 v14, v14, 0x6f, vcc_lo
	v_cndmask_b32_e32 v5, v15, v5, vcc_lo
	v_cndmask_b32_e64 v4, v4, 0xffffff92, vcc_lo
	v_lshl_add_u32 v15, 0x200000, v14, -1
	v_lshrrev_b32_e32 v16, v14, v5
	v_lshlrev_b32_e64 v18, v14, 0x100000
	v_add_nc_u32_e32 v14, v14, v4
	v_and_b32_e32 v5, v15, v5
	v_bfe_u32 v17, v16, 21, 1
	v_cmp_eq_u32_e64 s16, v5, v18
	v_add_nc_u32_e32 v15, -1, v17
	v_cndmask_b32_e64 v5, 0, v15, s16
	v_lshrrev_b32_e32 v15, 23, v16
	s_mov_b32 s16, exec_lo
	v_add_nc_u32_e32 v5, v5, v16
	v_xor_b32_e32 v15, 1, v15
	v_and_b32_e32 v4, 0x1fffff, v5
	v_add_nc_u32_e32 v5, v4, v16
                                        ; implicit-def: $vgpr4
	v_cmpx_ne_u32_e64 v14, v15
	s_xor_b32 s16, exec_lo, s16
; %bb.378:                              ;   in Loop: Header=BB4_137 Depth=3
	v_cmp_lt_u32_e32 vcc_lo, 0xffffff, v5
	v_sub_nc_u32_e32 v4, v14, v15
	v_cndmask_b32_e64 v14, 0, 1, vcc_lo
	v_add_co_ci_u32_e64 v4, null, 0, v4, vcc_lo
	v_lshrrev_b32_e32 v5, v14, v5
; %bb.379:                              ;   in Loop: Header=BB4_137 Depth=3
	s_andn2_saveexec_b32 s16, s16
; %bb.380:                              ;   in Loop: Header=BB4_137 Depth=3
	v_bfe_u32 v4, v5, 23, 1
; %bb.381:                              ;   in Loop: Header=BB4_137 Depth=3
	s_or_b32 exec_lo, exec_lo, s16
	v_lshrrev_b32_e32 v5, 21, v5
	v_min_i32_e32 v14, 31, v4
	v_cmp_gt_i32_e32 vcc_lo, 32, v4
	v_and_b32_sdwa v1, v1, v101 dst_sel:DWORD dst_unused:UNUSED_PAD src0_sel:BYTE_3 src1_sel:DWORD
	v_lshlrev_b32_e32 v14, 2, v14
	v_cndmask_b32_e32 v5, 3, v5, vcc_lo
	v_and_b32_e32 v14, 0xfc, v14
	v_and_b32_e32 v15, 3, v5
	v_or_b32_e32 v4, v4, v5
	v_or3_b32 v1, v14, v1, v15
	v_cmp_ne_u32_e32 vcc_lo, 0, v4
	v_cndmask_b32_e32 v88, 0, v1, vcc_lo
.LBB4_382:                              ;   in Loop: Header=BB4_137 Depth=3
	s_or_b32 exec_lo, exec_lo, s73
.LBB4_383:                              ;   in Loop: Header=BB4_137 Depth=3
	s_or_b32 exec_lo, exec_lo, s72
	v_cmp_gt_i16_sdwa s72, v8, v100 src0_sel:BYTE_1 src1_sel:DWORD
	s_mov_b32 s16, 0
	s_and_saveexec_b32 s73, s72
	s_xor_b32 s72, exec_lo, s73
	s_cbranch_execz .LBB4_1073
; %bb.384:                              ;   in Loop: Header=BB4_137 Depth=3
	v_cmp_eq_u16_sdwa s74, v8, v101 src0_sel:BYTE_1 src1_sel:DWORD
	s_mov_b32 s16, -1
	s_and_saveexec_b32 s73, s74
; %bb.385:                              ;   in Loop: Header=BB4_137 Depth=3
	s_xor_b32 s16, exec_lo, -1
; %bb.386:                              ;   in Loop: Header=BB4_137 Depth=3
	s_or_b32 exec_lo, exec_lo, s73
	s_and_b32 s16, s16, exec_lo
	s_or_saveexec_b32 s72, s72
	v_mov_b32_e32 v1, 0x7f800001
	s_xor_b32 exec_lo, exec_lo, s72
	s_cbranch_execnz .LBB4_1074
.LBB4_387:                              ;   in Loop: Header=BB4_137 Depth=3
	s_or_b32 exec_lo, exec_lo, s72
	s_and_saveexec_b32 s72, s16
	s_cbranch_execz .LBB4_389
.LBB4_388:                              ;   in Loop: Header=BB4_137 Depth=3
	v_and_b32_sdwa v1, v102, v8 dst_sel:DWORD dst_unused:UNUSED_PAD src0_sel:DWORD src1_sel:BYTE_1
	v_and_b32_e32 v4, 3, v1
	v_bfe_u32 v15, v1, 2, 5
	v_ffbh_u32_e32 v5, v4
	v_cmp_eq_u32_e32 vcc_lo, 0, v15
	v_min_u32_e32 v5, 32, v5
	v_subrev_nc_u32_e32 v14, 29, v5
	v_sub_nc_u32_e32 v5, 30, v5
	v_lshlrev_b32_e32 v1, v14, v1
	v_lshlrev_b32_sdwa v14, v103, v8 dst_sel:DWORD dst_unused:UNUSED_PAD src0_sel:DWORD src1_sel:BYTE_1
	v_cndmask_b32_e32 v5, v15, v5, vcc_lo
	v_and_b32_e32 v1, 3, v1
	v_lshl_add_u32 v5, v5, 23, 0x37800000
	v_cndmask_b32_e32 v1, v4, v1, vcc_lo
	v_and_b32_e32 v4, 0x80000000, v14
	v_lshlrev_b32_e32 v1, 21, v1
	v_or3_b32 v1, v4, v5, v1
.LBB4_389:                              ;   in Loop: Header=BB4_137 Depth=3
	s_or_b32 exec_lo, exec_lo, s72
	v_mul_f32_e32 v1, s63, v1
	v_mov_b32_e32 v89, 0x8000
	s_mov_b32 s72, exec_lo
	v_and_b32_e32 v4, 0x7f800000, v1
	v_cmpx_ne_u32_e32 0x7f800000, v4
	s_cbranch_execz .LBB4_397
; %bb.390:                              ;   in Loop: Header=BB4_137 Depth=3
	v_mov_b32_e32 v89, 0
	s_mov_b32 s73, exec_lo
	v_cmpx_ne_u32_e32 0, v1
	s_cbranch_execz .LBB4_396
; %bb.391:                              ;   in Loop: Header=BB4_137 Depth=3
	v_bfe_u32 v4, v1, 23, 8
	v_and_b32_e32 v5, 0x7fffff, v1
	v_sub_nc_u32_e32 v14, 0x70, v4
	v_cmp_gt_u32_e32 vcc_lo, 0x71, v4
	v_or_b32_e32 v15, 0x800000, v5
	v_cndmask_b32_e32 v14, 0, v14, vcc_lo
	v_cmp_eq_u32_e32 vcc_lo, 0, v4
	v_add_nc_u32_e32 v4, 0xffffff91, v4
	v_cndmask_b32_e64 v14, v14, 0x6f, vcc_lo
	v_cndmask_b32_e32 v5, v15, v5, vcc_lo
	v_cndmask_b32_e64 v4, v4, 0xffffff92, vcc_lo
	v_lshl_add_u32 v15, 0x200000, v14, -1
	v_lshrrev_b32_e32 v16, v14, v5
	v_lshlrev_b32_e64 v18, v14, 0x100000
	v_add_nc_u32_e32 v14, v14, v4
	v_and_b32_e32 v5, v15, v5
	v_bfe_u32 v17, v16, 21, 1
	v_cmp_eq_u32_e64 s16, v5, v18
	v_add_nc_u32_e32 v15, -1, v17
	v_cndmask_b32_e64 v5, 0, v15, s16
	v_lshrrev_b32_e32 v15, 23, v16
	s_mov_b32 s16, exec_lo
	v_add_nc_u32_e32 v5, v5, v16
	v_xor_b32_e32 v15, 1, v15
	v_and_b32_e32 v4, 0x1fffff, v5
	v_add_nc_u32_e32 v5, v4, v16
                                        ; implicit-def: $vgpr4
	v_cmpx_ne_u32_e64 v14, v15
	s_xor_b32 s16, exec_lo, s16
; %bb.392:                              ;   in Loop: Header=BB4_137 Depth=3
	v_cmp_lt_u32_e32 vcc_lo, 0xffffff, v5
	v_sub_nc_u32_e32 v4, v14, v15
	v_cndmask_b32_e64 v14, 0, 1, vcc_lo
	v_add_co_ci_u32_e64 v4, null, 0, v4, vcc_lo
	v_lshrrev_b32_e32 v5, v14, v5
; %bb.393:                              ;   in Loop: Header=BB4_137 Depth=3
	s_andn2_saveexec_b32 s16, s16
; %bb.394:                              ;   in Loop: Header=BB4_137 Depth=3
	v_bfe_u32 v4, v5, 23, 1
; %bb.395:                              ;   in Loop: Header=BB4_137 Depth=3
	s_or_b32 exec_lo, exec_lo, s16
	v_lshrrev_b32_e32 v5, 21, v5
	v_min_i32_e32 v14, 31, v4
	v_cmp_gt_i32_e32 vcc_lo, 32, v4
	v_and_b32_sdwa v1, v1, v101 dst_sel:DWORD dst_unused:UNUSED_PAD src0_sel:BYTE_3 src1_sel:DWORD
	v_lshlrev_b32_e32 v14, 2, v14
	v_cndmask_b32_e32 v5, 3, v5, vcc_lo
	v_and_b32_e32 v14, 0xfc, v14
	v_and_b32_e32 v15, 3, v5
	v_or_b32_e32 v4, v4, v5
	v_or3_b32 v1, v1, v14, v15
	v_cmp_ne_u32_e32 vcc_lo, 0, v4
	v_lshlrev_b32_e32 v1, 8, v1
	v_cndmask_b32_e32 v89, 0, v1, vcc_lo
.LBB4_396:                              ;   in Loop: Header=BB4_137 Depth=3
	s_or_b32 exec_lo, exec_lo, s73
.LBB4_397:                              ;   in Loop: Header=BB4_137 Depth=3
	s_or_b32 exec_lo, exec_lo, s72
	v_and_b32_sdwa v4, v8, v112 dst_sel:DWORD dst_unused:UNUSED_PAD src0_sel:WORD_1 src1_sel:DWORD
	s_mov_b32 s16, 0
	s_mov_b32 s72, exec_lo
	v_cmpx_lt_i16_e32 0x7f, v4
	s_xor_b32 s72, exec_lo, s72
	s_cbranch_execz .LBB4_1075
; %bb.398:                              ;   in Loop: Header=BB4_137 Depth=3
	s_mov_b32 s16, -1
	s_mov_b32 s73, exec_lo
	v_cmpx_eq_u16_e32 0x80, v4
; %bb.399:                              ;   in Loop: Header=BB4_137 Depth=3
	s_xor_b32 s16, exec_lo, -1
; %bb.400:                              ;   in Loop: Header=BB4_137 Depth=3
	s_or_b32 exec_lo, exec_lo, s73
	s_and_b32 s16, s16, exec_lo
                                        ; implicit-def: $vgpr4
	s_or_saveexec_b32 s72, s72
	v_mov_b32_e32 v1, 0x7f800001
	s_xor_b32 exec_lo, exec_lo, s72
	s_cbranch_execnz .LBB4_1076
.LBB4_401:                              ;   in Loop: Header=BB4_137 Depth=3
	s_or_b32 exec_lo, exec_lo, s72
	s_and_saveexec_b32 s72, s16
	s_cbranch_execz .LBB4_403
.LBB4_402:                              ;   in Loop: Header=BB4_137 Depth=3
	v_bfe_u32 v1, v8, 16, 2
	v_bfe_u32 v14, v8, 18, 5
	v_lshlrev_b32_e32 v15, 8, v8
	v_ffbh_u32_e32 v4, v1
	v_cmp_eq_u32_e32 vcc_lo, 0, v14
	v_min_u32_e32 v4, 32, v4
	v_subrev_nc_u32_e32 v5, 29, v4
	v_sub_nc_u32_e32 v4, 30, v4
	v_lshlrev_b32_sdwa v5, v5, v8 dst_sel:DWORD dst_unused:UNUSED_PAD src0_sel:DWORD src1_sel:WORD_1
	v_cndmask_b32_e32 v4, v14, v4, vcc_lo
	v_and_b32_e32 v5, 3, v5
	v_lshl_add_u32 v4, v4, 23, 0x37800000
	v_cndmask_b32_e32 v1, v1, v5, vcc_lo
	v_and_b32_e32 v5, 0x80000000, v15
	v_lshlrev_b32_e32 v1, 21, v1
	v_or3_b32 v1, v5, v4, v1
.LBB4_403:                              ;   in Loop: Header=BB4_137 Depth=3
	s_or_b32 exec_lo, exec_lo, s72
	v_mul_f32_e32 v1, s63, v1
	v_mov_b32_e32 v90, 0x80
	s_mov_b32 s72, exec_lo
	v_and_b32_e32 v4, 0x7f800000, v1
	v_cmpx_ne_u32_e32 0x7f800000, v4
	s_cbranch_execz .LBB4_411
; %bb.404:                              ;   in Loop: Header=BB4_137 Depth=3
	v_mov_b32_e32 v90, 0
	s_mov_b32 s73, exec_lo
	v_cmpx_ne_u32_e32 0, v1
	s_cbranch_execz .LBB4_410
; %bb.405:                              ;   in Loop: Header=BB4_137 Depth=3
	v_bfe_u32 v4, v1, 23, 8
	v_and_b32_e32 v5, 0x7fffff, v1
	v_sub_nc_u32_e32 v14, 0x70, v4
	v_cmp_gt_u32_e32 vcc_lo, 0x71, v4
	v_or_b32_e32 v15, 0x800000, v5
	v_cndmask_b32_e32 v14, 0, v14, vcc_lo
	v_cmp_eq_u32_e32 vcc_lo, 0, v4
	v_add_nc_u32_e32 v4, 0xffffff91, v4
	v_cndmask_b32_e64 v14, v14, 0x6f, vcc_lo
	v_cndmask_b32_e32 v5, v15, v5, vcc_lo
	v_cndmask_b32_e64 v4, v4, 0xffffff92, vcc_lo
	v_lshl_add_u32 v15, 0x200000, v14, -1
	v_lshrrev_b32_e32 v16, v14, v5
	v_lshlrev_b32_e64 v18, v14, 0x100000
	v_add_nc_u32_e32 v14, v14, v4
	v_and_b32_e32 v5, v15, v5
	v_bfe_u32 v17, v16, 21, 1
	v_cmp_eq_u32_e64 s16, v5, v18
	v_add_nc_u32_e32 v15, -1, v17
	v_cndmask_b32_e64 v5, 0, v15, s16
	v_lshrrev_b32_e32 v15, 23, v16
	s_mov_b32 s16, exec_lo
	v_add_nc_u32_e32 v5, v5, v16
	v_xor_b32_e32 v15, 1, v15
	v_and_b32_e32 v4, 0x1fffff, v5
	v_add_nc_u32_e32 v5, v4, v16
                                        ; implicit-def: $vgpr4
	v_cmpx_ne_u32_e64 v14, v15
	s_xor_b32 s16, exec_lo, s16
; %bb.406:                              ;   in Loop: Header=BB4_137 Depth=3
	v_cmp_lt_u32_e32 vcc_lo, 0xffffff, v5
	v_sub_nc_u32_e32 v4, v14, v15
	v_cndmask_b32_e64 v14, 0, 1, vcc_lo
	v_add_co_ci_u32_e64 v4, null, 0, v4, vcc_lo
	v_lshrrev_b32_e32 v5, v14, v5
; %bb.407:                              ;   in Loop: Header=BB4_137 Depth=3
	s_andn2_saveexec_b32 s16, s16
; %bb.408:                              ;   in Loop: Header=BB4_137 Depth=3
	v_bfe_u32 v4, v5, 23, 1
; %bb.409:                              ;   in Loop: Header=BB4_137 Depth=3
	s_or_b32 exec_lo, exec_lo, s16
	v_lshrrev_b32_e32 v5, 21, v5
	v_min_i32_e32 v14, 31, v4
	v_cmp_gt_i32_e32 vcc_lo, 32, v4
	v_and_b32_sdwa v1, v1, v101 dst_sel:DWORD dst_unused:UNUSED_PAD src0_sel:BYTE_3 src1_sel:DWORD
	v_lshlrev_b32_e32 v14, 2, v14
	v_cndmask_b32_e32 v5, 3, v5, vcc_lo
	v_and_b32_e32 v14, 0xfc, v14
	v_and_b32_e32 v15, 3, v5
	v_or_b32_e32 v4, v4, v5
	v_or3_b32 v1, v14, v1, v15
	v_cmp_ne_u32_e32 vcc_lo, 0, v4
	v_cndmask_b32_e32 v90, 0, v1, vcc_lo
.LBB4_410:                              ;   in Loop: Header=BB4_137 Depth=3
	s_or_b32 exec_lo, exec_lo, s73
.LBB4_411:                              ;   in Loop: Header=BB4_137 Depth=3
	s_or_b32 exec_lo, exec_lo, s72
	v_cmp_gt_i16_sdwa s72, v8, v100 src0_sel:BYTE_3 src1_sel:DWORD
	s_mov_b32 s16, 0
	s_and_saveexec_b32 s73, s72
	s_xor_b32 s72, exec_lo, s73
	s_cbranch_execz .LBB4_1077
; %bb.412:                              ;   in Loop: Header=BB4_137 Depth=3
	v_cmp_eq_u16_sdwa s74, v8, v101 src0_sel:BYTE_3 src1_sel:DWORD
	s_mov_b32 s16, -1
	s_and_saveexec_b32 s73, s74
; %bb.413:                              ;   in Loop: Header=BB4_137 Depth=3
	s_xor_b32 s16, exec_lo, -1
; %bb.414:                              ;   in Loop: Header=BB4_137 Depth=3
	s_or_b32 exec_lo, exec_lo, s73
	s_and_b32 s16, s16, exec_lo
	s_or_saveexec_b32 s72, s72
	v_mov_b32_e32 v1, 0x7f800001
	s_xor_b32 exec_lo, exec_lo, s72
	s_cbranch_execnz .LBB4_1078
.LBB4_415:                              ;   in Loop: Header=BB4_137 Depth=3
	s_or_b32 exec_lo, exec_lo, s72
	s_and_saveexec_b32 s72, s16
	s_cbranch_execz .LBB4_417
.LBB4_416:                              ;   in Loop: Header=BB4_137 Depth=3
	v_bfe_u32 v1, v8, 24, 2
	v_bfe_u32 v14, v8, 26, 5
	v_ffbh_u32_e32 v4, v1
	v_cmp_eq_u32_e32 vcc_lo, 0, v14
	v_min_u32_e32 v4, 32, v4
	v_subrev_nc_u32_e32 v5, 29, v4
	v_sub_nc_u32_e32 v4, 30, v4
	v_lshlrev_b32_sdwa v5, v5, v8 dst_sel:DWORD dst_unused:UNUSED_PAD src0_sel:DWORD src1_sel:BYTE_3
	v_cndmask_b32_e32 v4, v14, v4, vcc_lo
	v_and_b32_e32 v5, 3, v5
	v_lshl_add_u32 v4, v4, 23, 0x37800000
	v_cndmask_b32_e32 v1, v1, v5, vcc_lo
	v_and_b32_e32 v5, 0x80000000, v8
	v_lshlrev_b32_e32 v1, 21, v1
	v_or3_b32 v1, v5, v4, v1
.LBB4_417:                              ;   in Loop: Header=BB4_137 Depth=3
	s_or_b32 exec_lo, exec_lo, s72
	v_mul_f32_e32 v1, s63, v1
	v_mov_b32_e32 v91, 0x8000
	s_mov_b32 s72, exec_lo
	v_and_b32_e32 v4, 0x7f800000, v1
	v_cmpx_ne_u32_e32 0x7f800000, v4
	s_cbranch_execz .LBB4_425
; %bb.418:                              ;   in Loop: Header=BB4_137 Depth=3
	v_mov_b32_e32 v91, 0
	s_mov_b32 s73, exec_lo
	v_cmpx_ne_u32_e32 0, v1
	s_cbranch_execz .LBB4_424
; %bb.419:                              ;   in Loop: Header=BB4_137 Depth=3
	v_bfe_u32 v4, v1, 23, 8
	v_and_b32_e32 v5, 0x7fffff, v1
	v_sub_nc_u32_e32 v8, 0x70, v4
	v_cmp_gt_u32_e32 vcc_lo, 0x71, v4
	v_or_b32_e32 v14, 0x800000, v5
	v_cndmask_b32_e32 v8, 0, v8, vcc_lo
	v_cmp_eq_u32_e32 vcc_lo, 0, v4
	v_add_nc_u32_e32 v4, 0xffffff91, v4
	v_cndmask_b32_e64 v8, v8, 0x6f, vcc_lo
	v_cndmask_b32_e32 v5, v14, v5, vcc_lo
	v_cndmask_b32_e64 v4, v4, 0xffffff92, vcc_lo
	v_lshl_add_u32 v14, 0x200000, v8, -1
	v_lshrrev_b32_e32 v15, v8, v5
	v_lshlrev_b32_e64 v17, v8, 0x100000
	v_add_nc_u32_e32 v8, v8, v4
	v_and_b32_e32 v5, v14, v5
	v_bfe_u32 v16, v15, 21, 1
	v_cmp_eq_u32_e64 s16, v5, v17
	v_add_nc_u32_e32 v14, -1, v16
	v_cndmask_b32_e64 v5, 0, v14, s16
	v_lshrrev_b32_e32 v14, 23, v15
	s_mov_b32 s16, exec_lo
	v_add_nc_u32_e32 v5, v5, v15
	v_xor_b32_e32 v14, 1, v14
	v_and_b32_e32 v4, 0x1fffff, v5
	v_add_nc_u32_e32 v5, v4, v15
                                        ; implicit-def: $vgpr4
	v_cmpx_ne_u32_e64 v8, v14
	s_xor_b32 s16, exec_lo, s16
; %bb.420:                              ;   in Loop: Header=BB4_137 Depth=3
	v_cmp_lt_u32_e32 vcc_lo, 0xffffff, v5
	v_sub_nc_u32_e32 v4, v8, v14
	v_cndmask_b32_e64 v8, 0, 1, vcc_lo
	v_add_co_ci_u32_e64 v4, null, 0, v4, vcc_lo
	v_lshrrev_b32_e32 v5, v8, v5
; %bb.421:                              ;   in Loop: Header=BB4_137 Depth=3
	s_andn2_saveexec_b32 s16, s16
; %bb.422:                              ;   in Loop: Header=BB4_137 Depth=3
	v_bfe_u32 v4, v5, 23, 1
; %bb.423:                              ;   in Loop: Header=BB4_137 Depth=3
	s_or_b32 exec_lo, exec_lo, s16
	v_lshrrev_b32_e32 v5, 21, v5
	v_min_i32_e32 v8, 31, v4
	v_cmp_gt_i32_e32 vcc_lo, 32, v4
	v_and_b32_sdwa v1, v1, v101 dst_sel:DWORD dst_unused:UNUSED_PAD src0_sel:BYTE_3 src1_sel:DWORD
	v_lshlrev_b32_e32 v8, 2, v8
	v_cndmask_b32_e32 v5, 3, v5, vcc_lo
	v_and_b32_e32 v8, 0xfc, v8
	v_and_b32_e32 v14, 3, v5
	v_or_b32_e32 v4, v4, v5
	v_or3_b32 v1, v1, v8, v14
	v_cmp_ne_u32_e32 vcc_lo, 0, v4
	v_lshlrev_b32_e32 v1, 8, v1
	v_cndmask_b32_e32 v91, 0, v1, vcc_lo
.LBB4_424:                              ;   in Loop: Header=BB4_137 Depth=3
	s_or_b32 exec_lo, exec_lo, s73
.LBB4_425:                              ;   in Loop: Header=BB4_137 Depth=3
	s_or_b32 exec_lo, exec_lo, s72
	v_cmp_gt_i16_sdwa s72, v9, v100 src0_sel:BYTE_0 src1_sel:DWORD
	s_mov_b32 s16, 0
	s_and_saveexec_b32 s73, s72
	s_xor_b32 s72, exec_lo, s73
	s_cbranch_execz .LBB4_1079
; %bb.426:                              ;   in Loop: Header=BB4_137 Depth=3
	v_cmp_eq_u16_sdwa s74, v9, v101 src0_sel:BYTE_0 src1_sel:DWORD
	s_mov_b32 s16, -1
	s_and_saveexec_b32 s73, s74
; %bb.427:                              ;   in Loop: Header=BB4_137 Depth=3
	s_xor_b32 s16, exec_lo, -1
; %bb.428:                              ;   in Loop: Header=BB4_137 Depth=3
	s_or_b32 exec_lo, exec_lo, s73
	s_and_b32 s16, s16, exec_lo
	s_or_saveexec_b32 s72, s72
	v_mov_b32_e32 v1, 0x7f800001
	s_xor_b32 exec_lo, exec_lo, s72
	s_cbranch_execnz .LBB4_1080
.LBB4_429:                              ;   in Loop: Header=BB4_137 Depth=3
	s_or_b32 exec_lo, exec_lo, s72
	s_and_saveexec_b32 s72, s16
	s_cbranch_execz .LBB4_431
.LBB4_430:                              ;   in Loop: Header=BB4_137 Depth=3
	v_and_b32_e32 v1, 3, v9
	v_bfe_u32 v8, v9, 2, 5
	v_lshlrev_b32_e32 v14, 24, v9
	v_ffbh_u32_e32 v4, v1
	v_cmp_eq_u32_e32 vcc_lo, 0, v8
	v_min_u32_e32 v4, 32, v4
	v_subrev_nc_u32_e32 v5, 29, v4
	v_sub_nc_u32_e32 v4, 30, v4
	v_lshlrev_b32_e32 v5, v5, v9
	v_cndmask_b32_e32 v4, v8, v4, vcc_lo
	v_and_b32_e32 v5, 3, v5
	v_lshl_add_u32 v4, v4, 23, 0x37800000
	v_cndmask_b32_e32 v1, v1, v5, vcc_lo
	v_and_b32_e32 v5, 0x80000000, v14
	v_lshlrev_b32_e32 v1, 21, v1
	v_or3_b32 v1, v5, v4, v1
.LBB4_431:                              ;   in Loop: Header=BB4_137 Depth=3
	s_or_b32 exec_lo, exec_lo, s72
	v_mul_f32_e32 v1, s63, v1
	v_mov_b32_e32 v92, 0x80
	s_mov_b32 s72, exec_lo
	v_and_b32_e32 v4, 0x7f800000, v1
	v_cmpx_ne_u32_e32 0x7f800000, v4
	s_cbranch_execz .LBB4_439
; %bb.432:                              ;   in Loop: Header=BB4_137 Depth=3
	v_mov_b32_e32 v92, 0
	s_mov_b32 s73, exec_lo
	v_cmpx_ne_u32_e32 0, v1
	s_cbranch_execz .LBB4_438
; %bb.433:                              ;   in Loop: Header=BB4_137 Depth=3
	v_bfe_u32 v4, v1, 23, 8
	v_and_b32_e32 v5, 0x7fffff, v1
	v_sub_nc_u32_e32 v8, 0x70, v4
	v_cmp_gt_u32_e32 vcc_lo, 0x71, v4
	v_or_b32_e32 v14, 0x800000, v5
	v_cndmask_b32_e32 v8, 0, v8, vcc_lo
	v_cmp_eq_u32_e32 vcc_lo, 0, v4
	v_add_nc_u32_e32 v4, 0xffffff91, v4
	v_cndmask_b32_e64 v8, v8, 0x6f, vcc_lo
	v_cndmask_b32_e32 v5, v14, v5, vcc_lo
	v_cndmask_b32_e64 v4, v4, 0xffffff92, vcc_lo
	v_lshl_add_u32 v14, 0x200000, v8, -1
	v_lshrrev_b32_e32 v15, v8, v5
	v_lshlrev_b32_e64 v17, v8, 0x100000
	v_add_nc_u32_e32 v8, v8, v4
	v_and_b32_e32 v5, v14, v5
	v_bfe_u32 v16, v15, 21, 1
	v_cmp_eq_u32_e64 s16, v5, v17
	v_add_nc_u32_e32 v14, -1, v16
	v_cndmask_b32_e64 v5, 0, v14, s16
	v_lshrrev_b32_e32 v14, 23, v15
	s_mov_b32 s16, exec_lo
	v_add_nc_u32_e32 v5, v5, v15
	v_xor_b32_e32 v14, 1, v14
	v_and_b32_e32 v4, 0x1fffff, v5
	v_add_nc_u32_e32 v5, v4, v15
                                        ; implicit-def: $vgpr4
	v_cmpx_ne_u32_e64 v8, v14
	s_xor_b32 s16, exec_lo, s16
; %bb.434:                              ;   in Loop: Header=BB4_137 Depth=3
	v_cmp_lt_u32_e32 vcc_lo, 0xffffff, v5
	v_sub_nc_u32_e32 v4, v8, v14
	v_cndmask_b32_e64 v8, 0, 1, vcc_lo
	v_add_co_ci_u32_e64 v4, null, 0, v4, vcc_lo
	v_lshrrev_b32_e32 v5, v8, v5
; %bb.435:                              ;   in Loop: Header=BB4_137 Depth=3
	s_andn2_saveexec_b32 s16, s16
; %bb.436:                              ;   in Loop: Header=BB4_137 Depth=3
	v_bfe_u32 v4, v5, 23, 1
; %bb.437:                              ;   in Loop: Header=BB4_137 Depth=3
	s_or_b32 exec_lo, exec_lo, s16
	v_lshrrev_b32_e32 v5, 21, v5
	v_min_i32_e32 v8, 31, v4
	v_cmp_gt_i32_e32 vcc_lo, 32, v4
	v_and_b32_sdwa v1, v1, v101 dst_sel:DWORD dst_unused:UNUSED_PAD src0_sel:BYTE_3 src1_sel:DWORD
	v_lshlrev_b32_e32 v8, 2, v8
	v_cndmask_b32_e32 v5, 3, v5, vcc_lo
	v_and_b32_e32 v8, 0xfc, v8
	v_and_b32_e32 v14, 3, v5
	v_or_b32_e32 v4, v4, v5
	v_or3_b32 v1, v8, v1, v14
	v_cmp_ne_u32_e32 vcc_lo, 0, v4
	v_cndmask_b32_e32 v92, 0, v1, vcc_lo
.LBB4_438:                              ;   in Loop: Header=BB4_137 Depth=3
	s_or_b32 exec_lo, exec_lo, s73
.LBB4_439:                              ;   in Loop: Header=BB4_137 Depth=3
	s_or_b32 exec_lo, exec_lo, s72
	v_cmp_gt_i16_sdwa s72, v9, v100 src0_sel:BYTE_1 src1_sel:DWORD
	s_mov_b32 s16, 0
	s_and_saveexec_b32 s73, s72
	s_xor_b32 s72, exec_lo, s73
	s_cbranch_execz .LBB4_1081
; %bb.440:                              ;   in Loop: Header=BB4_137 Depth=3
	v_cmp_eq_u16_sdwa s74, v9, v101 src0_sel:BYTE_1 src1_sel:DWORD
	s_mov_b32 s16, -1
	s_and_saveexec_b32 s73, s74
; %bb.441:                              ;   in Loop: Header=BB4_137 Depth=3
	s_xor_b32 s16, exec_lo, -1
; %bb.442:                              ;   in Loop: Header=BB4_137 Depth=3
	s_or_b32 exec_lo, exec_lo, s73
	s_and_b32 s16, s16, exec_lo
	s_or_saveexec_b32 s72, s72
	v_mov_b32_e32 v1, 0x7f800001
	s_xor_b32 exec_lo, exec_lo, s72
	s_cbranch_execnz .LBB4_1082
.LBB4_443:                              ;   in Loop: Header=BB4_137 Depth=3
	s_or_b32 exec_lo, exec_lo, s72
	s_and_saveexec_b32 s72, s16
	s_cbranch_execz .LBB4_445
.LBB4_444:                              ;   in Loop: Header=BB4_137 Depth=3
	v_and_b32_sdwa v1, v102, v9 dst_sel:DWORD dst_unused:UNUSED_PAD src0_sel:DWORD src1_sel:BYTE_1
	v_and_b32_e32 v4, 3, v1
	v_bfe_u32 v14, v1, 2, 5
	v_ffbh_u32_e32 v5, v4
	v_cmp_eq_u32_e32 vcc_lo, 0, v14
	v_min_u32_e32 v5, 32, v5
	v_subrev_nc_u32_e32 v8, 29, v5
	v_sub_nc_u32_e32 v5, 30, v5
	v_lshlrev_b32_e32 v1, v8, v1
	v_lshlrev_b32_sdwa v8, v103, v9 dst_sel:DWORD dst_unused:UNUSED_PAD src0_sel:DWORD src1_sel:BYTE_1
	v_cndmask_b32_e32 v5, v14, v5, vcc_lo
	v_and_b32_e32 v1, 3, v1
	v_lshl_add_u32 v5, v5, 23, 0x37800000
	v_cndmask_b32_e32 v1, v4, v1, vcc_lo
	v_and_b32_e32 v4, 0x80000000, v8
	v_lshlrev_b32_e32 v1, 21, v1
	v_or3_b32 v1, v4, v5, v1
.LBB4_445:                              ;   in Loop: Header=BB4_137 Depth=3
	s_or_b32 exec_lo, exec_lo, s72
	v_mul_f32_e32 v1, s63, v1
	v_mov_b32_e32 v93, 0x8000
	s_mov_b32 s72, exec_lo
	v_and_b32_e32 v4, 0x7f800000, v1
	v_cmpx_ne_u32_e32 0x7f800000, v4
	s_cbranch_execz .LBB4_453
; %bb.446:                              ;   in Loop: Header=BB4_137 Depth=3
	v_mov_b32_e32 v93, 0
	s_mov_b32 s73, exec_lo
	v_cmpx_ne_u32_e32 0, v1
	s_cbranch_execz .LBB4_452
; %bb.447:                              ;   in Loop: Header=BB4_137 Depth=3
	v_bfe_u32 v4, v1, 23, 8
	v_and_b32_e32 v5, 0x7fffff, v1
	v_sub_nc_u32_e32 v8, 0x70, v4
	v_cmp_gt_u32_e32 vcc_lo, 0x71, v4
	v_or_b32_e32 v14, 0x800000, v5
	v_cndmask_b32_e32 v8, 0, v8, vcc_lo
	v_cmp_eq_u32_e32 vcc_lo, 0, v4
	v_add_nc_u32_e32 v4, 0xffffff91, v4
	v_cndmask_b32_e64 v8, v8, 0x6f, vcc_lo
	v_cndmask_b32_e32 v5, v14, v5, vcc_lo
	v_cndmask_b32_e64 v4, v4, 0xffffff92, vcc_lo
	v_lshl_add_u32 v14, 0x200000, v8, -1
	v_lshrrev_b32_e32 v15, v8, v5
	v_lshlrev_b32_e64 v17, v8, 0x100000
	v_add_nc_u32_e32 v8, v8, v4
	v_and_b32_e32 v5, v14, v5
	v_bfe_u32 v16, v15, 21, 1
	v_cmp_eq_u32_e64 s16, v5, v17
	v_add_nc_u32_e32 v14, -1, v16
	v_cndmask_b32_e64 v5, 0, v14, s16
	v_lshrrev_b32_e32 v14, 23, v15
	s_mov_b32 s16, exec_lo
	v_add_nc_u32_e32 v5, v5, v15
	v_xor_b32_e32 v14, 1, v14
	v_and_b32_e32 v4, 0x1fffff, v5
	v_add_nc_u32_e32 v5, v4, v15
                                        ; implicit-def: $vgpr4
	v_cmpx_ne_u32_e64 v8, v14
	s_xor_b32 s16, exec_lo, s16
; %bb.448:                              ;   in Loop: Header=BB4_137 Depth=3
	v_cmp_lt_u32_e32 vcc_lo, 0xffffff, v5
	v_sub_nc_u32_e32 v4, v8, v14
	v_cndmask_b32_e64 v8, 0, 1, vcc_lo
	v_add_co_ci_u32_e64 v4, null, 0, v4, vcc_lo
	v_lshrrev_b32_e32 v5, v8, v5
; %bb.449:                              ;   in Loop: Header=BB4_137 Depth=3
	s_andn2_saveexec_b32 s16, s16
; %bb.450:                              ;   in Loop: Header=BB4_137 Depth=3
	v_bfe_u32 v4, v5, 23, 1
; %bb.451:                              ;   in Loop: Header=BB4_137 Depth=3
	s_or_b32 exec_lo, exec_lo, s16
	v_lshrrev_b32_e32 v5, 21, v5
	v_min_i32_e32 v8, 31, v4
	v_cmp_gt_i32_e32 vcc_lo, 32, v4
	v_and_b32_sdwa v1, v1, v101 dst_sel:DWORD dst_unused:UNUSED_PAD src0_sel:BYTE_3 src1_sel:DWORD
	v_lshlrev_b32_e32 v8, 2, v8
	v_cndmask_b32_e32 v5, 3, v5, vcc_lo
	v_and_b32_e32 v8, 0xfc, v8
	v_and_b32_e32 v14, 3, v5
	v_or_b32_e32 v4, v4, v5
	v_or3_b32 v1, v1, v8, v14
	v_cmp_ne_u32_e32 vcc_lo, 0, v4
	v_lshlrev_b32_e32 v1, 8, v1
	v_cndmask_b32_e32 v93, 0, v1, vcc_lo
.LBB4_452:                              ;   in Loop: Header=BB4_137 Depth=3
	s_or_b32 exec_lo, exec_lo, s73
.LBB4_453:                              ;   in Loop: Header=BB4_137 Depth=3
	s_or_b32 exec_lo, exec_lo, s72
	v_and_b32_sdwa v4, v9, v112 dst_sel:DWORD dst_unused:UNUSED_PAD src0_sel:WORD_1 src1_sel:DWORD
	s_mov_b32 s16, 0
	s_mov_b32 s72, exec_lo
	v_cmpx_lt_i16_e32 0x7f, v4
	s_xor_b32 s72, exec_lo, s72
	s_cbranch_execz .LBB4_1083
; %bb.454:                              ;   in Loop: Header=BB4_137 Depth=3
	s_mov_b32 s16, -1
	s_mov_b32 s73, exec_lo
	v_cmpx_eq_u16_e32 0x80, v4
; %bb.455:                              ;   in Loop: Header=BB4_137 Depth=3
	s_xor_b32 s16, exec_lo, -1
; %bb.456:                              ;   in Loop: Header=BB4_137 Depth=3
	s_or_b32 exec_lo, exec_lo, s73
	s_and_b32 s16, s16, exec_lo
                                        ; implicit-def: $vgpr4
	s_or_saveexec_b32 s72, s72
	v_mov_b32_e32 v1, 0x7f800001
	s_xor_b32 exec_lo, exec_lo, s72
	s_cbranch_execnz .LBB4_1084
.LBB4_457:                              ;   in Loop: Header=BB4_137 Depth=3
	s_or_b32 exec_lo, exec_lo, s72
	s_and_saveexec_b32 s72, s16
	s_cbranch_execz .LBB4_459
.LBB4_458:                              ;   in Loop: Header=BB4_137 Depth=3
	v_bfe_u32 v1, v9, 16, 2
	v_bfe_u32 v8, v9, 18, 5
	v_lshlrev_b32_e32 v14, 8, v9
	v_ffbh_u32_e32 v4, v1
	v_cmp_eq_u32_e32 vcc_lo, 0, v8
	v_min_u32_e32 v4, 32, v4
	v_subrev_nc_u32_e32 v5, 29, v4
	v_sub_nc_u32_e32 v4, 30, v4
	v_lshlrev_b32_sdwa v5, v5, v9 dst_sel:DWORD dst_unused:UNUSED_PAD src0_sel:DWORD src1_sel:WORD_1
	v_cndmask_b32_e32 v4, v8, v4, vcc_lo
	v_and_b32_e32 v5, 3, v5
	v_lshl_add_u32 v4, v4, 23, 0x37800000
	v_cndmask_b32_e32 v1, v1, v5, vcc_lo
	v_and_b32_e32 v5, 0x80000000, v14
	v_lshlrev_b32_e32 v1, 21, v1
	v_or3_b32 v1, v5, v4, v1
.LBB4_459:                              ;   in Loop: Header=BB4_137 Depth=3
	s_or_b32 exec_lo, exec_lo, s72
	v_mul_f32_e32 v1, s63, v1
	v_mov_b32_e32 v94, 0x80
	s_mov_b32 s72, exec_lo
	v_and_b32_e32 v4, 0x7f800000, v1
	v_cmpx_ne_u32_e32 0x7f800000, v4
	s_cbranch_execz .LBB4_467
; %bb.460:                              ;   in Loop: Header=BB4_137 Depth=3
	v_mov_b32_e32 v94, 0
	s_mov_b32 s73, exec_lo
	v_cmpx_ne_u32_e32 0, v1
	s_cbranch_execz .LBB4_466
; %bb.461:                              ;   in Loop: Header=BB4_137 Depth=3
	v_bfe_u32 v4, v1, 23, 8
	v_and_b32_e32 v5, 0x7fffff, v1
	v_sub_nc_u32_e32 v8, 0x70, v4
	v_cmp_gt_u32_e32 vcc_lo, 0x71, v4
	v_or_b32_e32 v14, 0x800000, v5
	v_cndmask_b32_e32 v8, 0, v8, vcc_lo
	v_cmp_eq_u32_e32 vcc_lo, 0, v4
	v_add_nc_u32_e32 v4, 0xffffff91, v4
	v_cndmask_b32_e64 v8, v8, 0x6f, vcc_lo
	v_cndmask_b32_e32 v5, v14, v5, vcc_lo
	v_cndmask_b32_e64 v4, v4, 0xffffff92, vcc_lo
	v_lshl_add_u32 v14, 0x200000, v8, -1
	v_lshrrev_b32_e32 v15, v8, v5
	v_lshlrev_b32_e64 v17, v8, 0x100000
	v_add_nc_u32_e32 v8, v8, v4
	v_and_b32_e32 v5, v14, v5
	v_bfe_u32 v16, v15, 21, 1
	v_cmp_eq_u32_e64 s16, v5, v17
	v_add_nc_u32_e32 v14, -1, v16
	v_cndmask_b32_e64 v5, 0, v14, s16
	v_lshrrev_b32_e32 v14, 23, v15
	s_mov_b32 s16, exec_lo
	v_add_nc_u32_e32 v5, v5, v15
	v_xor_b32_e32 v14, 1, v14
	v_and_b32_e32 v4, 0x1fffff, v5
	v_add_nc_u32_e32 v5, v4, v15
                                        ; implicit-def: $vgpr4
	v_cmpx_ne_u32_e64 v8, v14
	s_xor_b32 s16, exec_lo, s16
; %bb.462:                              ;   in Loop: Header=BB4_137 Depth=3
	v_cmp_lt_u32_e32 vcc_lo, 0xffffff, v5
	v_sub_nc_u32_e32 v4, v8, v14
	v_cndmask_b32_e64 v8, 0, 1, vcc_lo
	v_add_co_ci_u32_e64 v4, null, 0, v4, vcc_lo
	v_lshrrev_b32_e32 v5, v8, v5
; %bb.463:                              ;   in Loop: Header=BB4_137 Depth=3
	s_andn2_saveexec_b32 s16, s16
; %bb.464:                              ;   in Loop: Header=BB4_137 Depth=3
	v_bfe_u32 v4, v5, 23, 1
; %bb.465:                              ;   in Loop: Header=BB4_137 Depth=3
	s_or_b32 exec_lo, exec_lo, s16
	v_lshrrev_b32_e32 v5, 21, v5
	v_min_i32_e32 v8, 31, v4
	v_cmp_gt_i32_e32 vcc_lo, 32, v4
	v_and_b32_sdwa v1, v1, v101 dst_sel:DWORD dst_unused:UNUSED_PAD src0_sel:BYTE_3 src1_sel:DWORD
	v_lshlrev_b32_e32 v8, 2, v8
	v_cndmask_b32_e32 v5, 3, v5, vcc_lo
	v_and_b32_e32 v8, 0xfc, v8
	v_and_b32_e32 v14, 3, v5
	v_or_b32_e32 v4, v4, v5
	v_or3_b32 v1, v8, v1, v14
	v_cmp_ne_u32_e32 vcc_lo, 0, v4
	v_cndmask_b32_e32 v94, 0, v1, vcc_lo
.LBB4_466:                              ;   in Loop: Header=BB4_137 Depth=3
	s_or_b32 exec_lo, exec_lo, s73
.LBB4_467:                              ;   in Loop: Header=BB4_137 Depth=3
	s_or_b32 exec_lo, exec_lo, s72
	v_cmp_gt_i16_sdwa s72, v9, v100 src0_sel:BYTE_3 src1_sel:DWORD
	s_mov_b32 s16, 0
	s_and_saveexec_b32 s73, s72
	s_xor_b32 s72, exec_lo, s73
	s_cbranch_execz .LBB4_1085
; %bb.468:                              ;   in Loop: Header=BB4_137 Depth=3
	v_cmp_eq_u16_sdwa s74, v9, v101 src0_sel:BYTE_3 src1_sel:DWORD
	s_mov_b32 s16, -1
	s_and_saveexec_b32 s73, s74
; %bb.469:                              ;   in Loop: Header=BB4_137 Depth=3
	s_xor_b32 s16, exec_lo, -1
; %bb.470:                              ;   in Loop: Header=BB4_137 Depth=3
	s_or_b32 exec_lo, exec_lo, s73
	s_and_b32 s16, s16, exec_lo
	s_or_saveexec_b32 s72, s72
	v_mov_b32_e32 v1, 0x7f800001
	s_xor_b32 exec_lo, exec_lo, s72
	s_cbranch_execnz .LBB4_1086
.LBB4_471:                              ;   in Loop: Header=BB4_137 Depth=3
	s_or_b32 exec_lo, exec_lo, s72
	s_and_saveexec_b32 s72, s16
	s_cbranch_execz .LBB4_473
.LBB4_472:                              ;   in Loop: Header=BB4_137 Depth=3
	v_bfe_u32 v1, v9, 24, 2
	v_bfe_u32 v8, v9, 26, 5
	v_ffbh_u32_e32 v4, v1
	v_cmp_eq_u32_e32 vcc_lo, 0, v8
	v_min_u32_e32 v4, 32, v4
	v_subrev_nc_u32_e32 v5, 29, v4
	v_sub_nc_u32_e32 v4, 30, v4
	v_lshlrev_b32_sdwa v5, v5, v9 dst_sel:DWORD dst_unused:UNUSED_PAD src0_sel:DWORD src1_sel:BYTE_3
	v_cndmask_b32_e32 v4, v8, v4, vcc_lo
	v_and_b32_e32 v5, 3, v5
	v_lshl_add_u32 v4, v4, 23, 0x37800000
	v_cndmask_b32_e32 v1, v1, v5, vcc_lo
	v_and_b32_e32 v5, 0x80000000, v9
	v_lshlrev_b32_e32 v1, 21, v1
	v_or3_b32 v1, v5, v4, v1
.LBB4_473:                              ;   in Loop: Header=BB4_137 Depth=3
	s_or_b32 exec_lo, exec_lo, s72
	v_mul_f32_e32 v1, s63, v1
	v_mov_b32_e32 v95, 0x8000
	s_mov_b32 s72, exec_lo
	v_and_b32_e32 v4, 0x7f800000, v1
	v_cmpx_ne_u32_e32 0x7f800000, v4
	s_cbranch_execz .LBB4_481
; %bb.474:                              ;   in Loop: Header=BB4_137 Depth=3
	v_mov_b32_e32 v95, 0
	s_mov_b32 s73, exec_lo
	v_cmpx_ne_u32_e32 0, v1
	s_cbranch_execz .LBB4_480
; %bb.475:                              ;   in Loop: Header=BB4_137 Depth=3
	v_bfe_u32 v4, v1, 23, 8
	v_and_b32_e32 v5, 0x7fffff, v1
	v_sub_nc_u32_e32 v8, 0x70, v4
	v_cmp_gt_u32_e32 vcc_lo, 0x71, v4
	v_or_b32_e32 v9, 0x800000, v5
	v_cndmask_b32_e32 v8, 0, v8, vcc_lo
	v_cmp_eq_u32_e32 vcc_lo, 0, v4
	v_add_nc_u32_e32 v4, 0xffffff91, v4
	v_cndmask_b32_e64 v8, v8, 0x6f, vcc_lo
	v_cndmask_b32_e32 v5, v9, v5, vcc_lo
	v_cndmask_b32_e64 v4, v4, 0xffffff92, vcc_lo
	v_lshl_add_u32 v9, 0x200000, v8, -1
	v_lshrrev_b32_e32 v14, v8, v5
	v_lshlrev_b32_e64 v16, v8, 0x100000
	v_add_nc_u32_e32 v8, v8, v4
	v_and_b32_e32 v5, v9, v5
	v_bfe_u32 v15, v14, 21, 1
	v_cmp_eq_u32_e64 s16, v5, v16
	v_add_nc_u32_e32 v9, -1, v15
	v_cndmask_b32_e64 v5, 0, v9, s16
	v_lshrrev_b32_e32 v9, 23, v14
	s_mov_b32 s16, exec_lo
	v_add_nc_u32_e32 v5, v5, v14
	v_xor_b32_e32 v9, 1, v9
	v_and_b32_e32 v4, 0x1fffff, v5
	v_add_nc_u32_e32 v5, v4, v14
                                        ; implicit-def: $vgpr4
	v_cmpx_ne_u32_e64 v8, v9
	s_xor_b32 s16, exec_lo, s16
; %bb.476:                              ;   in Loop: Header=BB4_137 Depth=3
	v_cmp_lt_u32_e32 vcc_lo, 0xffffff, v5
	v_sub_nc_u32_e32 v4, v8, v9
	v_cndmask_b32_e64 v8, 0, 1, vcc_lo
	v_add_co_ci_u32_e64 v4, null, 0, v4, vcc_lo
	v_lshrrev_b32_e32 v5, v8, v5
; %bb.477:                              ;   in Loop: Header=BB4_137 Depth=3
	s_andn2_saveexec_b32 s16, s16
; %bb.478:                              ;   in Loop: Header=BB4_137 Depth=3
	v_bfe_u32 v4, v5, 23, 1
; %bb.479:                              ;   in Loop: Header=BB4_137 Depth=3
	s_or_b32 exec_lo, exec_lo, s16
	v_lshrrev_b32_e32 v5, 21, v5
	v_min_i32_e32 v8, 31, v4
	v_cmp_gt_i32_e32 vcc_lo, 32, v4
	v_and_b32_sdwa v1, v1, v101 dst_sel:DWORD dst_unused:UNUSED_PAD src0_sel:BYTE_3 src1_sel:DWORD
	v_lshlrev_b32_e32 v8, 2, v8
	v_cndmask_b32_e32 v5, 3, v5, vcc_lo
	v_and_b32_e32 v8, 0xfc, v8
	v_and_b32_e32 v9, 3, v5
	v_or_b32_e32 v4, v4, v5
	v_or3_b32 v1, v1, v8, v9
	v_cmp_ne_u32_e32 vcc_lo, 0, v4
	v_lshlrev_b32_e32 v1, 8, v1
	v_cndmask_b32_e32 v95, 0, v1, vcc_lo
.LBB4_480:                              ;   in Loop: Header=BB4_137 Depth=3
	s_or_b32 exec_lo, exec_lo, s73
.LBB4_481:                              ;   in Loop: Header=BB4_137 Depth=3
	s_or_b32 exec_lo, exec_lo, s72
	v_cmp_gt_i16_sdwa s72, v10, v100 src0_sel:BYTE_0 src1_sel:DWORD
	s_mov_b32 s16, 0
	s_and_saveexec_b32 s73, s72
	s_xor_b32 s72, exec_lo, s73
	s_cbranch_execz .LBB4_1087
; %bb.482:                              ;   in Loop: Header=BB4_137 Depth=3
	v_cmp_eq_u16_sdwa s74, v10, v101 src0_sel:BYTE_0 src1_sel:DWORD
	s_mov_b32 s16, -1
	s_and_saveexec_b32 s73, s74
; %bb.483:                              ;   in Loop: Header=BB4_137 Depth=3
	s_xor_b32 s16, exec_lo, -1
; %bb.484:                              ;   in Loop: Header=BB4_137 Depth=3
	s_or_b32 exec_lo, exec_lo, s73
	s_and_b32 s16, s16, exec_lo
	s_or_saveexec_b32 s72, s72
	v_mov_b32_e32 v1, 0x7f800001
	s_xor_b32 exec_lo, exec_lo, s72
	s_cbranch_execnz .LBB4_1088
.LBB4_485:                              ;   in Loop: Header=BB4_137 Depth=3
	s_or_b32 exec_lo, exec_lo, s72
	s_and_saveexec_b32 s72, s16
	s_cbranch_execz .LBB4_487
.LBB4_486:                              ;   in Loop: Header=BB4_137 Depth=3
	v_and_b32_e32 v1, 3, v10
	v_bfe_u32 v8, v10, 2, 5
	v_lshlrev_b32_e32 v9, 24, v10
	v_ffbh_u32_e32 v4, v1
	v_cmp_eq_u32_e32 vcc_lo, 0, v8
	v_min_u32_e32 v4, 32, v4
	v_subrev_nc_u32_e32 v5, 29, v4
	v_sub_nc_u32_e32 v4, 30, v4
	v_lshlrev_b32_e32 v5, v5, v10
	v_cndmask_b32_e32 v4, v8, v4, vcc_lo
	v_and_b32_e32 v5, 3, v5
	v_lshl_add_u32 v4, v4, 23, 0x37800000
	v_cndmask_b32_e32 v1, v1, v5, vcc_lo
	v_and_b32_e32 v5, 0x80000000, v9
	v_lshlrev_b32_e32 v1, 21, v1
	v_or3_b32 v1, v5, v4, v1
.LBB4_487:                              ;   in Loop: Header=BB4_137 Depth=3
	s_or_b32 exec_lo, exec_lo, s72
	v_mul_f32_e32 v1, s63, v1
	v_mov_b32_e32 v104, 0x80
	s_mov_b32 s72, exec_lo
	v_and_b32_e32 v4, 0x7f800000, v1
	v_cmpx_ne_u32_e32 0x7f800000, v4
	s_cbranch_execz .LBB4_495
; %bb.488:                              ;   in Loop: Header=BB4_137 Depth=3
	v_mov_b32_e32 v104, 0
	s_mov_b32 s73, exec_lo
	v_cmpx_ne_u32_e32 0, v1
	s_cbranch_execz .LBB4_494
; %bb.489:                              ;   in Loop: Header=BB4_137 Depth=3
	v_bfe_u32 v4, v1, 23, 8
	v_and_b32_e32 v5, 0x7fffff, v1
	v_sub_nc_u32_e32 v8, 0x70, v4
	v_cmp_gt_u32_e32 vcc_lo, 0x71, v4
	v_or_b32_e32 v9, 0x800000, v5
	v_cndmask_b32_e32 v8, 0, v8, vcc_lo
	v_cmp_eq_u32_e32 vcc_lo, 0, v4
	v_add_nc_u32_e32 v4, 0xffffff91, v4
	v_cndmask_b32_e64 v8, v8, 0x6f, vcc_lo
	v_cndmask_b32_e32 v5, v9, v5, vcc_lo
	v_cndmask_b32_e64 v4, v4, 0xffffff92, vcc_lo
	v_lshl_add_u32 v9, 0x200000, v8, -1
	v_lshrrev_b32_e32 v14, v8, v5
	v_lshlrev_b32_e64 v16, v8, 0x100000
	v_add_nc_u32_e32 v8, v8, v4
	v_and_b32_e32 v5, v9, v5
	v_bfe_u32 v15, v14, 21, 1
	v_cmp_eq_u32_e64 s16, v5, v16
	v_add_nc_u32_e32 v9, -1, v15
	v_cndmask_b32_e64 v5, 0, v9, s16
	v_lshrrev_b32_e32 v9, 23, v14
	s_mov_b32 s16, exec_lo
	v_add_nc_u32_e32 v5, v5, v14
	v_xor_b32_e32 v9, 1, v9
	v_and_b32_e32 v4, 0x1fffff, v5
	v_add_nc_u32_e32 v5, v4, v14
                                        ; implicit-def: $vgpr4
	v_cmpx_ne_u32_e64 v8, v9
	s_xor_b32 s16, exec_lo, s16
; %bb.490:                              ;   in Loop: Header=BB4_137 Depth=3
	v_cmp_lt_u32_e32 vcc_lo, 0xffffff, v5
	v_sub_nc_u32_e32 v4, v8, v9
	v_cndmask_b32_e64 v8, 0, 1, vcc_lo
	v_add_co_ci_u32_e64 v4, null, 0, v4, vcc_lo
	v_lshrrev_b32_e32 v5, v8, v5
; %bb.491:                              ;   in Loop: Header=BB4_137 Depth=3
	s_andn2_saveexec_b32 s16, s16
; %bb.492:                              ;   in Loop: Header=BB4_137 Depth=3
	v_bfe_u32 v4, v5, 23, 1
; %bb.493:                              ;   in Loop: Header=BB4_137 Depth=3
	s_or_b32 exec_lo, exec_lo, s16
	v_lshrrev_b32_e32 v5, 21, v5
	v_min_i32_e32 v8, 31, v4
	v_cmp_gt_i32_e32 vcc_lo, 32, v4
	v_and_b32_sdwa v1, v1, v101 dst_sel:DWORD dst_unused:UNUSED_PAD src0_sel:BYTE_3 src1_sel:DWORD
	v_lshlrev_b32_e32 v8, 2, v8
	v_cndmask_b32_e32 v5, 3, v5, vcc_lo
	v_and_b32_e32 v8, 0xfc, v8
	v_and_b32_e32 v9, 3, v5
	v_or_b32_e32 v4, v4, v5
	v_or3_b32 v1, v8, v1, v9
	v_cmp_ne_u32_e32 vcc_lo, 0, v4
	v_cndmask_b32_e32 v104, 0, v1, vcc_lo
.LBB4_494:                              ;   in Loop: Header=BB4_137 Depth=3
	s_or_b32 exec_lo, exec_lo, s73
.LBB4_495:                              ;   in Loop: Header=BB4_137 Depth=3
	s_or_b32 exec_lo, exec_lo, s72
	v_cmp_gt_i16_sdwa s72, v10, v100 src0_sel:BYTE_1 src1_sel:DWORD
	s_mov_b32 s16, 0
	s_and_saveexec_b32 s73, s72
	s_xor_b32 s72, exec_lo, s73
	s_cbranch_execz .LBB4_1089
; %bb.496:                              ;   in Loop: Header=BB4_137 Depth=3
	v_cmp_eq_u16_sdwa s74, v10, v101 src0_sel:BYTE_1 src1_sel:DWORD
	s_mov_b32 s16, -1
	s_and_saveexec_b32 s73, s74
; %bb.497:                              ;   in Loop: Header=BB4_137 Depth=3
	s_xor_b32 s16, exec_lo, -1
; %bb.498:                              ;   in Loop: Header=BB4_137 Depth=3
	s_or_b32 exec_lo, exec_lo, s73
	s_and_b32 s16, s16, exec_lo
	s_or_saveexec_b32 s72, s72
	v_mov_b32_e32 v1, 0x7f800001
	s_xor_b32 exec_lo, exec_lo, s72
	s_cbranch_execnz .LBB4_1090
.LBB4_499:                              ;   in Loop: Header=BB4_137 Depth=3
	s_or_b32 exec_lo, exec_lo, s72
	s_and_saveexec_b32 s72, s16
	s_cbranch_execz .LBB4_501
.LBB4_500:                              ;   in Loop: Header=BB4_137 Depth=3
	v_and_b32_sdwa v1, v102, v10 dst_sel:DWORD dst_unused:UNUSED_PAD src0_sel:DWORD src1_sel:BYTE_1
	v_and_b32_e32 v4, 3, v1
	v_bfe_u32 v9, v1, 2, 5
	v_ffbh_u32_e32 v5, v4
	v_cmp_eq_u32_e32 vcc_lo, 0, v9
	v_min_u32_e32 v5, 32, v5
	v_subrev_nc_u32_e32 v8, 29, v5
	v_sub_nc_u32_e32 v5, 30, v5
	v_lshlrev_b32_e32 v1, v8, v1
	v_lshlrev_b32_sdwa v8, v103, v10 dst_sel:DWORD dst_unused:UNUSED_PAD src0_sel:DWORD src1_sel:BYTE_1
	v_cndmask_b32_e32 v5, v9, v5, vcc_lo
	v_and_b32_e32 v1, 3, v1
	v_lshl_add_u32 v5, v5, 23, 0x37800000
	v_cndmask_b32_e32 v1, v4, v1, vcc_lo
	v_and_b32_e32 v4, 0x80000000, v8
	v_lshlrev_b32_e32 v1, 21, v1
	v_or3_b32 v1, v4, v5, v1
.LBB4_501:                              ;   in Loop: Header=BB4_137 Depth=3
	s_or_b32 exec_lo, exec_lo, s72
	v_mul_f32_e32 v1, s63, v1
	v_mov_b32_e32 v105, 0x8000
	s_mov_b32 s72, exec_lo
	v_and_b32_e32 v4, 0x7f800000, v1
	v_cmpx_ne_u32_e32 0x7f800000, v4
	s_cbranch_execz .LBB4_509
; %bb.502:                              ;   in Loop: Header=BB4_137 Depth=3
	v_mov_b32_e32 v105, 0
	s_mov_b32 s73, exec_lo
	v_cmpx_ne_u32_e32 0, v1
	s_cbranch_execz .LBB4_508
; %bb.503:                              ;   in Loop: Header=BB4_137 Depth=3
	v_bfe_u32 v4, v1, 23, 8
	v_and_b32_e32 v5, 0x7fffff, v1
	v_sub_nc_u32_e32 v8, 0x70, v4
	v_cmp_gt_u32_e32 vcc_lo, 0x71, v4
	v_or_b32_e32 v9, 0x800000, v5
	v_cndmask_b32_e32 v8, 0, v8, vcc_lo
	v_cmp_eq_u32_e32 vcc_lo, 0, v4
	v_add_nc_u32_e32 v4, 0xffffff91, v4
	v_cndmask_b32_e64 v8, v8, 0x6f, vcc_lo
	v_cndmask_b32_e32 v5, v9, v5, vcc_lo
	v_cndmask_b32_e64 v4, v4, 0xffffff92, vcc_lo
	v_lshl_add_u32 v9, 0x200000, v8, -1
	v_lshrrev_b32_e32 v14, v8, v5
	v_lshlrev_b32_e64 v16, v8, 0x100000
	v_add_nc_u32_e32 v8, v8, v4
	v_and_b32_e32 v5, v9, v5
	v_bfe_u32 v15, v14, 21, 1
	v_cmp_eq_u32_e64 s16, v5, v16
	v_add_nc_u32_e32 v9, -1, v15
	v_cndmask_b32_e64 v5, 0, v9, s16
	v_lshrrev_b32_e32 v9, 23, v14
	s_mov_b32 s16, exec_lo
	v_add_nc_u32_e32 v5, v5, v14
	v_xor_b32_e32 v9, 1, v9
	v_and_b32_e32 v4, 0x1fffff, v5
	v_add_nc_u32_e32 v5, v4, v14
                                        ; implicit-def: $vgpr4
	v_cmpx_ne_u32_e64 v8, v9
	s_xor_b32 s16, exec_lo, s16
; %bb.504:                              ;   in Loop: Header=BB4_137 Depth=3
	v_cmp_lt_u32_e32 vcc_lo, 0xffffff, v5
	v_sub_nc_u32_e32 v4, v8, v9
	v_cndmask_b32_e64 v8, 0, 1, vcc_lo
	v_add_co_ci_u32_e64 v4, null, 0, v4, vcc_lo
	v_lshrrev_b32_e32 v5, v8, v5
; %bb.505:                              ;   in Loop: Header=BB4_137 Depth=3
	s_andn2_saveexec_b32 s16, s16
; %bb.506:                              ;   in Loop: Header=BB4_137 Depth=3
	v_bfe_u32 v4, v5, 23, 1
; %bb.507:                              ;   in Loop: Header=BB4_137 Depth=3
	s_or_b32 exec_lo, exec_lo, s16
	v_lshrrev_b32_e32 v5, 21, v5
	v_min_i32_e32 v8, 31, v4
	v_cmp_gt_i32_e32 vcc_lo, 32, v4
	v_and_b32_sdwa v1, v1, v101 dst_sel:DWORD dst_unused:UNUSED_PAD src0_sel:BYTE_3 src1_sel:DWORD
	v_lshlrev_b32_e32 v8, 2, v8
	v_cndmask_b32_e32 v5, 3, v5, vcc_lo
	v_and_b32_e32 v8, 0xfc, v8
	v_and_b32_e32 v9, 3, v5
	v_or_b32_e32 v4, v4, v5
	v_or3_b32 v1, v1, v8, v9
	v_cmp_ne_u32_e32 vcc_lo, 0, v4
	v_lshlrev_b32_e32 v1, 8, v1
	v_cndmask_b32_e32 v105, 0, v1, vcc_lo
.LBB4_508:                              ;   in Loop: Header=BB4_137 Depth=3
	s_or_b32 exec_lo, exec_lo, s73
.LBB4_509:                              ;   in Loop: Header=BB4_137 Depth=3
	s_or_b32 exec_lo, exec_lo, s72
	v_and_b32_sdwa v4, v10, v112 dst_sel:DWORD dst_unused:UNUSED_PAD src0_sel:WORD_1 src1_sel:DWORD
	s_mov_b32 s16, 0
	s_mov_b32 s72, exec_lo
	v_cmpx_lt_i16_e32 0x7f, v4
	s_xor_b32 s72, exec_lo, s72
	s_cbranch_execz .LBB4_1091
; %bb.510:                              ;   in Loop: Header=BB4_137 Depth=3
	s_mov_b32 s16, -1
	s_mov_b32 s73, exec_lo
	v_cmpx_eq_u16_e32 0x80, v4
; %bb.511:                              ;   in Loop: Header=BB4_137 Depth=3
	s_xor_b32 s16, exec_lo, -1
; %bb.512:                              ;   in Loop: Header=BB4_137 Depth=3
	s_or_b32 exec_lo, exec_lo, s73
	s_and_b32 s16, s16, exec_lo
                                        ; implicit-def: $vgpr4
	s_or_saveexec_b32 s72, s72
	v_mov_b32_e32 v1, 0x7f800001
	s_xor_b32 exec_lo, exec_lo, s72
	s_cbranch_execnz .LBB4_1092
.LBB4_513:                              ;   in Loop: Header=BB4_137 Depth=3
	s_or_b32 exec_lo, exec_lo, s72
	s_and_saveexec_b32 s72, s16
	s_cbranch_execz .LBB4_515
.LBB4_514:                              ;   in Loop: Header=BB4_137 Depth=3
	v_bfe_u32 v1, v10, 16, 2
	v_bfe_u32 v8, v10, 18, 5
	v_lshlrev_b32_e32 v9, 8, v10
	v_ffbh_u32_e32 v4, v1
	v_cmp_eq_u32_e32 vcc_lo, 0, v8
	v_min_u32_e32 v4, 32, v4
	v_subrev_nc_u32_e32 v5, 29, v4
	v_sub_nc_u32_e32 v4, 30, v4
	v_lshlrev_b32_sdwa v5, v5, v10 dst_sel:DWORD dst_unused:UNUSED_PAD src0_sel:DWORD src1_sel:WORD_1
	v_cndmask_b32_e32 v4, v8, v4, vcc_lo
	v_and_b32_e32 v5, 3, v5
	v_lshl_add_u32 v4, v4, 23, 0x37800000
	v_cndmask_b32_e32 v1, v1, v5, vcc_lo
	v_and_b32_e32 v5, 0x80000000, v9
	v_lshlrev_b32_e32 v1, 21, v1
	v_or3_b32 v1, v5, v4, v1
.LBB4_515:                              ;   in Loop: Header=BB4_137 Depth=3
	s_or_b32 exec_lo, exec_lo, s72
	v_mul_f32_e32 v1, s63, v1
	v_mov_b32_e32 v106, 0x80
	s_mov_b32 s72, exec_lo
	v_and_b32_e32 v4, 0x7f800000, v1
	v_cmpx_ne_u32_e32 0x7f800000, v4
	s_cbranch_execz .LBB4_523
; %bb.516:                              ;   in Loop: Header=BB4_137 Depth=3
	v_mov_b32_e32 v106, 0
	s_mov_b32 s73, exec_lo
	v_cmpx_ne_u32_e32 0, v1
	s_cbranch_execz .LBB4_522
; %bb.517:                              ;   in Loop: Header=BB4_137 Depth=3
	v_bfe_u32 v4, v1, 23, 8
	v_and_b32_e32 v5, 0x7fffff, v1
	v_sub_nc_u32_e32 v8, 0x70, v4
	v_cmp_gt_u32_e32 vcc_lo, 0x71, v4
	v_or_b32_e32 v9, 0x800000, v5
	v_cndmask_b32_e32 v8, 0, v8, vcc_lo
	v_cmp_eq_u32_e32 vcc_lo, 0, v4
	v_add_nc_u32_e32 v4, 0xffffff91, v4
	v_cndmask_b32_e64 v8, v8, 0x6f, vcc_lo
	v_cndmask_b32_e32 v5, v9, v5, vcc_lo
	v_cndmask_b32_e64 v4, v4, 0xffffff92, vcc_lo
	v_lshl_add_u32 v9, 0x200000, v8, -1
	v_lshrrev_b32_e32 v14, v8, v5
	v_lshlrev_b32_e64 v16, v8, 0x100000
	v_add_nc_u32_e32 v8, v8, v4
	v_and_b32_e32 v5, v9, v5
	v_bfe_u32 v15, v14, 21, 1
	v_cmp_eq_u32_e64 s16, v5, v16
	v_add_nc_u32_e32 v9, -1, v15
	v_cndmask_b32_e64 v5, 0, v9, s16
	v_lshrrev_b32_e32 v9, 23, v14
	s_mov_b32 s16, exec_lo
	v_add_nc_u32_e32 v5, v5, v14
	v_xor_b32_e32 v9, 1, v9
	v_and_b32_e32 v4, 0x1fffff, v5
	v_add_nc_u32_e32 v5, v4, v14
                                        ; implicit-def: $vgpr4
	v_cmpx_ne_u32_e64 v8, v9
	s_xor_b32 s16, exec_lo, s16
; %bb.518:                              ;   in Loop: Header=BB4_137 Depth=3
	v_cmp_lt_u32_e32 vcc_lo, 0xffffff, v5
	v_sub_nc_u32_e32 v4, v8, v9
	v_cndmask_b32_e64 v8, 0, 1, vcc_lo
	v_add_co_ci_u32_e64 v4, null, 0, v4, vcc_lo
	v_lshrrev_b32_e32 v5, v8, v5
; %bb.519:                              ;   in Loop: Header=BB4_137 Depth=3
	s_andn2_saveexec_b32 s16, s16
; %bb.520:                              ;   in Loop: Header=BB4_137 Depth=3
	v_bfe_u32 v4, v5, 23, 1
; %bb.521:                              ;   in Loop: Header=BB4_137 Depth=3
	s_or_b32 exec_lo, exec_lo, s16
	v_lshrrev_b32_e32 v5, 21, v5
	v_min_i32_e32 v8, 31, v4
	v_cmp_gt_i32_e32 vcc_lo, 32, v4
	v_and_b32_sdwa v1, v1, v101 dst_sel:DWORD dst_unused:UNUSED_PAD src0_sel:BYTE_3 src1_sel:DWORD
	v_lshlrev_b32_e32 v8, 2, v8
	v_cndmask_b32_e32 v5, 3, v5, vcc_lo
	v_and_b32_e32 v8, 0xfc, v8
	v_and_b32_e32 v9, 3, v5
	v_or_b32_e32 v4, v4, v5
	v_or3_b32 v1, v8, v1, v9
	v_cmp_ne_u32_e32 vcc_lo, 0, v4
	v_cndmask_b32_e32 v106, 0, v1, vcc_lo
.LBB4_522:                              ;   in Loop: Header=BB4_137 Depth=3
	s_or_b32 exec_lo, exec_lo, s73
.LBB4_523:                              ;   in Loop: Header=BB4_137 Depth=3
	s_or_b32 exec_lo, exec_lo, s72
	v_cmp_gt_i16_sdwa s72, v10, v100 src0_sel:BYTE_3 src1_sel:DWORD
	s_mov_b32 s16, 0
	s_and_saveexec_b32 s73, s72
	s_xor_b32 s72, exec_lo, s73
	s_cbranch_execz .LBB4_1093
; %bb.524:                              ;   in Loop: Header=BB4_137 Depth=3
	v_cmp_eq_u16_sdwa s74, v10, v101 src0_sel:BYTE_3 src1_sel:DWORD
	s_mov_b32 s16, -1
	s_and_saveexec_b32 s73, s74
; %bb.525:                              ;   in Loop: Header=BB4_137 Depth=3
	s_xor_b32 s16, exec_lo, -1
; %bb.526:                              ;   in Loop: Header=BB4_137 Depth=3
	s_or_b32 exec_lo, exec_lo, s73
	s_and_b32 s16, s16, exec_lo
	s_or_saveexec_b32 s72, s72
	v_mov_b32_e32 v1, 0x7f800001
	s_xor_b32 exec_lo, exec_lo, s72
	s_cbranch_execnz .LBB4_1094
.LBB4_527:                              ;   in Loop: Header=BB4_137 Depth=3
	s_or_b32 exec_lo, exec_lo, s72
	s_and_saveexec_b32 s72, s16
	s_cbranch_execz .LBB4_529
.LBB4_528:                              ;   in Loop: Header=BB4_137 Depth=3
	v_bfe_u32 v1, v10, 24, 2
	v_bfe_u32 v8, v10, 26, 5
	v_ffbh_u32_e32 v4, v1
	v_cmp_eq_u32_e32 vcc_lo, 0, v8
	v_min_u32_e32 v4, 32, v4
	v_subrev_nc_u32_e32 v5, 29, v4
	v_sub_nc_u32_e32 v4, 30, v4
	v_lshlrev_b32_sdwa v5, v5, v10 dst_sel:DWORD dst_unused:UNUSED_PAD src0_sel:DWORD src1_sel:BYTE_3
	v_cndmask_b32_e32 v4, v8, v4, vcc_lo
	v_and_b32_e32 v5, 3, v5
	v_lshl_add_u32 v4, v4, 23, 0x37800000
	v_cndmask_b32_e32 v1, v1, v5, vcc_lo
	v_and_b32_e32 v5, 0x80000000, v10
	v_lshlrev_b32_e32 v1, 21, v1
	v_or3_b32 v1, v5, v4, v1
.LBB4_529:                              ;   in Loop: Header=BB4_137 Depth=3
	s_or_b32 exec_lo, exec_lo, s72
	v_mul_f32_e32 v1, s63, v1
	v_mov_b32_e32 v107, 0x8000
	s_mov_b32 s72, exec_lo
	v_and_b32_e32 v4, 0x7f800000, v1
	v_cmpx_ne_u32_e32 0x7f800000, v4
	s_cbranch_execz .LBB4_537
; %bb.530:                              ;   in Loop: Header=BB4_137 Depth=3
	v_mov_b32_e32 v107, 0
	s_mov_b32 s73, exec_lo
	v_cmpx_ne_u32_e32 0, v1
	s_cbranch_execz .LBB4_536
; %bb.531:                              ;   in Loop: Header=BB4_137 Depth=3
	v_bfe_u32 v4, v1, 23, 8
	v_and_b32_e32 v5, 0x7fffff, v1
	v_sub_nc_u32_e32 v8, 0x70, v4
	v_cmp_gt_u32_e32 vcc_lo, 0x71, v4
	v_or_b32_e32 v9, 0x800000, v5
	v_cndmask_b32_e32 v8, 0, v8, vcc_lo
	v_cmp_eq_u32_e32 vcc_lo, 0, v4
	v_add_nc_u32_e32 v4, 0xffffff91, v4
	v_cndmask_b32_e64 v8, v8, 0x6f, vcc_lo
	v_cndmask_b32_e32 v5, v9, v5, vcc_lo
	v_cndmask_b32_e64 v4, v4, 0xffffff92, vcc_lo
	v_lshl_add_u32 v9, 0x200000, v8, -1
	v_lshrrev_b32_e32 v10, v8, v5
	v_lshlrev_b32_e64 v15, v8, 0x100000
	v_add_nc_u32_e32 v8, v8, v4
	v_and_b32_e32 v5, v9, v5
	v_bfe_u32 v14, v10, 21, 1
	v_cmp_eq_u32_e64 s16, v5, v15
	v_add_nc_u32_e32 v9, -1, v14
	v_cndmask_b32_e64 v5, 0, v9, s16
	v_lshrrev_b32_e32 v9, 23, v10
	s_mov_b32 s16, exec_lo
	v_add_nc_u32_e32 v5, v5, v10
	v_xor_b32_e32 v9, 1, v9
	v_and_b32_e32 v4, 0x1fffff, v5
	v_add_nc_u32_e32 v5, v4, v10
                                        ; implicit-def: $vgpr4
	v_cmpx_ne_u32_e64 v8, v9
	s_xor_b32 s16, exec_lo, s16
; %bb.532:                              ;   in Loop: Header=BB4_137 Depth=3
	v_cmp_lt_u32_e32 vcc_lo, 0xffffff, v5
	v_sub_nc_u32_e32 v4, v8, v9
	v_cndmask_b32_e64 v8, 0, 1, vcc_lo
	v_add_co_ci_u32_e64 v4, null, 0, v4, vcc_lo
	v_lshrrev_b32_e32 v5, v8, v5
; %bb.533:                              ;   in Loop: Header=BB4_137 Depth=3
	s_andn2_saveexec_b32 s16, s16
; %bb.534:                              ;   in Loop: Header=BB4_137 Depth=3
	v_bfe_u32 v4, v5, 23, 1
; %bb.535:                              ;   in Loop: Header=BB4_137 Depth=3
	s_or_b32 exec_lo, exec_lo, s16
	v_lshrrev_b32_e32 v5, 21, v5
	v_min_i32_e32 v8, 31, v4
	v_cmp_gt_i32_e32 vcc_lo, 32, v4
	v_and_b32_sdwa v1, v1, v101 dst_sel:DWORD dst_unused:UNUSED_PAD src0_sel:BYTE_3 src1_sel:DWORD
	v_lshlrev_b32_e32 v8, 2, v8
	v_cndmask_b32_e32 v5, 3, v5, vcc_lo
	v_and_b32_e32 v8, 0xfc, v8
	v_and_b32_e32 v9, 3, v5
	v_or_b32_e32 v4, v4, v5
	v_or3_b32 v1, v1, v8, v9
	v_cmp_ne_u32_e32 vcc_lo, 0, v4
	v_lshlrev_b32_e32 v1, 8, v1
	v_cndmask_b32_e32 v107, 0, v1, vcc_lo
.LBB4_536:                              ;   in Loop: Header=BB4_137 Depth=3
	s_or_b32 exec_lo, exec_lo, s73
.LBB4_537:                              ;   in Loop: Header=BB4_137 Depth=3
	s_or_b32 exec_lo, exec_lo, s72
	v_cmp_gt_i16_sdwa s72, v11, v100 src0_sel:BYTE_0 src1_sel:DWORD
	s_mov_b32 s16, 0
	s_and_saveexec_b32 s73, s72
	s_xor_b32 s72, exec_lo, s73
	s_cbranch_execz .LBB4_1095
; %bb.538:                              ;   in Loop: Header=BB4_137 Depth=3
	v_cmp_eq_u16_sdwa s74, v11, v101 src0_sel:BYTE_0 src1_sel:DWORD
	s_mov_b32 s16, -1
	s_and_saveexec_b32 s73, s74
; %bb.539:                              ;   in Loop: Header=BB4_137 Depth=3
	s_xor_b32 s16, exec_lo, -1
; %bb.540:                              ;   in Loop: Header=BB4_137 Depth=3
	s_or_b32 exec_lo, exec_lo, s73
	s_and_b32 s16, s16, exec_lo
	s_or_saveexec_b32 s72, s72
	v_mov_b32_e32 v1, 0x7f800001
	s_xor_b32 exec_lo, exec_lo, s72
	s_cbranch_execnz .LBB4_1096
.LBB4_541:                              ;   in Loop: Header=BB4_137 Depth=3
	s_or_b32 exec_lo, exec_lo, s72
	s_and_saveexec_b32 s72, s16
	s_cbranch_execz .LBB4_543
.LBB4_542:                              ;   in Loop: Header=BB4_137 Depth=3
	v_and_b32_e32 v1, 3, v11
	v_bfe_u32 v8, v11, 2, 5
	v_lshlrev_b32_e32 v9, 24, v11
	v_ffbh_u32_e32 v4, v1
	v_cmp_eq_u32_e32 vcc_lo, 0, v8
	v_min_u32_e32 v4, 32, v4
	v_subrev_nc_u32_e32 v5, 29, v4
	v_sub_nc_u32_e32 v4, 30, v4
	v_lshlrev_b32_e32 v5, v5, v11
	v_cndmask_b32_e32 v4, v8, v4, vcc_lo
	v_and_b32_e32 v5, 3, v5
	v_lshl_add_u32 v4, v4, 23, 0x37800000
	v_cndmask_b32_e32 v1, v1, v5, vcc_lo
	v_and_b32_e32 v5, 0x80000000, v9
	v_lshlrev_b32_e32 v1, 21, v1
	v_or3_b32 v1, v5, v4, v1
.LBB4_543:                              ;   in Loop: Header=BB4_137 Depth=3
	s_or_b32 exec_lo, exec_lo, s72
	v_mul_f32_e32 v1, s63, v1
	v_mov_b32_e32 v108, 0x80
	s_mov_b32 s72, exec_lo
	v_and_b32_e32 v4, 0x7f800000, v1
	v_cmpx_ne_u32_e32 0x7f800000, v4
	s_cbranch_execz .LBB4_551
; %bb.544:                              ;   in Loop: Header=BB4_137 Depth=3
	v_mov_b32_e32 v108, 0
	s_mov_b32 s73, exec_lo
	v_cmpx_ne_u32_e32 0, v1
	s_cbranch_execz .LBB4_550
; %bb.545:                              ;   in Loop: Header=BB4_137 Depth=3
	v_bfe_u32 v4, v1, 23, 8
	v_and_b32_e32 v5, 0x7fffff, v1
	v_sub_nc_u32_e32 v8, 0x70, v4
	v_cmp_gt_u32_e32 vcc_lo, 0x71, v4
	v_or_b32_e32 v9, 0x800000, v5
	v_cndmask_b32_e32 v8, 0, v8, vcc_lo
	v_cmp_eq_u32_e32 vcc_lo, 0, v4
	v_add_nc_u32_e32 v4, 0xffffff91, v4
	v_cndmask_b32_e64 v8, v8, 0x6f, vcc_lo
	v_cndmask_b32_e32 v5, v9, v5, vcc_lo
	v_cndmask_b32_e64 v4, v4, 0xffffff92, vcc_lo
	v_lshl_add_u32 v9, 0x200000, v8, -1
	v_lshrrev_b32_e32 v10, v8, v5
	v_lshlrev_b32_e64 v15, v8, 0x100000
	v_add_nc_u32_e32 v8, v8, v4
	v_and_b32_e32 v5, v9, v5
	v_bfe_u32 v14, v10, 21, 1
	v_cmp_eq_u32_e64 s16, v5, v15
	v_add_nc_u32_e32 v9, -1, v14
	v_cndmask_b32_e64 v5, 0, v9, s16
	v_lshrrev_b32_e32 v9, 23, v10
	s_mov_b32 s16, exec_lo
	v_add_nc_u32_e32 v5, v5, v10
	v_xor_b32_e32 v9, 1, v9
	v_and_b32_e32 v4, 0x1fffff, v5
	v_add_nc_u32_e32 v5, v4, v10
                                        ; implicit-def: $vgpr4
	v_cmpx_ne_u32_e64 v8, v9
	s_xor_b32 s16, exec_lo, s16
; %bb.546:                              ;   in Loop: Header=BB4_137 Depth=3
	v_cmp_lt_u32_e32 vcc_lo, 0xffffff, v5
	v_sub_nc_u32_e32 v4, v8, v9
	v_cndmask_b32_e64 v8, 0, 1, vcc_lo
	v_add_co_ci_u32_e64 v4, null, 0, v4, vcc_lo
	v_lshrrev_b32_e32 v5, v8, v5
; %bb.547:                              ;   in Loop: Header=BB4_137 Depth=3
	s_andn2_saveexec_b32 s16, s16
; %bb.548:                              ;   in Loop: Header=BB4_137 Depth=3
	v_bfe_u32 v4, v5, 23, 1
; %bb.549:                              ;   in Loop: Header=BB4_137 Depth=3
	s_or_b32 exec_lo, exec_lo, s16
	v_lshrrev_b32_e32 v5, 21, v5
	v_min_i32_e32 v8, 31, v4
	v_cmp_gt_i32_e32 vcc_lo, 32, v4
	v_and_b32_sdwa v1, v1, v101 dst_sel:DWORD dst_unused:UNUSED_PAD src0_sel:BYTE_3 src1_sel:DWORD
	v_lshlrev_b32_e32 v8, 2, v8
	v_cndmask_b32_e32 v5, 3, v5, vcc_lo
	v_and_b32_e32 v8, 0xfc, v8
	v_and_b32_e32 v9, 3, v5
	v_or_b32_e32 v4, v4, v5
	v_or3_b32 v1, v8, v1, v9
	v_cmp_ne_u32_e32 vcc_lo, 0, v4
	v_cndmask_b32_e32 v108, 0, v1, vcc_lo
.LBB4_550:                              ;   in Loop: Header=BB4_137 Depth=3
	s_or_b32 exec_lo, exec_lo, s73
.LBB4_551:                              ;   in Loop: Header=BB4_137 Depth=3
	s_or_b32 exec_lo, exec_lo, s72
	v_cmp_gt_i16_sdwa s72, v11, v100 src0_sel:BYTE_1 src1_sel:DWORD
	s_mov_b32 s16, 0
	s_and_saveexec_b32 s73, s72
	s_xor_b32 s72, exec_lo, s73
	s_cbranch_execz .LBB4_1097
; %bb.552:                              ;   in Loop: Header=BB4_137 Depth=3
	v_cmp_eq_u16_sdwa s74, v11, v101 src0_sel:BYTE_1 src1_sel:DWORD
	s_mov_b32 s16, -1
	s_and_saveexec_b32 s73, s74
; %bb.553:                              ;   in Loop: Header=BB4_137 Depth=3
	s_xor_b32 s16, exec_lo, -1
; %bb.554:                              ;   in Loop: Header=BB4_137 Depth=3
	s_or_b32 exec_lo, exec_lo, s73
	s_and_b32 s16, s16, exec_lo
	s_or_saveexec_b32 s72, s72
	v_mov_b32_e32 v1, 0x7f800001
	s_xor_b32 exec_lo, exec_lo, s72
	s_cbranch_execnz .LBB4_1098
.LBB4_555:                              ;   in Loop: Header=BB4_137 Depth=3
	s_or_b32 exec_lo, exec_lo, s72
	s_and_saveexec_b32 s72, s16
	s_cbranch_execz .LBB4_557
.LBB4_556:                              ;   in Loop: Header=BB4_137 Depth=3
	v_and_b32_sdwa v1, v102, v11 dst_sel:DWORD dst_unused:UNUSED_PAD src0_sel:DWORD src1_sel:BYTE_1
	v_and_b32_e32 v4, 3, v1
	v_bfe_u32 v9, v1, 2, 5
	v_ffbh_u32_e32 v5, v4
	v_cmp_eq_u32_e32 vcc_lo, 0, v9
	v_min_u32_e32 v5, 32, v5
	v_subrev_nc_u32_e32 v8, 29, v5
	v_sub_nc_u32_e32 v5, 30, v5
	v_lshlrev_b32_e32 v1, v8, v1
	v_lshlrev_b32_sdwa v8, v103, v11 dst_sel:DWORD dst_unused:UNUSED_PAD src0_sel:DWORD src1_sel:BYTE_1
	v_cndmask_b32_e32 v5, v9, v5, vcc_lo
	v_and_b32_e32 v1, 3, v1
	v_lshl_add_u32 v5, v5, 23, 0x37800000
	v_cndmask_b32_e32 v1, v4, v1, vcc_lo
	v_and_b32_e32 v4, 0x80000000, v8
	v_lshlrev_b32_e32 v1, 21, v1
	v_or3_b32 v1, v4, v5, v1
.LBB4_557:                              ;   in Loop: Header=BB4_137 Depth=3
	s_or_b32 exec_lo, exec_lo, s72
	v_mul_f32_e32 v1, s63, v1
	v_mov_b32_e32 v109, 0x8000
	s_mov_b32 s72, exec_lo
	v_and_b32_e32 v4, 0x7f800000, v1
	v_cmpx_ne_u32_e32 0x7f800000, v4
	s_cbranch_execz .LBB4_565
; %bb.558:                              ;   in Loop: Header=BB4_137 Depth=3
	v_mov_b32_e32 v109, 0
	s_mov_b32 s73, exec_lo
	v_cmpx_ne_u32_e32 0, v1
	s_cbranch_execz .LBB4_564
; %bb.559:                              ;   in Loop: Header=BB4_137 Depth=3
	v_bfe_u32 v4, v1, 23, 8
	v_and_b32_e32 v5, 0x7fffff, v1
	v_sub_nc_u32_e32 v8, 0x70, v4
	v_cmp_gt_u32_e32 vcc_lo, 0x71, v4
	v_or_b32_e32 v9, 0x800000, v5
	v_cndmask_b32_e32 v8, 0, v8, vcc_lo
	v_cmp_eq_u32_e32 vcc_lo, 0, v4
	v_add_nc_u32_e32 v4, 0xffffff91, v4
	v_cndmask_b32_e64 v8, v8, 0x6f, vcc_lo
	v_cndmask_b32_e32 v5, v9, v5, vcc_lo
	v_cndmask_b32_e64 v4, v4, 0xffffff92, vcc_lo
	v_lshl_add_u32 v9, 0x200000, v8, -1
	v_lshrrev_b32_e32 v10, v8, v5
	v_lshlrev_b32_e64 v15, v8, 0x100000
	v_add_nc_u32_e32 v8, v8, v4
	v_and_b32_e32 v5, v9, v5
	v_bfe_u32 v14, v10, 21, 1
	v_cmp_eq_u32_e64 s16, v5, v15
	v_add_nc_u32_e32 v9, -1, v14
	v_cndmask_b32_e64 v5, 0, v9, s16
	v_lshrrev_b32_e32 v9, 23, v10
	s_mov_b32 s16, exec_lo
	v_add_nc_u32_e32 v5, v5, v10
	v_xor_b32_e32 v9, 1, v9
	v_and_b32_e32 v4, 0x1fffff, v5
	v_add_nc_u32_e32 v5, v4, v10
                                        ; implicit-def: $vgpr4
	v_cmpx_ne_u32_e64 v8, v9
	s_xor_b32 s16, exec_lo, s16
; %bb.560:                              ;   in Loop: Header=BB4_137 Depth=3
	v_cmp_lt_u32_e32 vcc_lo, 0xffffff, v5
	v_sub_nc_u32_e32 v4, v8, v9
	v_cndmask_b32_e64 v8, 0, 1, vcc_lo
	v_add_co_ci_u32_e64 v4, null, 0, v4, vcc_lo
	v_lshrrev_b32_e32 v5, v8, v5
; %bb.561:                              ;   in Loop: Header=BB4_137 Depth=3
	s_andn2_saveexec_b32 s16, s16
; %bb.562:                              ;   in Loop: Header=BB4_137 Depth=3
	v_bfe_u32 v4, v5, 23, 1
; %bb.563:                              ;   in Loop: Header=BB4_137 Depth=3
	s_or_b32 exec_lo, exec_lo, s16
	v_lshrrev_b32_e32 v5, 21, v5
	v_min_i32_e32 v8, 31, v4
	v_cmp_gt_i32_e32 vcc_lo, 32, v4
	v_and_b32_sdwa v1, v1, v101 dst_sel:DWORD dst_unused:UNUSED_PAD src0_sel:BYTE_3 src1_sel:DWORD
	v_lshlrev_b32_e32 v8, 2, v8
	v_cndmask_b32_e32 v5, 3, v5, vcc_lo
	v_and_b32_e32 v8, 0xfc, v8
	v_and_b32_e32 v9, 3, v5
	v_or_b32_e32 v4, v4, v5
	v_or3_b32 v1, v1, v8, v9
	v_cmp_ne_u32_e32 vcc_lo, 0, v4
	v_lshlrev_b32_e32 v1, 8, v1
	v_cndmask_b32_e32 v109, 0, v1, vcc_lo
.LBB4_564:                              ;   in Loop: Header=BB4_137 Depth=3
	s_or_b32 exec_lo, exec_lo, s73
.LBB4_565:                              ;   in Loop: Header=BB4_137 Depth=3
	s_or_b32 exec_lo, exec_lo, s72
	v_and_b32_sdwa v4, v11, v112 dst_sel:DWORD dst_unused:UNUSED_PAD src0_sel:WORD_1 src1_sel:DWORD
	s_mov_b32 s16, 0
	s_mov_b32 s72, exec_lo
	v_cmpx_lt_i16_e32 0x7f, v4
	s_xor_b32 s72, exec_lo, s72
	s_cbranch_execz .LBB4_1099
; %bb.566:                              ;   in Loop: Header=BB4_137 Depth=3
	s_mov_b32 s16, -1
	s_mov_b32 s73, exec_lo
	v_cmpx_eq_u16_e32 0x80, v4
; %bb.567:                              ;   in Loop: Header=BB4_137 Depth=3
	s_xor_b32 s16, exec_lo, -1
; %bb.568:                              ;   in Loop: Header=BB4_137 Depth=3
	s_or_b32 exec_lo, exec_lo, s73
	s_and_b32 s16, s16, exec_lo
                                        ; implicit-def: $vgpr4
	s_or_saveexec_b32 s72, s72
	v_mov_b32_e32 v1, 0x7f800001
	s_xor_b32 exec_lo, exec_lo, s72
	s_cbranch_execnz .LBB4_1100
.LBB4_569:                              ;   in Loop: Header=BB4_137 Depth=3
	s_or_b32 exec_lo, exec_lo, s72
	s_and_saveexec_b32 s72, s16
	s_cbranch_execz .LBB4_571
.LBB4_570:                              ;   in Loop: Header=BB4_137 Depth=3
	v_bfe_u32 v1, v11, 16, 2
	v_bfe_u32 v8, v11, 18, 5
	v_lshlrev_b32_e32 v9, 8, v11
	v_ffbh_u32_e32 v4, v1
	v_cmp_eq_u32_e32 vcc_lo, 0, v8
	v_min_u32_e32 v4, 32, v4
	v_subrev_nc_u32_e32 v5, 29, v4
	v_sub_nc_u32_e32 v4, 30, v4
	v_lshlrev_b32_sdwa v5, v5, v11 dst_sel:DWORD dst_unused:UNUSED_PAD src0_sel:DWORD src1_sel:WORD_1
	v_cndmask_b32_e32 v4, v8, v4, vcc_lo
	v_and_b32_e32 v5, 3, v5
	v_lshl_add_u32 v4, v4, 23, 0x37800000
	v_cndmask_b32_e32 v1, v1, v5, vcc_lo
	v_and_b32_e32 v5, 0x80000000, v9
	v_lshlrev_b32_e32 v1, 21, v1
	v_or3_b32 v1, v5, v4, v1
.LBB4_571:                              ;   in Loop: Header=BB4_137 Depth=3
	s_or_b32 exec_lo, exec_lo, s72
	v_mul_f32_e32 v1, s63, v1
	v_mov_b32_e32 v110, 0x80
	s_mov_b32 s72, exec_lo
	v_and_b32_e32 v4, 0x7f800000, v1
	v_cmpx_ne_u32_e32 0x7f800000, v4
	s_cbranch_execz .LBB4_579
; %bb.572:                              ;   in Loop: Header=BB4_137 Depth=3
	v_mov_b32_e32 v110, 0
	s_mov_b32 s73, exec_lo
	v_cmpx_ne_u32_e32 0, v1
	s_cbranch_execz .LBB4_578
; %bb.573:                              ;   in Loop: Header=BB4_137 Depth=3
	v_bfe_u32 v4, v1, 23, 8
	v_and_b32_e32 v5, 0x7fffff, v1
	v_sub_nc_u32_e32 v8, 0x70, v4
	v_cmp_gt_u32_e32 vcc_lo, 0x71, v4
	v_or_b32_e32 v9, 0x800000, v5
	v_cndmask_b32_e32 v8, 0, v8, vcc_lo
	v_cmp_eq_u32_e32 vcc_lo, 0, v4
	v_add_nc_u32_e32 v4, 0xffffff91, v4
	v_cndmask_b32_e64 v8, v8, 0x6f, vcc_lo
	v_cndmask_b32_e32 v5, v9, v5, vcc_lo
	v_cndmask_b32_e64 v4, v4, 0xffffff92, vcc_lo
	v_lshl_add_u32 v9, 0x200000, v8, -1
	v_lshrrev_b32_e32 v10, v8, v5
	v_lshlrev_b32_e64 v15, v8, 0x100000
	v_add_nc_u32_e32 v8, v8, v4
	v_and_b32_e32 v5, v9, v5
	v_bfe_u32 v14, v10, 21, 1
	v_cmp_eq_u32_e64 s16, v5, v15
	v_add_nc_u32_e32 v9, -1, v14
	v_cndmask_b32_e64 v5, 0, v9, s16
	v_lshrrev_b32_e32 v9, 23, v10
	s_mov_b32 s16, exec_lo
	v_add_nc_u32_e32 v5, v5, v10
	v_xor_b32_e32 v9, 1, v9
	v_and_b32_e32 v4, 0x1fffff, v5
	v_add_nc_u32_e32 v5, v4, v10
                                        ; implicit-def: $vgpr4
	v_cmpx_ne_u32_e64 v8, v9
	s_xor_b32 s16, exec_lo, s16
; %bb.574:                              ;   in Loop: Header=BB4_137 Depth=3
	v_cmp_lt_u32_e32 vcc_lo, 0xffffff, v5
	v_sub_nc_u32_e32 v4, v8, v9
	v_cndmask_b32_e64 v8, 0, 1, vcc_lo
	v_add_co_ci_u32_e64 v4, null, 0, v4, vcc_lo
	v_lshrrev_b32_e32 v5, v8, v5
; %bb.575:                              ;   in Loop: Header=BB4_137 Depth=3
	s_andn2_saveexec_b32 s16, s16
; %bb.576:                              ;   in Loop: Header=BB4_137 Depth=3
	v_bfe_u32 v4, v5, 23, 1
; %bb.577:                              ;   in Loop: Header=BB4_137 Depth=3
	s_or_b32 exec_lo, exec_lo, s16
	v_lshrrev_b32_e32 v5, 21, v5
	v_min_i32_e32 v8, 31, v4
	v_cmp_gt_i32_e32 vcc_lo, 32, v4
	v_and_b32_sdwa v1, v1, v101 dst_sel:DWORD dst_unused:UNUSED_PAD src0_sel:BYTE_3 src1_sel:DWORD
	v_lshlrev_b32_e32 v8, 2, v8
	v_cndmask_b32_e32 v5, 3, v5, vcc_lo
	v_and_b32_e32 v8, 0xfc, v8
	v_and_b32_e32 v9, 3, v5
	v_or_b32_e32 v4, v4, v5
	v_or3_b32 v1, v8, v1, v9
	v_cmp_ne_u32_e32 vcc_lo, 0, v4
	v_cndmask_b32_e32 v110, 0, v1, vcc_lo
.LBB4_578:                              ;   in Loop: Header=BB4_137 Depth=3
	s_or_b32 exec_lo, exec_lo, s73
.LBB4_579:                              ;   in Loop: Header=BB4_137 Depth=3
	s_or_b32 exec_lo, exec_lo, s72
	v_cmp_gt_i16_sdwa s72, v11, v100 src0_sel:BYTE_3 src1_sel:DWORD
	s_mov_b32 s16, 0
	s_and_saveexec_b32 s73, s72
	s_xor_b32 s72, exec_lo, s73
	s_cbranch_execz .LBB4_1101
; %bb.580:                              ;   in Loop: Header=BB4_137 Depth=3
	v_cmp_eq_u16_sdwa s74, v11, v101 src0_sel:BYTE_3 src1_sel:DWORD
	s_mov_b32 s16, -1
	s_and_saveexec_b32 s73, s74
; %bb.581:                              ;   in Loop: Header=BB4_137 Depth=3
	s_xor_b32 s16, exec_lo, -1
; %bb.582:                              ;   in Loop: Header=BB4_137 Depth=3
	s_or_b32 exec_lo, exec_lo, s73
	s_and_b32 s16, s16, exec_lo
	s_or_saveexec_b32 s72, s72
	v_mov_b32_e32 v1, 0x7f800001
	s_xor_b32 exec_lo, exec_lo, s72
	s_cbranch_execnz .LBB4_1102
.LBB4_583:                              ;   in Loop: Header=BB4_137 Depth=3
	s_or_b32 exec_lo, exec_lo, s72
	s_and_saveexec_b32 s72, s16
	s_cbranch_execz .LBB4_585
.LBB4_584:                              ;   in Loop: Header=BB4_137 Depth=3
	v_bfe_u32 v1, v11, 24, 2
	v_bfe_u32 v8, v11, 26, 5
	v_ffbh_u32_e32 v4, v1
	v_cmp_eq_u32_e32 vcc_lo, 0, v8
	v_min_u32_e32 v4, 32, v4
	v_subrev_nc_u32_e32 v5, 29, v4
	v_sub_nc_u32_e32 v4, 30, v4
	v_lshlrev_b32_sdwa v5, v5, v11 dst_sel:DWORD dst_unused:UNUSED_PAD src0_sel:DWORD src1_sel:BYTE_3
	v_cndmask_b32_e32 v4, v8, v4, vcc_lo
	v_and_b32_e32 v5, 3, v5
	v_lshl_add_u32 v4, v4, 23, 0x37800000
	v_cndmask_b32_e32 v1, v1, v5, vcc_lo
	v_and_b32_e32 v5, 0x80000000, v11
	v_lshlrev_b32_e32 v1, 21, v1
	v_or3_b32 v1, v5, v4, v1
.LBB4_585:                              ;   in Loop: Header=BB4_137 Depth=3
	s_or_b32 exec_lo, exec_lo, s72
	v_mul_f32_e32 v1, s63, v1
	v_mov_b32_e32 v111, 0x8000
	s_mov_b32 s72, exec_lo
	v_and_b32_e32 v4, 0x7f800000, v1
	v_cmpx_ne_u32_e32 0x7f800000, v4
	s_cbranch_execz .LBB4_593
; %bb.586:                              ;   in Loop: Header=BB4_137 Depth=3
	v_mov_b32_e32 v111, 0
	s_mov_b32 s73, exec_lo
	v_cmpx_ne_u32_e32 0, v1
	s_cbranch_execz .LBB4_592
; %bb.587:                              ;   in Loop: Header=BB4_137 Depth=3
	v_bfe_u32 v4, v1, 23, 8
	v_and_b32_e32 v5, 0x7fffff, v1
	v_sub_nc_u32_e32 v8, 0x70, v4
	v_cmp_gt_u32_e32 vcc_lo, 0x71, v4
	v_or_b32_e32 v9, 0x800000, v5
	v_cndmask_b32_e32 v8, 0, v8, vcc_lo
	v_cmp_eq_u32_e32 vcc_lo, 0, v4
	v_add_nc_u32_e32 v4, 0xffffff91, v4
	v_cndmask_b32_e64 v8, v8, 0x6f, vcc_lo
	v_cndmask_b32_e32 v5, v9, v5, vcc_lo
	v_cndmask_b32_e64 v4, v4, 0xffffff92, vcc_lo
	v_lshl_add_u32 v9, 0x200000, v8, -1
	v_lshrrev_b32_e32 v10, v8, v5
	v_lshlrev_b32_e64 v14, v8, 0x100000
	v_add_nc_u32_e32 v8, v8, v4
	v_and_b32_e32 v5, v9, v5
	v_bfe_u32 v11, v10, 21, 1
	v_cmp_eq_u32_e64 s16, v5, v14
	v_add_nc_u32_e32 v9, -1, v11
	v_cndmask_b32_e64 v5, 0, v9, s16
	v_lshrrev_b32_e32 v9, 23, v10
	s_mov_b32 s16, exec_lo
	v_add_nc_u32_e32 v5, v5, v10
	v_xor_b32_e32 v9, 1, v9
	v_and_b32_e32 v4, 0x1fffff, v5
	v_add_nc_u32_e32 v5, v4, v10
                                        ; implicit-def: $vgpr4
	v_cmpx_ne_u32_e64 v8, v9
	s_xor_b32 s16, exec_lo, s16
; %bb.588:                              ;   in Loop: Header=BB4_137 Depth=3
	v_cmp_lt_u32_e32 vcc_lo, 0xffffff, v5
	v_sub_nc_u32_e32 v4, v8, v9
	v_cndmask_b32_e64 v8, 0, 1, vcc_lo
	v_add_co_ci_u32_e64 v4, null, 0, v4, vcc_lo
	v_lshrrev_b32_e32 v5, v8, v5
; %bb.589:                              ;   in Loop: Header=BB4_137 Depth=3
	s_andn2_saveexec_b32 s16, s16
; %bb.590:                              ;   in Loop: Header=BB4_137 Depth=3
	v_bfe_u32 v4, v5, 23, 1
; %bb.591:                              ;   in Loop: Header=BB4_137 Depth=3
	s_or_b32 exec_lo, exec_lo, s16
	v_lshrrev_b32_e32 v5, 21, v5
	v_min_i32_e32 v8, 31, v4
	v_cmp_gt_i32_e32 vcc_lo, 32, v4
	v_and_b32_sdwa v1, v1, v101 dst_sel:DWORD dst_unused:UNUSED_PAD src0_sel:BYTE_3 src1_sel:DWORD
	v_lshlrev_b32_e32 v8, 2, v8
	v_cndmask_b32_e32 v5, 3, v5, vcc_lo
	v_and_b32_e32 v8, 0xfc, v8
	v_and_b32_e32 v9, 3, v5
	v_or_b32_e32 v4, v4, v5
	v_or3_b32 v1, v1, v8, v9
	v_cmp_ne_u32_e32 vcc_lo, 0, v4
	v_lshlrev_b32_e32 v1, 8, v1
	v_cndmask_b32_e32 v111, 0, v1, vcc_lo
.LBB4_592:                              ;   in Loop: Header=BB4_137 Depth=3
	s_or_b32 exec_lo, exec_lo, s73
.LBB4_593:                              ;   in Loop: Header=BB4_137 Depth=3
	s_or_b32 exec_lo, exec_lo, s72
	global_load_dwordx4 v[8:11], v[68:69], off offset:1024 slc
	s_mov_b32 s16, 0
	s_waitcnt vmcnt(0)
	v_cmp_gt_i16_sdwa s72, v8, v100 src0_sel:BYTE_0 src1_sel:DWORD
	s_and_saveexec_b32 s73, s72
	s_xor_b32 s72, exec_lo, s73
	s_cbranch_execz .LBB4_1103
; %bb.594:                              ;   in Loop: Header=BB4_137 Depth=3
	v_cmp_eq_u16_sdwa s74, v8, v101 src0_sel:BYTE_0 src1_sel:DWORD
	s_mov_b32 s16, -1
	s_and_saveexec_b32 s73, s74
; %bb.595:                              ;   in Loop: Header=BB4_137 Depth=3
	s_xor_b32 s16, exec_lo, -1
; %bb.596:                              ;   in Loop: Header=BB4_137 Depth=3
	s_or_b32 exec_lo, exec_lo, s73
	s_and_b32 s16, s16, exec_lo
	s_or_saveexec_b32 s72, s72
	v_mov_b32_e32 v1, 0x7f800001
	s_xor_b32 exec_lo, exec_lo, s72
	s_cbranch_execnz .LBB4_1104
.LBB4_597:                              ;   in Loop: Header=BB4_137 Depth=3
	s_or_b32 exec_lo, exec_lo, s72
	s_and_saveexec_b32 s72, s16
	s_cbranch_execz .LBB4_599
.LBB4_598:                              ;   in Loop: Header=BB4_137 Depth=3
	v_and_b32_e32 v1, 3, v8
	v_bfe_u32 v14, v8, 2, 5
	v_lshlrev_b32_e32 v15, 24, v8
	v_ffbh_u32_e32 v4, v1
	v_cmp_eq_u32_e32 vcc_lo, 0, v14
	v_min_u32_e32 v4, 32, v4
	v_subrev_nc_u32_e32 v5, 29, v4
	v_sub_nc_u32_e32 v4, 30, v4
	v_lshlrev_b32_e32 v5, v5, v8
	v_cndmask_b32_e32 v4, v14, v4, vcc_lo
	v_and_b32_e32 v5, 3, v5
	v_lshl_add_u32 v4, v4, 23, 0x37800000
	v_cndmask_b32_e32 v1, v1, v5, vcc_lo
	v_and_b32_e32 v5, 0x80000000, v15
	v_lshlrev_b32_e32 v1, 21, v1
	v_or3_b32 v1, v5, v4, v1
.LBB4_599:                              ;   in Loop: Header=BB4_137 Depth=3
	s_or_b32 exec_lo, exec_lo, s72
	v_mul_f32_e32 v1, s63, v1
	v_mov_b32_e32 v120, 0x80
	s_mov_b32 s72, exec_lo
	v_and_b32_e32 v4, 0x7f800000, v1
	v_cmpx_ne_u32_e32 0x7f800000, v4
	s_cbranch_execz .LBB4_607
; %bb.600:                              ;   in Loop: Header=BB4_137 Depth=3
	v_mov_b32_e32 v120, 0
	s_mov_b32 s73, exec_lo
	v_cmpx_ne_u32_e32 0, v1
	s_cbranch_execz .LBB4_606
; %bb.601:                              ;   in Loop: Header=BB4_137 Depth=3
	v_bfe_u32 v5, v1, 23, 8
	v_and_b32_e32 v4, 0x7fffff, v1
	v_cmp_gt_u32_e64 s16, 0x71, v5
	v_sub_nc_u32_e32 v14, 0x70, v5
	v_cmp_eq_u32_e32 vcc_lo, 0, v5
	v_or_b32_e32 v15, 0x800000, v4
	v_cndmask_b32_e64 v14, 0, v14, s16
	v_cndmask_b32_e32 v4, v15, v4, vcc_lo
	v_cndmask_b32_e64 v14, v14, 0x6f, vcc_lo
	v_lshl_add_u32 v15, 0x200000, v14, -1
	v_lshlrev_b32_e64 v16, v14, 0x100000
	v_and_b32_e32 v15, v15, v4
	v_cmp_eq_u32_e64 s16, v15, v16
	v_lshrrev_b32_e32 v15, v14, v4
	v_add_nc_u32_e32 v4, 0xffffff91, v5
	v_lshrrev_b32_e32 v5, 23, v15
	v_cndmask_b32_e64 v4, v4, 0xffffff92, vcc_lo
	v_xor_b32_e32 v5, 1, v5
	v_add_nc_u32_e32 v4, v14, v4
	v_bfe_u32 v14, v15, 21, 1
	v_add_nc_u32_e32 v14, -1, v14
	v_cndmask_b32_e64 v14, 0, v14, s16
	s_mov_b32 s16, exec_lo
	v_add_nc_u32_e32 v14, v14, v15
	v_and_b32_e32 v14, 0x1fffff, v14
	v_add_nc_u32_e32 v15, v14, v15
                                        ; implicit-def: $vgpr14
	v_cmpx_ne_u32_e64 v4, v5
	s_xor_b32 s16, exec_lo, s16
; %bb.602:                              ;   in Loop: Header=BB4_137 Depth=3
	v_cmp_lt_u32_e32 vcc_lo, 0xffffff, v15
	v_sub_nc_u32_e32 v4, v4, v5
	v_cndmask_b32_e64 v5, 0, 1, vcc_lo
	v_add_co_ci_u32_e64 v14, null, 0, v4, vcc_lo
	v_lshrrev_b32_e32 v15, v5, v15
; %bb.603:                              ;   in Loop: Header=BB4_137 Depth=3
	s_andn2_saveexec_b32 s16, s16
; %bb.604:                              ;   in Loop: Header=BB4_137 Depth=3
	v_bfe_u32 v14, v15, 23, 1
; %bb.605:                              ;   in Loop: Header=BB4_137 Depth=3
	s_or_b32 exec_lo, exec_lo, s16
	v_lshrrev_b32_e32 v4, 21, v15
	v_min_i32_e32 v5, 31, v14
	v_cmp_gt_i32_e32 vcc_lo, 32, v14
	v_and_b32_sdwa v1, v1, v101 dst_sel:DWORD dst_unused:UNUSED_PAD src0_sel:BYTE_3 src1_sel:DWORD
	v_lshlrev_b32_e32 v5, 2, v5
	v_cndmask_b32_e32 v4, 3, v4, vcc_lo
	v_and_b32_e32 v5, 0xfc, v5
	v_and_b32_e32 v15, 3, v4
	v_or_b32_e32 v4, v14, v4
	v_or3_b32 v1, v5, v1, v15
	v_cmp_ne_u32_e32 vcc_lo, 0, v4
	v_cndmask_b32_e32 v120, 0, v1, vcc_lo
.LBB4_606:                              ;   in Loop: Header=BB4_137 Depth=3
	s_or_b32 exec_lo, exec_lo, s73
.LBB4_607:                              ;   in Loop: Header=BB4_137 Depth=3
	s_or_b32 exec_lo, exec_lo, s72
	v_cmp_gt_i16_sdwa s72, v8, v100 src0_sel:BYTE_1 src1_sel:DWORD
	s_mov_b32 s16, 0
	s_and_saveexec_b32 s73, s72
	s_xor_b32 s72, exec_lo, s73
	s_cbranch_execz .LBB4_1105
; %bb.608:                              ;   in Loop: Header=BB4_137 Depth=3
	v_cmp_eq_u16_sdwa s74, v8, v101 src0_sel:BYTE_1 src1_sel:DWORD
	s_mov_b32 s16, -1
	s_and_saveexec_b32 s73, s74
; %bb.609:                              ;   in Loop: Header=BB4_137 Depth=3
	s_xor_b32 s16, exec_lo, -1
; %bb.610:                              ;   in Loop: Header=BB4_137 Depth=3
	s_or_b32 exec_lo, exec_lo, s73
	s_and_b32 s16, s16, exec_lo
	s_or_saveexec_b32 s72, s72
	v_mov_b32_e32 v1, 0x7f800001
	s_xor_b32 exec_lo, exec_lo, s72
	s_cbranch_execnz .LBB4_1106
.LBB4_611:                              ;   in Loop: Header=BB4_137 Depth=3
	s_or_b32 exec_lo, exec_lo, s72
	s_and_saveexec_b32 s72, s16
	s_cbranch_execz .LBB4_613
.LBB4_612:                              ;   in Loop: Header=BB4_137 Depth=3
	v_and_b32_sdwa v1, v102, v8 dst_sel:DWORD dst_unused:UNUSED_PAD src0_sel:DWORD src1_sel:BYTE_1
	v_and_b32_e32 v4, 3, v1
	v_bfe_u32 v15, v1, 2, 5
	v_ffbh_u32_e32 v5, v4
	v_cmp_eq_u32_e32 vcc_lo, 0, v15
	v_min_u32_e32 v5, 32, v5
	v_subrev_nc_u32_e32 v14, 29, v5
	v_sub_nc_u32_e32 v5, 30, v5
	v_lshlrev_b32_e32 v1, v14, v1
	v_lshlrev_b32_sdwa v14, v103, v8 dst_sel:DWORD dst_unused:UNUSED_PAD src0_sel:DWORD src1_sel:BYTE_1
	v_cndmask_b32_e32 v5, v15, v5, vcc_lo
	v_and_b32_e32 v1, 3, v1
	v_lshl_add_u32 v5, v5, 23, 0x37800000
	v_cndmask_b32_e32 v1, v4, v1, vcc_lo
	v_and_b32_e32 v4, 0x80000000, v14
	v_lshlrev_b32_e32 v1, 21, v1
	v_or3_b32 v1, v4, v5, v1
.LBB4_613:                              ;   in Loop: Header=BB4_137 Depth=3
	s_or_b32 exec_lo, exec_lo, s72
	v_mul_f32_e32 v1, s63, v1
	v_mov_b32_e32 v121, 0x8000
	s_mov_b32 s72, exec_lo
	v_and_b32_e32 v4, 0x7f800000, v1
	v_cmpx_ne_u32_e32 0x7f800000, v4
	s_cbranch_execz .LBB4_621
; %bb.614:                              ;   in Loop: Header=BB4_137 Depth=3
	v_mov_b32_e32 v121, 0
	s_mov_b32 s73, exec_lo
	v_cmpx_ne_u32_e32 0, v1
	s_cbranch_execz .LBB4_620
; %bb.615:                              ;   in Loop: Header=BB4_137 Depth=3
	v_bfe_u32 v5, v1, 23, 8
	v_and_b32_e32 v4, 0x7fffff, v1
	v_cmp_gt_u32_e64 s16, 0x71, v5
	v_sub_nc_u32_e32 v14, 0x70, v5
	v_cmp_eq_u32_e32 vcc_lo, 0, v5
	v_or_b32_e32 v15, 0x800000, v4
	v_cndmask_b32_e64 v14, 0, v14, s16
	v_cndmask_b32_e32 v4, v15, v4, vcc_lo
	v_cndmask_b32_e64 v14, v14, 0x6f, vcc_lo
	v_lshl_add_u32 v15, 0x200000, v14, -1
	v_lshlrev_b32_e64 v16, v14, 0x100000
	v_and_b32_e32 v15, v15, v4
	v_cmp_eq_u32_e64 s16, v15, v16
	v_lshrrev_b32_e32 v15, v14, v4
	v_add_nc_u32_e32 v4, 0xffffff91, v5
	v_lshrrev_b32_e32 v5, 23, v15
	v_cndmask_b32_e64 v4, v4, 0xffffff92, vcc_lo
	v_xor_b32_e32 v5, 1, v5
	v_add_nc_u32_e32 v4, v14, v4
	v_bfe_u32 v14, v15, 21, 1
	v_add_nc_u32_e32 v14, -1, v14
	v_cndmask_b32_e64 v14, 0, v14, s16
	s_mov_b32 s16, exec_lo
	v_add_nc_u32_e32 v14, v14, v15
	v_and_b32_e32 v14, 0x1fffff, v14
	v_add_nc_u32_e32 v15, v14, v15
                                        ; implicit-def: $vgpr14
	v_cmpx_ne_u32_e64 v4, v5
	s_xor_b32 s16, exec_lo, s16
; %bb.616:                              ;   in Loop: Header=BB4_137 Depth=3
	v_cmp_lt_u32_e32 vcc_lo, 0xffffff, v15
	v_sub_nc_u32_e32 v4, v4, v5
	v_cndmask_b32_e64 v5, 0, 1, vcc_lo
	v_add_co_ci_u32_e64 v14, null, 0, v4, vcc_lo
	v_lshrrev_b32_e32 v15, v5, v15
; %bb.617:                              ;   in Loop: Header=BB4_137 Depth=3
	s_andn2_saveexec_b32 s16, s16
; %bb.618:                              ;   in Loop: Header=BB4_137 Depth=3
	v_bfe_u32 v14, v15, 23, 1
; %bb.619:                              ;   in Loop: Header=BB4_137 Depth=3
	s_or_b32 exec_lo, exec_lo, s16
	v_lshrrev_b32_e32 v4, 21, v15
	v_min_i32_e32 v5, 31, v14
	v_cmp_gt_i32_e32 vcc_lo, 32, v14
	v_and_b32_sdwa v1, v1, v101 dst_sel:DWORD dst_unused:UNUSED_PAD src0_sel:BYTE_3 src1_sel:DWORD
	v_lshlrev_b32_e32 v5, 2, v5
	v_cndmask_b32_e32 v4, 3, v4, vcc_lo
	v_and_b32_e32 v5, 0xfc, v5
	v_and_b32_e32 v15, 3, v4
	v_or_b32_e32 v4, v14, v4
	v_or3_b32 v1, v1, v5, v15
	v_cmp_ne_u32_e32 vcc_lo, 0, v4
	v_lshlrev_b32_e32 v1, 8, v1
	v_cndmask_b32_e32 v121, 0, v1, vcc_lo
.LBB4_620:                              ;   in Loop: Header=BB4_137 Depth=3
	s_or_b32 exec_lo, exec_lo, s73
.LBB4_621:                              ;   in Loop: Header=BB4_137 Depth=3
	s_or_b32 exec_lo, exec_lo, s72
	v_and_b32_sdwa v4, v8, v112 dst_sel:DWORD dst_unused:UNUSED_PAD src0_sel:WORD_1 src1_sel:DWORD
	s_mov_b32 s16, 0
	s_mov_b32 s72, exec_lo
	v_cmpx_lt_i16_e32 0x7f, v4
	s_xor_b32 s72, exec_lo, s72
	s_cbranch_execz .LBB4_1107
; %bb.622:                              ;   in Loop: Header=BB4_137 Depth=3
	s_mov_b32 s16, -1
	s_mov_b32 s73, exec_lo
	v_cmpx_eq_u16_e32 0x80, v4
; %bb.623:                              ;   in Loop: Header=BB4_137 Depth=3
	s_xor_b32 s16, exec_lo, -1
; %bb.624:                              ;   in Loop: Header=BB4_137 Depth=3
	s_or_b32 exec_lo, exec_lo, s73
	s_and_b32 s16, s16, exec_lo
                                        ; implicit-def: $vgpr4
	s_or_saveexec_b32 s72, s72
	v_mov_b32_e32 v1, 0x7f800001
	s_xor_b32 exec_lo, exec_lo, s72
	s_cbranch_execnz .LBB4_1108
.LBB4_625:                              ;   in Loop: Header=BB4_137 Depth=3
	s_or_b32 exec_lo, exec_lo, s72
	s_and_saveexec_b32 s72, s16
	s_cbranch_execz .LBB4_627
.LBB4_626:                              ;   in Loop: Header=BB4_137 Depth=3
	v_bfe_u32 v1, v8, 16, 2
	v_bfe_u32 v14, v8, 18, 5
	v_lshlrev_b32_e32 v15, 8, v8
	v_ffbh_u32_e32 v4, v1
	v_cmp_eq_u32_e32 vcc_lo, 0, v14
	v_min_u32_e32 v4, 32, v4
	v_subrev_nc_u32_e32 v5, 29, v4
	v_sub_nc_u32_e32 v4, 30, v4
	v_lshlrev_b32_sdwa v5, v5, v8 dst_sel:DWORD dst_unused:UNUSED_PAD src0_sel:DWORD src1_sel:WORD_1
	v_cndmask_b32_e32 v4, v14, v4, vcc_lo
	v_and_b32_e32 v5, 3, v5
	v_lshl_add_u32 v4, v4, 23, 0x37800000
	v_cndmask_b32_e32 v1, v1, v5, vcc_lo
	v_and_b32_e32 v5, 0x80000000, v15
	v_lshlrev_b32_e32 v1, 21, v1
	v_or3_b32 v1, v5, v4, v1
.LBB4_627:                              ;   in Loop: Header=BB4_137 Depth=3
	s_or_b32 exec_lo, exec_lo, s72
	v_mul_f32_e32 v1, s63, v1
	v_mov_b32_e32 v122, 0x80
	s_mov_b32 s72, exec_lo
	v_and_b32_e32 v4, 0x7f800000, v1
	v_cmpx_ne_u32_e32 0x7f800000, v4
	s_cbranch_execz .LBB4_635
; %bb.628:                              ;   in Loop: Header=BB4_137 Depth=3
	v_mov_b32_e32 v122, 0
	s_mov_b32 s73, exec_lo
	v_cmpx_ne_u32_e32 0, v1
	s_cbranch_execz .LBB4_634
; %bb.629:                              ;   in Loop: Header=BB4_137 Depth=3
	v_bfe_u32 v5, v1, 23, 8
	v_and_b32_e32 v4, 0x7fffff, v1
	v_cmp_gt_u32_e64 s16, 0x71, v5
	v_sub_nc_u32_e32 v14, 0x70, v5
	v_cmp_eq_u32_e32 vcc_lo, 0, v5
	v_or_b32_e32 v15, 0x800000, v4
	v_cndmask_b32_e64 v14, 0, v14, s16
	v_cndmask_b32_e32 v4, v15, v4, vcc_lo
	v_cndmask_b32_e64 v14, v14, 0x6f, vcc_lo
	v_lshl_add_u32 v15, 0x200000, v14, -1
	v_lshlrev_b32_e64 v16, v14, 0x100000
	v_and_b32_e32 v15, v15, v4
	v_cmp_eq_u32_e64 s16, v15, v16
	v_lshrrev_b32_e32 v15, v14, v4
	v_add_nc_u32_e32 v4, 0xffffff91, v5
	v_lshrrev_b32_e32 v5, 23, v15
	v_cndmask_b32_e64 v4, v4, 0xffffff92, vcc_lo
	v_xor_b32_e32 v5, 1, v5
	v_add_nc_u32_e32 v4, v14, v4
	v_bfe_u32 v14, v15, 21, 1
	v_add_nc_u32_e32 v14, -1, v14
	v_cndmask_b32_e64 v14, 0, v14, s16
	s_mov_b32 s16, exec_lo
	v_add_nc_u32_e32 v14, v14, v15
	v_and_b32_e32 v14, 0x1fffff, v14
	v_add_nc_u32_e32 v15, v14, v15
                                        ; implicit-def: $vgpr14
	v_cmpx_ne_u32_e64 v4, v5
	s_xor_b32 s16, exec_lo, s16
; %bb.630:                              ;   in Loop: Header=BB4_137 Depth=3
	v_cmp_lt_u32_e32 vcc_lo, 0xffffff, v15
	v_sub_nc_u32_e32 v4, v4, v5
	v_cndmask_b32_e64 v5, 0, 1, vcc_lo
	v_add_co_ci_u32_e64 v14, null, 0, v4, vcc_lo
	v_lshrrev_b32_e32 v15, v5, v15
; %bb.631:                              ;   in Loop: Header=BB4_137 Depth=3
	s_andn2_saveexec_b32 s16, s16
; %bb.632:                              ;   in Loop: Header=BB4_137 Depth=3
	v_bfe_u32 v14, v15, 23, 1
; %bb.633:                              ;   in Loop: Header=BB4_137 Depth=3
	s_or_b32 exec_lo, exec_lo, s16
	v_lshrrev_b32_e32 v4, 21, v15
	v_min_i32_e32 v5, 31, v14
	v_cmp_gt_i32_e32 vcc_lo, 32, v14
	v_and_b32_sdwa v1, v1, v101 dst_sel:DWORD dst_unused:UNUSED_PAD src0_sel:BYTE_3 src1_sel:DWORD
	v_lshlrev_b32_e32 v5, 2, v5
	v_cndmask_b32_e32 v4, 3, v4, vcc_lo
	v_and_b32_e32 v5, 0xfc, v5
	v_and_b32_e32 v15, 3, v4
	v_or_b32_e32 v4, v14, v4
	v_or3_b32 v1, v5, v1, v15
	v_cmp_ne_u32_e32 vcc_lo, 0, v4
	v_cndmask_b32_e32 v122, 0, v1, vcc_lo
.LBB4_634:                              ;   in Loop: Header=BB4_137 Depth=3
	s_or_b32 exec_lo, exec_lo, s73
.LBB4_635:                              ;   in Loop: Header=BB4_137 Depth=3
	s_or_b32 exec_lo, exec_lo, s72
	v_cmp_gt_i16_sdwa s72, v8, v100 src0_sel:BYTE_3 src1_sel:DWORD
	s_mov_b32 s16, 0
	s_and_saveexec_b32 s73, s72
	s_xor_b32 s72, exec_lo, s73
	s_cbranch_execz .LBB4_1109
; %bb.636:                              ;   in Loop: Header=BB4_137 Depth=3
	v_cmp_eq_u16_sdwa s74, v8, v101 src0_sel:BYTE_3 src1_sel:DWORD
	s_mov_b32 s16, -1
	s_and_saveexec_b32 s73, s74
; %bb.637:                              ;   in Loop: Header=BB4_137 Depth=3
	s_xor_b32 s16, exec_lo, -1
; %bb.638:                              ;   in Loop: Header=BB4_137 Depth=3
	s_or_b32 exec_lo, exec_lo, s73
	s_and_b32 s16, s16, exec_lo
	s_or_saveexec_b32 s72, s72
	v_mov_b32_e32 v1, 0x7f800001
	s_xor_b32 exec_lo, exec_lo, s72
	s_cbranch_execnz .LBB4_1110
.LBB4_639:                              ;   in Loop: Header=BB4_137 Depth=3
	s_or_b32 exec_lo, exec_lo, s72
	s_and_saveexec_b32 s72, s16
	s_cbranch_execz .LBB4_641
.LBB4_640:                              ;   in Loop: Header=BB4_137 Depth=3
	v_bfe_u32 v1, v8, 24, 2
	v_bfe_u32 v14, v8, 26, 5
	v_ffbh_u32_e32 v4, v1
	v_cmp_eq_u32_e32 vcc_lo, 0, v14
	v_min_u32_e32 v4, 32, v4
	v_subrev_nc_u32_e32 v5, 29, v4
	v_sub_nc_u32_e32 v4, 30, v4
	v_lshlrev_b32_sdwa v5, v5, v8 dst_sel:DWORD dst_unused:UNUSED_PAD src0_sel:DWORD src1_sel:BYTE_3
	v_cndmask_b32_e32 v4, v14, v4, vcc_lo
	v_and_b32_e32 v5, 3, v5
	v_lshl_add_u32 v4, v4, 23, 0x37800000
	v_cndmask_b32_e32 v1, v1, v5, vcc_lo
	v_and_b32_e32 v5, 0x80000000, v8
	v_lshlrev_b32_e32 v1, 21, v1
	v_or3_b32 v1, v5, v4, v1
.LBB4_641:                              ;   in Loop: Header=BB4_137 Depth=3
	s_or_b32 exec_lo, exec_lo, s72
	v_mul_f32_e32 v1, s63, v1
	v_mov_b32_e32 v123, 0x8000
	s_mov_b32 s72, exec_lo
	v_and_b32_e32 v4, 0x7f800000, v1
	v_cmpx_ne_u32_e32 0x7f800000, v4
	s_cbranch_execz .LBB4_649
; %bb.642:                              ;   in Loop: Header=BB4_137 Depth=3
	v_mov_b32_e32 v123, 0
	s_mov_b32 s73, exec_lo
	v_cmpx_ne_u32_e32 0, v1
	s_cbranch_execz .LBB4_648
; %bb.643:                              ;   in Loop: Header=BB4_137 Depth=3
	v_bfe_u32 v5, v1, 23, 8
	v_and_b32_e32 v4, 0x7fffff, v1
	v_cmp_gt_u32_e64 s16, 0x71, v5
	v_sub_nc_u32_e32 v8, 0x70, v5
	v_cmp_eq_u32_e32 vcc_lo, 0, v5
	v_or_b32_e32 v14, 0x800000, v4
	v_cndmask_b32_e64 v8, 0, v8, s16
	v_cndmask_b32_e32 v4, v14, v4, vcc_lo
	v_cndmask_b32_e64 v8, v8, 0x6f, vcc_lo
	v_lshl_add_u32 v14, 0x200000, v8, -1
	v_lshlrev_b32_e64 v15, v8, 0x100000
	v_and_b32_e32 v14, v14, v4
	v_cmp_eq_u32_e64 s16, v14, v15
	v_lshrrev_b32_e32 v14, v8, v4
	v_add_nc_u32_e32 v4, 0xffffff91, v5
	v_lshrrev_b32_e32 v5, 23, v14
	v_cndmask_b32_e64 v4, v4, 0xffffff92, vcc_lo
	v_xor_b32_e32 v5, 1, v5
	v_add_nc_u32_e32 v4, v8, v4
	v_bfe_u32 v8, v14, 21, 1
	v_add_nc_u32_e32 v8, -1, v8
	v_cndmask_b32_e64 v8, 0, v8, s16
	s_mov_b32 s16, exec_lo
	v_add_nc_u32_e32 v8, v8, v14
	v_and_b32_e32 v8, 0x1fffff, v8
	v_add_nc_u32_e32 v14, v8, v14
                                        ; implicit-def: $vgpr8
	v_cmpx_ne_u32_e64 v4, v5
	s_xor_b32 s16, exec_lo, s16
; %bb.644:                              ;   in Loop: Header=BB4_137 Depth=3
	v_cmp_lt_u32_e32 vcc_lo, 0xffffff, v14
	v_sub_nc_u32_e32 v4, v4, v5
	v_cndmask_b32_e64 v5, 0, 1, vcc_lo
	v_add_co_ci_u32_e64 v8, null, 0, v4, vcc_lo
	v_lshrrev_b32_e32 v14, v5, v14
; %bb.645:                              ;   in Loop: Header=BB4_137 Depth=3
	s_andn2_saveexec_b32 s16, s16
; %bb.646:                              ;   in Loop: Header=BB4_137 Depth=3
	v_bfe_u32 v8, v14, 23, 1
; %bb.647:                              ;   in Loop: Header=BB4_137 Depth=3
	s_or_b32 exec_lo, exec_lo, s16
	v_lshrrev_b32_e32 v4, 21, v14
	v_min_i32_e32 v5, 31, v8
	v_cmp_gt_i32_e32 vcc_lo, 32, v8
	v_and_b32_sdwa v1, v1, v101 dst_sel:DWORD dst_unused:UNUSED_PAD src0_sel:BYTE_3 src1_sel:DWORD
	v_lshlrev_b32_e32 v5, 2, v5
	v_cndmask_b32_e32 v4, 3, v4, vcc_lo
	v_and_b32_e32 v5, 0xfc, v5
	v_and_b32_e32 v14, 3, v4
	v_or_b32_e32 v4, v8, v4
	v_or3_b32 v1, v1, v5, v14
	v_cmp_ne_u32_e32 vcc_lo, 0, v4
	v_lshlrev_b32_e32 v1, 8, v1
	v_cndmask_b32_e32 v123, 0, v1, vcc_lo
.LBB4_648:                              ;   in Loop: Header=BB4_137 Depth=3
	s_or_b32 exec_lo, exec_lo, s73
.LBB4_649:                              ;   in Loop: Header=BB4_137 Depth=3
	s_or_b32 exec_lo, exec_lo, s72
	v_cmp_gt_i16_sdwa s16, v9, v100 src0_sel:BYTE_0 src1_sel:DWORD
	s_mov_b32 s72, 0
	s_and_saveexec_b32 s73, s16
	s_xor_b32 s16, exec_lo, s73
	s_cbranch_execz .LBB4_1111
; %bb.650:                              ;   in Loop: Header=BB4_137 Depth=3
	v_cmp_eq_u16_sdwa s74, v9, v101 src0_sel:BYTE_0 src1_sel:DWORD
	s_mov_b32 s72, -1
	s_and_saveexec_b32 s73, s74
; %bb.651:                              ;   in Loop: Header=BB4_137 Depth=3
	s_xor_b32 s72, exec_lo, -1
; %bb.652:                              ;   in Loop: Header=BB4_137 Depth=3
	s_or_b32 exec_lo, exec_lo, s73
	s_and_b32 s72, s72, exec_lo
	s_or_saveexec_b32 s16, s16
	v_mov_b32_e32 v1, 0x7f800001
	s_xor_b32 exec_lo, exec_lo, s16
	s_cbranch_execnz .LBB4_1112
.LBB4_653:                              ;   in Loop: Header=BB4_137 Depth=3
	s_or_b32 exec_lo, exec_lo, s16
	s_and_saveexec_b32 s16, s72
	s_cbranch_execz .LBB4_655
.LBB4_654:                              ;   in Loop: Header=BB4_137 Depth=3
	v_and_b32_e32 v1, 3, v9
	v_bfe_u32 v4, v9, 2, 5
	v_ffbh_u32_e32 v5, v1
	v_cmp_eq_u32_e32 vcc_lo, 0, v4
	v_min_u32_e32 v5, 32, v5
	v_subrev_nc_u32_e32 v8, 29, v5
	v_sub_nc_u32_e32 v5, 30, v5
	v_lshlrev_b32_e32 v8, v8, v9
	v_cndmask_b32_e32 v4, v4, v5, vcc_lo
	v_lshlrev_b32_e32 v5, 24, v9
	v_and_b32_e32 v8, 3, v8
	v_lshl_add_u32 v4, v4, 23, 0x37800000
	v_and_b32_e32 v5, 0x80000000, v5
	v_cndmask_b32_e32 v1, v1, v8, vcc_lo
	v_lshlrev_b32_e32 v1, 21, v1
	v_or3_b32 v1, v5, v4, v1
.LBB4_655:                              ;   in Loop: Header=BB4_137 Depth=3
	s_or_b32 exec_lo, exec_lo, s16
	v_mul_f32_e32 v1, s63, v1
	v_mov_b32_e32 v124, 0x80
	s_mov_b32 s72, exec_lo
	v_and_b32_e32 v4, 0x7f800000, v1
	v_cmpx_ne_u32_e32 0x7f800000, v4
	s_cbranch_execz .LBB4_663
; %bb.656:                              ;   in Loop: Header=BB4_137 Depth=3
	v_mov_b32_e32 v124, 0
	s_mov_b32 s73, exec_lo
	v_cmpx_ne_u32_e32 0, v1
	s_cbranch_execz .LBB4_662
; %bb.657:                              ;   in Loop: Header=BB4_137 Depth=3
	v_bfe_u32 v5, v1, 23, 8
	v_and_b32_e32 v4, 0x7fffff, v1
	v_cmp_gt_u32_e64 s16, 0x71, v5
	v_sub_nc_u32_e32 v8, 0x70, v5
	v_cmp_eq_u32_e32 vcc_lo, 0, v5
	v_or_b32_e32 v14, 0x800000, v4
	v_cndmask_b32_e64 v8, 0, v8, s16
	v_cndmask_b32_e32 v4, v14, v4, vcc_lo
	v_cndmask_b32_e64 v8, v8, 0x6f, vcc_lo
	v_lshl_add_u32 v14, 0x200000, v8, -1
	v_lshlrev_b32_e64 v15, v8, 0x100000
	v_and_b32_e32 v14, v14, v4
	v_cmp_eq_u32_e64 s16, v14, v15
	v_lshrrev_b32_e32 v14, v8, v4
	v_add_nc_u32_e32 v4, 0xffffff91, v5
	v_lshrrev_b32_e32 v5, 23, v14
	v_cndmask_b32_e64 v4, v4, 0xffffff92, vcc_lo
	v_xor_b32_e32 v5, 1, v5
	v_add_nc_u32_e32 v4, v8, v4
	v_bfe_u32 v8, v14, 21, 1
	v_add_nc_u32_e32 v8, -1, v8
	v_cndmask_b32_e64 v8, 0, v8, s16
	s_mov_b32 s16, exec_lo
	v_add_nc_u32_e32 v8, v8, v14
	v_and_b32_e32 v8, 0x1fffff, v8
	v_add_nc_u32_e32 v8, v8, v14
                                        ; implicit-def: $vgpr14
	v_cmpx_ne_u32_e64 v4, v5
	s_xor_b32 s16, exec_lo, s16
; %bb.658:                              ;   in Loop: Header=BB4_137 Depth=3
	v_cmp_lt_u32_e32 vcc_lo, 0xffffff, v8
	v_sub_nc_u32_e32 v4, v4, v5
	v_cndmask_b32_e64 v5, 0, 1, vcc_lo
	v_add_co_ci_u32_e64 v14, null, 0, v4, vcc_lo
	v_lshrrev_b32_e32 v8, v5, v8
; %bb.659:                              ;   in Loop: Header=BB4_137 Depth=3
	s_andn2_saveexec_b32 s16, s16
; %bb.660:                              ;   in Loop: Header=BB4_137 Depth=3
	v_bfe_u32 v14, v8, 23, 1
; %bb.661:                              ;   in Loop: Header=BB4_137 Depth=3
	s_or_b32 exec_lo, exec_lo, s16
	v_lshrrev_b32_e32 v4, 21, v8
	v_min_i32_e32 v5, 31, v14
	v_cmp_gt_i32_e32 vcc_lo, 32, v14
	v_and_b32_sdwa v1, v1, v101 dst_sel:DWORD dst_unused:UNUSED_PAD src0_sel:BYTE_3 src1_sel:DWORD
	v_lshlrev_b32_e32 v5, 2, v5
	v_cndmask_b32_e32 v4, 3, v4, vcc_lo
	v_and_b32_e32 v5, 0xfc, v5
	v_or_b32_e32 v8, v14, v4
	v_and_b32_e32 v4, 3, v4
	v_cmp_ne_u32_e32 vcc_lo, 0, v8
	v_or3_b32 v1, v5, v1, v4
	v_cndmask_b32_e32 v124, 0, v1, vcc_lo
.LBB4_662:                              ;   in Loop: Header=BB4_137 Depth=3
	s_or_b32 exec_lo, exec_lo, s73
.LBB4_663:                              ;   in Loop: Header=BB4_137 Depth=3
	s_or_b32 exec_lo, exec_lo, s72
	v_cmp_gt_i16_sdwa s72, v9, v100 src0_sel:BYTE_1 src1_sel:DWORD
	s_mov_b32 s16, 0
	s_and_saveexec_b32 s73, s72
	s_xor_b32 s72, exec_lo, s73
	s_cbranch_execz .LBB4_1113
; %bb.664:                              ;   in Loop: Header=BB4_137 Depth=3
	v_cmp_eq_u16_sdwa s74, v9, v101 src0_sel:BYTE_1 src1_sel:DWORD
	s_mov_b32 s16, -1
	s_and_saveexec_b32 s73, s74
; %bb.665:                              ;   in Loop: Header=BB4_137 Depth=3
	s_xor_b32 s16, exec_lo, -1
; %bb.666:                              ;   in Loop: Header=BB4_137 Depth=3
	s_or_b32 exec_lo, exec_lo, s73
	s_and_b32 s16, s16, exec_lo
	s_or_saveexec_b32 s72, s72
	v_mov_b32_e32 v1, 0x7f800001
	s_xor_b32 exec_lo, exec_lo, s72
	s_cbranch_execnz .LBB4_1114
.LBB4_667:                              ;   in Loop: Header=BB4_137 Depth=3
	s_or_b32 exec_lo, exec_lo, s72
	s_and_saveexec_b32 s72, s16
	s_cbranch_execz .LBB4_669
.LBB4_668:                              ;   in Loop: Header=BB4_137 Depth=3
	v_and_b32_sdwa v1, v102, v9 dst_sel:DWORD dst_unused:UNUSED_PAD src0_sel:DWORD src1_sel:BYTE_1
	v_and_b32_e32 v4, 3, v1
	v_bfe_u32 v14, v1, 2, 5
	v_ffbh_u32_e32 v5, v4
	v_cmp_eq_u32_e32 vcc_lo, 0, v14
	v_min_u32_e32 v5, 32, v5
	v_subrev_nc_u32_e32 v8, 29, v5
	v_sub_nc_u32_e32 v5, 30, v5
	v_lshlrev_b32_e32 v1, v8, v1
	v_lshlrev_b32_sdwa v8, v103, v9 dst_sel:DWORD dst_unused:UNUSED_PAD src0_sel:DWORD src1_sel:BYTE_1
	v_cndmask_b32_e32 v5, v14, v5, vcc_lo
	v_and_b32_e32 v1, 3, v1
	v_lshl_add_u32 v5, v5, 23, 0x37800000
	v_cndmask_b32_e32 v1, v4, v1, vcc_lo
	v_and_b32_e32 v4, 0x80000000, v8
	v_lshlrev_b32_e32 v1, 21, v1
	v_or3_b32 v1, v4, v5, v1
.LBB4_669:                              ;   in Loop: Header=BB4_137 Depth=3
	s_or_b32 exec_lo, exec_lo, s72
	v_mul_f32_e32 v1, s63, v1
	v_mov_b32_e32 v125, 0x8000
	s_mov_b32 s72, exec_lo
	v_and_b32_e32 v4, 0x7f800000, v1
	v_cmpx_ne_u32_e32 0x7f800000, v4
	s_cbranch_execz .LBB4_677
; %bb.670:                              ;   in Loop: Header=BB4_137 Depth=3
	v_mov_b32_e32 v125, 0
	s_mov_b32 s73, exec_lo
	v_cmpx_ne_u32_e32 0, v1
	s_cbranch_execz .LBB4_676
; %bb.671:                              ;   in Loop: Header=BB4_137 Depth=3
	v_bfe_u32 v5, v1, 23, 8
	v_and_b32_e32 v4, 0x7fffff, v1
	v_cmp_gt_u32_e64 s16, 0x71, v5
	v_sub_nc_u32_e32 v8, 0x70, v5
	v_cmp_eq_u32_e32 vcc_lo, 0, v5
	v_or_b32_e32 v14, 0x800000, v4
	v_cndmask_b32_e64 v8, 0, v8, s16
	v_cndmask_b32_e32 v4, v14, v4, vcc_lo
	v_cndmask_b32_e64 v8, v8, 0x6f, vcc_lo
	v_lshl_add_u32 v14, 0x200000, v8, -1
	v_lshlrev_b32_e64 v15, v8, 0x100000
	v_and_b32_e32 v14, v14, v4
	v_cmp_eq_u32_e64 s16, v14, v15
	v_lshrrev_b32_e32 v14, v8, v4
	v_add_nc_u32_e32 v4, 0xffffff91, v5
	v_lshrrev_b32_e32 v5, 23, v14
	v_cndmask_b32_e64 v4, v4, 0xffffff92, vcc_lo
	v_xor_b32_e32 v5, 1, v5
	v_add_nc_u32_e32 v4, v8, v4
	v_bfe_u32 v8, v14, 21, 1
	v_add_nc_u32_e32 v8, -1, v8
	v_cndmask_b32_e64 v8, 0, v8, s16
	s_mov_b32 s16, exec_lo
	v_add_nc_u32_e32 v8, v8, v14
	v_and_b32_e32 v8, 0x1fffff, v8
	v_add_nc_u32_e32 v8, v8, v14
                                        ; implicit-def: $vgpr14
	v_cmpx_ne_u32_e64 v4, v5
	s_xor_b32 s16, exec_lo, s16
; %bb.672:                              ;   in Loop: Header=BB4_137 Depth=3
	v_cmp_lt_u32_e32 vcc_lo, 0xffffff, v8
	v_sub_nc_u32_e32 v4, v4, v5
	v_cndmask_b32_e64 v5, 0, 1, vcc_lo
	v_add_co_ci_u32_e64 v14, null, 0, v4, vcc_lo
	v_lshrrev_b32_e32 v8, v5, v8
; %bb.673:                              ;   in Loop: Header=BB4_137 Depth=3
	s_andn2_saveexec_b32 s16, s16
; %bb.674:                              ;   in Loop: Header=BB4_137 Depth=3
	v_bfe_u32 v14, v8, 23, 1
; %bb.675:                              ;   in Loop: Header=BB4_137 Depth=3
	s_or_b32 exec_lo, exec_lo, s16
	v_lshrrev_b32_e32 v4, 21, v8
	v_min_i32_e32 v5, 31, v14
	v_cmp_gt_i32_e32 vcc_lo, 32, v14
	v_and_b32_sdwa v1, v1, v101 dst_sel:DWORD dst_unused:UNUSED_PAD src0_sel:BYTE_3 src1_sel:DWORD
	v_lshlrev_b32_e32 v5, 2, v5
	v_cndmask_b32_e32 v4, 3, v4, vcc_lo
	v_and_b32_e32 v5, 0xfc, v5
	v_or_b32_e32 v8, v14, v4
	v_and_b32_e32 v4, 3, v4
	v_cmp_ne_u32_e32 vcc_lo, 0, v8
	v_or3_b32 v1, v1, v5, v4
	v_lshlrev_b32_e32 v1, 8, v1
	v_cndmask_b32_e32 v125, 0, v1, vcc_lo
.LBB4_676:                              ;   in Loop: Header=BB4_137 Depth=3
	s_or_b32 exec_lo, exec_lo, s73
.LBB4_677:                              ;   in Loop: Header=BB4_137 Depth=3
	s_or_b32 exec_lo, exec_lo, s72
	v_and_b32_sdwa v4, v9, v112 dst_sel:DWORD dst_unused:UNUSED_PAD src0_sel:WORD_1 src1_sel:DWORD
	s_mov_b32 s72, 0
	s_mov_b32 s16, exec_lo
	v_cmpx_lt_i16_e32 0x7f, v4
	s_xor_b32 s16, exec_lo, s16
	s_cbranch_execz .LBB4_1115
; %bb.678:                              ;   in Loop: Header=BB4_137 Depth=3
	s_mov_b32 s72, -1
	s_mov_b32 s73, exec_lo
	v_cmpx_eq_u16_e32 0x80, v4
; %bb.679:                              ;   in Loop: Header=BB4_137 Depth=3
	s_xor_b32 s72, exec_lo, -1
; %bb.680:                              ;   in Loop: Header=BB4_137 Depth=3
	s_or_b32 exec_lo, exec_lo, s73
	s_and_b32 s72, s72, exec_lo
                                        ; implicit-def: $vgpr4
	s_or_saveexec_b32 s16, s16
	v_mov_b32_e32 v1, 0x7f800001
	s_xor_b32 exec_lo, exec_lo, s16
	s_cbranch_execnz .LBB4_1116
.LBB4_681:                              ;   in Loop: Header=BB4_137 Depth=3
	s_or_b32 exec_lo, exec_lo, s16
	s_and_saveexec_b32 s16, s72
	s_cbranch_execz .LBB4_683
.LBB4_682:                              ;   in Loop: Header=BB4_137 Depth=3
	v_bfe_u32 v1, v9, 16, 2
	v_bfe_u32 v4, v9, 18, 5
	v_ffbh_u32_e32 v5, v1
	v_cmp_eq_u32_e32 vcc_lo, 0, v4
	v_min_u32_e32 v5, 32, v5
	v_subrev_nc_u32_e32 v8, 29, v5
	v_sub_nc_u32_e32 v5, 30, v5
	v_lshlrev_b32_sdwa v8, v8, v9 dst_sel:DWORD dst_unused:UNUSED_PAD src0_sel:DWORD src1_sel:WORD_1
	v_cndmask_b32_e32 v4, v4, v5, vcc_lo
	v_lshlrev_b32_e32 v5, 8, v9
	v_and_b32_e32 v8, 3, v8
	v_lshl_add_u32 v4, v4, 23, 0x37800000
	v_and_b32_e32 v5, 0x80000000, v5
	v_cndmask_b32_e32 v1, v1, v8, vcc_lo
	v_lshlrev_b32_e32 v1, 21, v1
	v_or3_b32 v1, v5, v4, v1
.LBB4_683:                              ;   in Loop: Header=BB4_137 Depth=3
	s_or_b32 exec_lo, exec_lo, s16
	v_mul_f32_e32 v1, s63, v1
	v_mov_b32_e32 v126, 0x80
	s_mov_b32 s72, exec_lo
	v_and_b32_e32 v4, 0x7f800000, v1
	v_cmpx_ne_u32_e32 0x7f800000, v4
	s_cbranch_execz .LBB4_691
; %bb.684:                              ;   in Loop: Header=BB4_137 Depth=3
	v_mov_b32_e32 v126, 0
	s_mov_b32 s73, exec_lo
	v_cmpx_ne_u32_e32 0, v1
	s_cbranch_execz .LBB4_690
; %bb.685:                              ;   in Loop: Header=BB4_137 Depth=3
	v_bfe_u32 v5, v1, 23, 8
	v_and_b32_e32 v4, 0x7fffff, v1
	v_cmp_gt_u32_e64 s16, 0x71, v5
	v_sub_nc_u32_e32 v8, 0x70, v5
	v_cmp_eq_u32_e32 vcc_lo, 0, v5
	v_or_b32_e32 v14, 0x800000, v4
	v_cndmask_b32_e64 v8, 0, v8, s16
	v_cndmask_b32_e32 v4, v14, v4, vcc_lo
	v_cndmask_b32_e64 v8, v8, 0x6f, vcc_lo
	v_lshl_add_u32 v14, 0x200000, v8, -1
	v_lshlrev_b32_e64 v15, v8, 0x100000
	v_and_b32_e32 v14, v14, v4
	v_cmp_eq_u32_e64 s16, v14, v15
	v_lshrrev_b32_e32 v14, v8, v4
	v_add_nc_u32_e32 v4, 0xffffff91, v5
	v_lshrrev_b32_e32 v5, 23, v14
	v_cndmask_b32_e64 v4, v4, 0xffffff92, vcc_lo
	v_xor_b32_e32 v5, 1, v5
	v_add_nc_u32_e32 v4, v8, v4
	v_bfe_u32 v8, v14, 21, 1
	v_add_nc_u32_e32 v8, -1, v8
	v_cndmask_b32_e64 v8, 0, v8, s16
	s_mov_b32 s16, exec_lo
	v_add_nc_u32_e32 v8, v8, v14
	v_and_b32_e32 v8, 0x1fffff, v8
	v_add_nc_u32_e32 v8, v8, v14
                                        ; implicit-def: $vgpr14
	v_cmpx_ne_u32_e64 v4, v5
	s_xor_b32 s16, exec_lo, s16
; %bb.686:                              ;   in Loop: Header=BB4_137 Depth=3
	v_cmp_lt_u32_e32 vcc_lo, 0xffffff, v8
	v_sub_nc_u32_e32 v4, v4, v5
	v_cndmask_b32_e64 v5, 0, 1, vcc_lo
	v_add_co_ci_u32_e64 v14, null, 0, v4, vcc_lo
	v_lshrrev_b32_e32 v8, v5, v8
; %bb.687:                              ;   in Loop: Header=BB4_137 Depth=3
	s_andn2_saveexec_b32 s16, s16
; %bb.688:                              ;   in Loop: Header=BB4_137 Depth=3
	v_bfe_u32 v14, v8, 23, 1
; %bb.689:                              ;   in Loop: Header=BB4_137 Depth=3
	s_or_b32 exec_lo, exec_lo, s16
	v_lshrrev_b32_e32 v4, 21, v8
	v_min_i32_e32 v5, 31, v14
	v_cmp_gt_i32_e32 vcc_lo, 32, v14
	v_and_b32_sdwa v1, v1, v101 dst_sel:DWORD dst_unused:UNUSED_PAD src0_sel:BYTE_3 src1_sel:DWORD
	v_lshlrev_b32_e32 v5, 2, v5
	v_cndmask_b32_e32 v4, 3, v4, vcc_lo
	v_and_b32_e32 v5, 0xfc, v5
	v_or_b32_e32 v8, v14, v4
	v_and_b32_e32 v4, 3, v4
	v_cmp_ne_u32_e32 vcc_lo, 0, v8
	v_or3_b32 v1, v5, v1, v4
	v_cndmask_b32_e32 v126, 0, v1, vcc_lo
.LBB4_690:                              ;   in Loop: Header=BB4_137 Depth=3
	s_or_b32 exec_lo, exec_lo, s73
.LBB4_691:                              ;   in Loop: Header=BB4_137 Depth=3
	s_or_b32 exec_lo, exec_lo, s72
	v_cmp_gt_i16_sdwa s72, v9, v100 src0_sel:BYTE_3 src1_sel:DWORD
	s_mov_b32 s16, 0
	s_and_saveexec_b32 s73, s72
	s_xor_b32 s72, exec_lo, s73
	s_cbranch_execz .LBB4_1117
; %bb.692:                              ;   in Loop: Header=BB4_137 Depth=3
	v_cmp_eq_u16_sdwa s74, v9, v101 src0_sel:BYTE_3 src1_sel:DWORD
	s_mov_b32 s16, -1
	s_and_saveexec_b32 s73, s74
; %bb.693:                              ;   in Loop: Header=BB4_137 Depth=3
	s_xor_b32 s16, exec_lo, -1
; %bb.694:                              ;   in Loop: Header=BB4_137 Depth=3
	s_or_b32 exec_lo, exec_lo, s73
	s_and_b32 s16, s16, exec_lo
	s_or_saveexec_b32 s72, s72
	v_mov_b32_e32 v1, 0x7f800001
	s_xor_b32 exec_lo, exec_lo, s72
	s_cbranch_execnz .LBB4_1118
.LBB4_695:                              ;   in Loop: Header=BB4_137 Depth=3
	s_or_b32 exec_lo, exec_lo, s72
	s_and_saveexec_b32 s72, s16
	s_cbranch_execz .LBB4_697
.LBB4_696:                              ;   in Loop: Header=BB4_137 Depth=3
	v_bfe_u32 v1, v9, 24, 2
	v_bfe_u32 v8, v9, 26, 5
	v_ffbh_u32_e32 v4, v1
	v_cmp_eq_u32_e32 vcc_lo, 0, v8
	v_min_u32_e32 v4, 32, v4
	v_subrev_nc_u32_e32 v5, 29, v4
	v_sub_nc_u32_e32 v4, 30, v4
	v_lshlrev_b32_sdwa v5, v5, v9 dst_sel:DWORD dst_unused:UNUSED_PAD src0_sel:DWORD src1_sel:BYTE_3
	v_cndmask_b32_e32 v4, v8, v4, vcc_lo
	v_and_b32_e32 v5, 3, v5
	v_lshl_add_u32 v4, v4, 23, 0x37800000
	v_cndmask_b32_e32 v1, v1, v5, vcc_lo
	v_and_b32_e32 v5, 0x80000000, v9
	v_lshlrev_b32_e32 v1, 21, v1
	v_or3_b32 v1, v5, v4, v1
.LBB4_697:                              ;   in Loop: Header=BB4_137 Depth=3
	s_or_b32 exec_lo, exec_lo, s72
	v_mul_f32_e32 v1, s63, v1
	v_mov_b32_e32 v18, 0x8000
	s_mov_b32 s72, exec_lo
	v_and_b32_e32 v4, 0x7f800000, v1
	v_cmpx_ne_u32_e32 0x7f800000, v4
	s_cbranch_execz .LBB4_705
; %bb.698:                              ;   in Loop: Header=BB4_137 Depth=3
	v_mov_b32_e32 v18, 0
	s_mov_b32 s73, exec_lo
	v_cmpx_ne_u32_e32 0, v1
	s_cbranch_execz .LBB4_704
; %bb.699:                              ;   in Loop: Header=BB4_137 Depth=3
	v_bfe_u32 v5, v1, 23, 8
	v_and_b32_e32 v4, 0x7fffff, v1
	v_cmp_gt_u32_e64 s16, 0x71, v5
	v_sub_nc_u32_e32 v8, 0x70, v5
	v_cmp_eq_u32_e32 vcc_lo, 0, v5
	v_or_b32_e32 v9, 0x800000, v4
	v_cndmask_b32_e64 v8, 0, v8, s16
	v_cndmask_b32_e32 v4, v9, v4, vcc_lo
	v_cndmask_b32_e64 v8, v8, 0x6f, vcc_lo
	v_lshl_add_u32 v9, 0x200000, v8, -1
	v_lshlrev_b32_e64 v14, v8, 0x100000
	v_and_b32_e32 v9, v9, v4
	v_cmp_eq_u32_e64 s16, v9, v14
	v_lshrrev_b32_e32 v9, v8, v4
	v_add_nc_u32_e32 v4, 0xffffff91, v5
	v_lshrrev_b32_e32 v5, 23, v9
	v_cndmask_b32_e64 v4, v4, 0xffffff92, vcc_lo
	v_xor_b32_e32 v5, 1, v5
	v_add_nc_u32_e32 v4, v8, v4
	v_bfe_u32 v8, v9, 21, 1
	v_add_nc_u32_e32 v8, -1, v8
	v_cndmask_b32_e64 v8, 0, v8, s16
	s_mov_b32 s16, exec_lo
	v_add_nc_u32_e32 v8, v8, v9
	v_and_b32_e32 v8, 0x1fffff, v8
	v_add_nc_u32_e32 v8, v8, v9
                                        ; implicit-def: $vgpr9
	v_cmpx_ne_u32_e64 v4, v5
	s_xor_b32 s16, exec_lo, s16
; %bb.700:                              ;   in Loop: Header=BB4_137 Depth=3
	v_cmp_lt_u32_e32 vcc_lo, 0xffffff, v8
	v_sub_nc_u32_e32 v4, v4, v5
	v_cndmask_b32_e64 v5, 0, 1, vcc_lo
	v_add_co_ci_u32_e64 v9, null, 0, v4, vcc_lo
	v_lshrrev_b32_e32 v8, v5, v8
; %bb.701:                              ;   in Loop: Header=BB4_137 Depth=3
	s_andn2_saveexec_b32 s16, s16
; %bb.702:                              ;   in Loop: Header=BB4_137 Depth=3
	v_bfe_u32 v9, v8, 23, 1
; %bb.703:                              ;   in Loop: Header=BB4_137 Depth=3
	s_or_b32 exec_lo, exec_lo, s16
	v_lshrrev_b32_e32 v4, 21, v8
	v_min_i32_e32 v5, 31, v9
	v_cmp_gt_i32_e32 vcc_lo, 32, v9
	v_and_b32_sdwa v1, v1, v101 dst_sel:DWORD dst_unused:UNUSED_PAD src0_sel:BYTE_3 src1_sel:DWORD
	v_lshlrev_b32_e32 v5, 2, v5
	v_cndmask_b32_e32 v4, 3, v4, vcc_lo
	v_and_b32_e32 v5, 0xfc, v5
	v_or_b32_e32 v8, v9, v4
	v_and_b32_e32 v4, 3, v4
	v_cmp_ne_u32_e32 vcc_lo, 0, v8
	v_or3_b32 v1, v1, v5, v4
	v_lshlrev_b32_e32 v1, 8, v1
	v_cndmask_b32_e32 v18, 0, v1, vcc_lo
.LBB4_704:                              ;   in Loop: Header=BB4_137 Depth=3
	s_or_b32 exec_lo, exec_lo, s73
.LBB4_705:                              ;   in Loop: Header=BB4_137 Depth=3
	s_or_b32 exec_lo, exec_lo, s72
	v_cmp_gt_i16_sdwa s16, v10, v100 src0_sel:BYTE_0 src1_sel:DWORD
	s_mov_b32 s72, 0
	s_and_saveexec_b32 s73, s16
	s_xor_b32 s16, exec_lo, s73
	s_cbranch_execz .LBB4_1119
; %bb.706:                              ;   in Loop: Header=BB4_137 Depth=3
	v_cmp_eq_u16_sdwa s74, v10, v101 src0_sel:BYTE_0 src1_sel:DWORD
	s_mov_b32 s72, -1
	s_and_saveexec_b32 s73, s74
; %bb.707:                              ;   in Loop: Header=BB4_137 Depth=3
	s_xor_b32 s72, exec_lo, -1
; %bb.708:                              ;   in Loop: Header=BB4_137 Depth=3
	s_or_b32 exec_lo, exec_lo, s73
	s_and_b32 s72, s72, exec_lo
	s_or_saveexec_b32 s16, s16
	v_mov_b32_e32 v1, 0x7f800001
	s_xor_b32 exec_lo, exec_lo, s16
	s_cbranch_execnz .LBB4_1120
.LBB4_709:                              ;   in Loop: Header=BB4_137 Depth=3
	s_or_b32 exec_lo, exec_lo, s16
	s_and_saveexec_b32 s16, s72
	s_cbranch_execz .LBB4_711
.LBB4_710:                              ;   in Loop: Header=BB4_137 Depth=3
	v_and_b32_e32 v1, 3, v10
	v_bfe_u32 v4, v10, 2, 5
	v_ffbh_u32_e32 v5, v1
	v_cmp_eq_u32_e32 vcc_lo, 0, v4
	v_min_u32_e32 v5, 32, v5
	v_subrev_nc_u32_e32 v8, 29, v5
	v_sub_nc_u32_e32 v5, 30, v5
	v_lshlrev_b32_e32 v8, v8, v10
	v_cndmask_b32_e32 v4, v4, v5, vcc_lo
	v_lshlrev_b32_e32 v5, 24, v10
	v_and_b32_e32 v8, 3, v8
	v_lshl_add_u32 v4, v4, 23, 0x37800000
	v_and_b32_e32 v5, 0x80000000, v5
	v_cndmask_b32_e32 v1, v1, v8, vcc_lo
	v_lshlrev_b32_e32 v1, 21, v1
	v_or3_b32 v1, v5, v4, v1
.LBB4_711:                              ;   in Loop: Header=BB4_137 Depth=3
	s_or_b32 exec_lo, exec_lo, s16
	v_mul_f32_e32 v1, s63, v1
	v_mov_b32_e32 v19, 0x80
	s_mov_b32 s72, exec_lo
	v_and_b32_e32 v4, 0x7f800000, v1
	v_cmpx_ne_u32_e32 0x7f800000, v4
	s_cbranch_execz .LBB4_719
; %bb.712:                              ;   in Loop: Header=BB4_137 Depth=3
	v_mov_b32_e32 v19, 0
	s_mov_b32 s73, exec_lo
	v_cmpx_ne_u32_e32 0, v1
	s_cbranch_execz .LBB4_718
; %bb.713:                              ;   in Loop: Header=BB4_137 Depth=3
	v_bfe_u32 v5, v1, 23, 8
	v_and_b32_e32 v4, 0x7fffff, v1
	v_cmp_gt_u32_e64 s16, 0x71, v5
	v_sub_nc_u32_e32 v8, 0x70, v5
	v_cmp_eq_u32_e32 vcc_lo, 0, v5
	v_or_b32_e32 v9, 0x800000, v4
	v_cndmask_b32_e64 v8, 0, v8, s16
	v_cndmask_b32_e32 v4, v9, v4, vcc_lo
	v_cndmask_b32_e64 v8, v8, 0x6f, vcc_lo
	v_lshl_add_u32 v9, 0x200000, v8, -1
	v_lshlrev_b32_e64 v14, v8, 0x100000
	v_and_b32_e32 v9, v9, v4
	v_cmp_eq_u32_e64 s16, v9, v14
	v_lshrrev_b32_e32 v9, v8, v4
	v_add_nc_u32_e32 v4, 0xffffff91, v5
	v_lshrrev_b32_e32 v5, 23, v9
	v_cndmask_b32_e64 v4, v4, 0xffffff92, vcc_lo
	v_xor_b32_e32 v5, 1, v5
	v_add_nc_u32_e32 v4, v8, v4
	v_bfe_u32 v8, v9, 21, 1
	v_add_nc_u32_e32 v8, -1, v8
	v_cndmask_b32_e64 v8, 0, v8, s16
	s_mov_b32 s16, exec_lo
	v_add_nc_u32_e32 v8, v8, v9
	v_and_b32_e32 v8, 0x1fffff, v8
	v_add_nc_u32_e32 v8, v8, v9
                                        ; implicit-def: $vgpr9
	v_cmpx_ne_u32_e64 v4, v5
	s_xor_b32 s16, exec_lo, s16
; %bb.714:                              ;   in Loop: Header=BB4_137 Depth=3
	v_cmp_lt_u32_e32 vcc_lo, 0xffffff, v8
	v_sub_nc_u32_e32 v4, v4, v5
	v_cndmask_b32_e64 v5, 0, 1, vcc_lo
	v_add_co_ci_u32_e64 v9, null, 0, v4, vcc_lo
	v_lshrrev_b32_e32 v8, v5, v8
; %bb.715:                              ;   in Loop: Header=BB4_137 Depth=3
	s_andn2_saveexec_b32 s16, s16
; %bb.716:                              ;   in Loop: Header=BB4_137 Depth=3
	v_bfe_u32 v9, v8, 23, 1
; %bb.717:                              ;   in Loop: Header=BB4_137 Depth=3
	s_or_b32 exec_lo, exec_lo, s16
	v_lshrrev_b32_e32 v4, 21, v8
	v_min_i32_e32 v5, 31, v9
	v_cmp_gt_i32_e32 vcc_lo, 32, v9
	v_and_b32_sdwa v1, v1, v101 dst_sel:DWORD dst_unused:UNUSED_PAD src0_sel:BYTE_3 src1_sel:DWORD
	v_lshlrev_b32_e32 v5, 2, v5
	v_cndmask_b32_e32 v4, 3, v4, vcc_lo
	v_and_b32_e32 v5, 0xfc, v5
	v_or_b32_e32 v8, v9, v4
	v_and_b32_e32 v4, 3, v4
	v_cmp_ne_u32_e32 vcc_lo, 0, v8
	v_or3_b32 v1, v5, v1, v4
	v_cndmask_b32_e32 v19, 0, v1, vcc_lo
.LBB4_718:                              ;   in Loop: Header=BB4_137 Depth=3
	s_or_b32 exec_lo, exec_lo, s73
.LBB4_719:                              ;   in Loop: Header=BB4_137 Depth=3
	s_or_b32 exec_lo, exec_lo, s72
	v_cmp_gt_i16_sdwa s72, v10, v100 src0_sel:BYTE_1 src1_sel:DWORD
	s_mov_b32 s16, 0
	s_and_saveexec_b32 s73, s72
	s_xor_b32 s72, exec_lo, s73
	s_cbranch_execz .LBB4_1121
; %bb.720:                              ;   in Loop: Header=BB4_137 Depth=3
	v_cmp_eq_u16_sdwa s74, v10, v101 src0_sel:BYTE_1 src1_sel:DWORD
	s_mov_b32 s16, -1
	s_and_saveexec_b32 s73, s74
; %bb.721:                              ;   in Loop: Header=BB4_137 Depth=3
	s_xor_b32 s16, exec_lo, -1
; %bb.722:                              ;   in Loop: Header=BB4_137 Depth=3
	s_or_b32 exec_lo, exec_lo, s73
	s_and_b32 s16, s16, exec_lo
	s_or_saveexec_b32 s72, s72
	v_mov_b32_e32 v1, 0x7f800001
	s_xor_b32 exec_lo, exec_lo, s72
	s_cbranch_execnz .LBB4_1122
.LBB4_723:                              ;   in Loop: Header=BB4_137 Depth=3
	s_or_b32 exec_lo, exec_lo, s72
	s_and_saveexec_b32 s72, s16
	s_cbranch_execz .LBB4_725
.LBB4_724:                              ;   in Loop: Header=BB4_137 Depth=3
	v_and_b32_sdwa v1, v102, v10 dst_sel:DWORD dst_unused:UNUSED_PAD src0_sel:DWORD src1_sel:BYTE_1
	v_and_b32_e32 v4, 3, v1
	v_bfe_u32 v9, v1, 2, 5
	v_ffbh_u32_e32 v5, v4
	v_cmp_eq_u32_e32 vcc_lo, 0, v9
	v_min_u32_e32 v5, 32, v5
	v_subrev_nc_u32_e32 v8, 29, v5
	v_sub_nc_u32_e32 v5, 30, v5
	v_lshlrev_b32_e32 v1, v8, v1
	v_lshlrev_b32_sdwa v8, v103, v10 dst_sel:DWORD dst_unused:UNUSED_PAD src0_sel:DWORD src1_sel:BYTE_1
	v_cndmask_b32_e32 v5, v9, v5, vcc_lo
	v_and_b32_e32 v1, 3, v1
	v_lshl_add_u32 v5, v5, 23, 0x37800000
	v_cndmask_b32_e32 v1, v4, v1, vcc_lo
	v_and_b32_e32 v4, 0x80000000, v8
	v_lshlrev_b32_e32 v1, 21, v1
	v_or3_b32 v1, v4, v5, v1
.LBB4_725:                              ;   in Loop: Header=BB4_137 Depth=3
	s_or_b32 exec_lo, exec_lo, s72
	v_mul_f32_e32 v1, s63, v1
	v_mov_b32_e32 v30, 0x8000
	s_mov_b32 s72, exec_lo
	v_and_b32_e32 v4, 0x7f800000, v1
	v_cmpx_ne_u32_e32 0x7f800000, v4
	s_cbranch_execz .LBB4_733
; %bb.726:                              ;   in Loop: Header=BB4_137 Depth=3
	v_mov_b32_e32 v30, 0
	s_mov_b32 s73, exec_lo
	v_cmpx_ne_u32_e32 0, v1
	s_cbranch_execz .LBB4_732
; %bb.727:                              ;   in Loop: Header=BB4_137 Depth=3
	v_bfe_u32 v5, v1, 23, 8
	v_and_b32_e32 v4, 0x7fffff, v1
	v_cmp_gt_u32_e64 s16, 0x71, v5
	v_sub_nc_u32_e32 v8, 0x70, v5
	v_cmp_eq_u32_e32 vcc_lo, 0, v5
	v_or_b32_e32 v9, 0x800000, v4
	v_cndmask_b32_e64 v8, 0, v8, s16
	v_cndmask_b32_e32 v4, v9, v4, vcc_lo
	v_cndmask_b32_e64 v8, v8, 0x6f, vcc_lo
	v_lshl_add_u32 v9, 0x200000, v8, -1
	v_lshlrev_b32_e64 v14, v8, 0x100000
	v_and_b32_e32 v9, v9, v4
	v_cmp_eq_u32_e64 s16, v9, v14
	v_lshrrev_b32_e32 v9, v8, v4
	v_add_nc_u32_e32 v4, 0xffffff91, v5
	v_lshrrev_b32_e32 v5, 23, v9
	v_cndmask_b32_e64 v4, v4, 0xffffff92, vcc_lo
	v_xor_b32_e32 v5, 1, v5
	v_add_nc_u32_e32 v4, v8, v4
	v_bfe_u32 v8, v9, 21, 1
	v_add_nc_u32_e32 v8, -1, v8
	v_cndmask_b32_e64 v8, 0, v8, s16
	s_mov_b32 s16, exec_lo
	v_add_nc_u32_e32 v8, v8, v9
	v_and_b32_e32 v8, 0x1fffff, v8
	v_add_nc_u32_e32 v8, v8, v9
                                        ; implicit-def: $vgpr9
	v_cmpx_ne_u32_e64 v4, v5
	s_xor_b32 s16, exec_lo, s16
; %bb.728:                              ;   in Loop: Header=BB4_137 Depth=3
	v_cmp_lt_u32_e32 vcc_lo, 0xffffff, v8
	v_sub_nc_u32_e32 v4, v4, v5
	v_cndmask_b32_e64 v5, 0, 1, vcc_lo
	v_add_co_ci_u32_e64 v9, null, 0, v4, vcc_lo
	v_lshrrev_b32_e32 v8, v5, v8
; %bb.729:                              ;   in Loop: Header=BB4_137 Depth=3
	s_andn2_saveexec_b32 s16, s16
; %bb.730:                              ;   in Loop: Header=BB4_137 Depth=3
	v_bfe_u32 v9, v8, 23, 1
; %bb.731:                              ;   in Loop: Header=BB4_137 Depth=3
	s_or_b32 exec_lo, exec_lo, s16
	v_lshrrev_b32_e32 v4, 21, v8
	v_min_i32_e32 v5, 31, v9
	v_cmp_gt_i32_e32 vcc_lo, 32, v9
	v_and_b32_sdwa v1, v1, v101 dst_sel:DWORD dst_unused:UNUSED_PAD src0_sel:BYTE_3 src1_sel:DWORD
	v_lshlrev_b32_e32 v5, 2, v5
	v_cndmask_b32_e32 v4, 3, v4, vcc_lo
	v_and_b32_e32 v5, 0xfc, v5
	v_or_b32_e32 v8, v9, v4
	v_and_b32_e32 v4, 3, v4
	v_cmp_ne_u32_e32 vcc_lo, 0, v8
	v_or3_b32 v1, v1, v5, v4
	v_lshlrev_b32_e32 v1, 8, v1
	v_cndmask_b32_e32 v30, 0, v1, vcc_lo
.LBB4_732:                              ;   in Loop: Header=BB4_137 Depth=3
	s_or_b32 exec_lo, exec_lo, s73
.LBB4_733:                              ;   in Loop: Header=BB4_137 Depth=3
	s_or_b32 exec_lo, exec_lo, s72
	v_and_b32_sdwa v4, v10, v112 dst_sel:DWORD dst_unused:UNUSED_PAD src0_sel:WORD_1 src1_sel:DWORD
	s_mov_b32 s72, 0
	s_mov_b32 s16, exec_lo
	v_cmpx_lt_i16_e32 0x7f, v4
	s_xor_b32 s16, exec_lo, s16
	s_cbranch_execz .LBB4_1123
; %bb.734:                              ;   in Loop: Header=BB4_137 Depth=3
	s_mov_b32 s72, -1
	s_mov_b32 s73, exec_lo
	v_cmpx_eq_u16_e32 0x80, v4
; %bb.735:                              ;   in Loop: Header=BB4_137 Depth=3
	s_xor_b32 s72, exec_lo, -1
; %bb.736:                              ;   in Loop: Header=BB4_137 Depth=3
	s_or_b32 exec_lo, exec_lo, s73
	s_and_b32 s72, s72, exec_lo
                                        ; implicit-def: $vgpr4
	s_or_saveexec_b32 s16, s16
	v_mov_b32_e32 v1, 0x7f800001
	s_xor_b32 exec_lo, exec_lo, s16
	s_cbranch_execnz .LBB4_1124
.LBB4_737:                              ;   in Loop: Header=BB4_137 Depth=3
	s_or_b32 exec_lo, exec_lo, s16
	s_and_saveexec_b32 s16, s72
	s_cbranch_execz .LBB4_739
.LBB4_738:                              ;   in Loop: Header=BB4_137 Depth=3
	v_bfe_u32 v1, v10, 16, 2
	v_bfe_u32 v4, v10, 18, 5
	v_ffbh_u32_e32 v5, v1
	v_cmp_eq_u32_e32 vcc_lo, 0, v4
	v_min_u32_e32 v5, 32, v5
	v_subrev_nc_u32_e32 v8, 29, v5
	v_sub_nc_u32_e32 v5, 30, v5
	v_lshlrev_b32_sdwa v8, v8, v10 dst_sel:DWORD dst_unused:UNUSED_PAD src0_sel:DWORD src1_sel:WORD_1
	v_cndmask_b32_e32 v4, v4, v5, vcc_lo
	v_lshlrev_b32_e32 v5, 8, v10
	v_and_b32_e32 v8, 3, v8
	v_lshl_add_u32 v4, v4, 23, 0x37800000
	v_and_b32_e32 v5, 0x80000000, v5
	v_cndmask_b32_e32 v1, v1, v8, vcc_lo
	v_lshlrev_b32_e32 v1, 21, v1
	v_or3_b32 v1, v5, v4, v1
.LBB4_739:                              ;   in Loop: Header=BB4_137 Depth=3
	s_or_b32 exec_lo, exec_lo, s16
	v_mul_f32_e32 v1, s63, v1
	v_mov_b32_e32 v20, 0x80
	s_mov_b32 s72, exec_lo
	v_and_b32_e32 v4, 0x7f800000, v1
	v_cmpx_ne_u32_e32 0x7f800000, v4
	s_cbranch_execz .LBB4_747
; %bb.740:                              ;   in Loop: Header=BB4_137 Depth=3
	v_mov_b32_e32 v20, 0
	s_mov_b32 s73, exec_lo
	v_cmpx_ne_u32_e32 0, v1
	s_cbranch_execz .LBB4_746
; %bb.741:                              ;   in Loop: Header=BB4_137 Depth=3
	v_bfe_u32 v5, v1, 23, 8
	v_and_b32_e32 v4, 0x7fffff, v1
	v_cmp_gt_u32_e64 s16, 0x71, v5
	v_sub_nc_u32_e32 v8, 0x70, v5
	v_cmp_eq_u32_e32 vcc_lo, 0, v5
	v_or_b32_e32 v9, 0x800000, v4
	v_cndmask_b32_e64 v8, 0, v8, s16
	v_cndmask_b32_e32 v4, v9, v4, vcc_lo
	v_cndmask_b32_e64 v8, v8, 0x6f, vcc_lo
	v_lshl_add_u32 v9, 0x200000, v8, -1
	v_lshlrev_b32_e64 v14, v8, 0x100000
	v_and_b32_e32 v9, v9, v4
	v_cmp_eq_u32_e64 s16, v9, v14
	v_lshrrev_b32_e32 v9, v8, v4
	v_add_nc_u32_e32 v4, 0xffffff91, v5
	v_lshrrev_b32_e32 v5, 23, v9
	v_cndmask_b32_e64 v4, v4, 0xffffff92, vcc_lo
	v_xor_b32_e32 v5, 1, v5
	v_add_nc_u32_e32 v4, v8, v4
	v_bfe_u32 v8, v9, 21, 1
	v_add_nc_u32_e32 v8, -1, v8
	v_cndmask_b32_e64 v8, 0, v8, s16
	s_mov_b32 s16, exec_lo
	v_add_nc_u32_e32 v8, v8, v9
	v_and_b32_e32 v8, 0x1fffff, v8
	v_add_nc_u32_e32 v8, v8, v9
                                        ; implicit-def: $vgpr9
	v_cmpx_ne_u32_e64 v4, v5
	s_xor_b32 s16, exec_lo, s16
; %bb.742:                              ;   in Loop: Header=BB4_137 Depth=3
	v_cmp_lt_u32_e32 vcc_lo, 0xffffff, v8
	v_sub_nc_u32_e32 v4, v4, v5
	v_cndmask_b32_e64 v5, 0, 1, vcc_lo
	v_add_co_ci_u32_e64 v9, null, 0, v4, vcc_lo
	v_lshrrev_b32_e32 v8, v5, v8
; %bb.743:                              ;   in Loop: Header=BB4_137 Depth=3
	s_andn2_saveexec_b32 s16, s16
; %bb.744:                              ;   in Loop: Header=BB4_137 Depth=3
	v_bfe_u32 v9, v8, 23, 1
; %bb.745:                              ;   in Loop: Header=BB4_137 Depth=3
	s_or_b32 exec_lo, exec_lo, s16
	v_lshrrev_b32_e32 v4, 21, v8
	v_min_i32_e32 v5, 31, v9
	v_cmp_gt_i32_e32 vcc_lo, 32, v9
	v_and_b32_sdwa v1, v1, v101 dst_sel:DWORD dst_unused:UNUSED_PAD src0_sel:BYTE_3 src1_sel:DWORD
	v_lshlrev_b32_e32 v5, 2, v5
	v_cndmask_b32_e32 v4, 3, v4, vcc_lo
	v_and_b32_e32 v5, 0xfc, v5
	v_or_b32_e32 v8, v9, v4
	v_and_b32_e32 v4, 3, v4
	v_cmp_ne_u32_e32 vcc_lo, 0, v8
	v_or3_b32 v1, v5, v1, v4
	v_cndmask_b32_e32 v20, 0, v1, vcc_lo
.LBB4_746:                              ;   in Loop: Header=BB4_137 Depth=3
	s_or_b32 exec_lo, exec_lo, s73
.LBB4_747:                              ;   in Loop: Header=BB4_137 Depth=3
	s_or_b32 exec_lo, exec_lo, s72
	v_cmp_gt_i16_sdwa s72, v10, v100 src0_sel:BYTE_3 src1_sel:DWORD
	s_mov_b32 s16, 0
	s_and_saveexec_b32 s73, s72
	s_xor_b32 s72, exec_lo, s73
	s_cbranch_execz .LBB4_1125
; %bb.748:                              ;   in Loop: Header=BB4_137 Depth=3
	v_cmp_eq_u16_sdwa s74, v10, v101 src0_sel:BYTE_3 src1_sel:DWORD
	s_mov_b32 s16, -1
	s_and_saveexec_b32 s73, s74
; %bb.749:                              ;   in Loop: Header=BB4_137 Depth=3
	s_xor_b32 s16, exec_lo, -1
; %bb.750:                              ;   in Loop: Header=BB4_137 Depth=3
	s_or_b32 exec_lo, exec_lo, s73
	s_and_b32 s16, s16, exec_lo
	s_or_saveexec_b32 s72, s72
	v_mov_b32_e32 v1, 0x7f800001
	s_xor_b32 exec_lo, exec_lo, s72
	s_cbranch_execnz .LBB4_1126
.LBB4_751:                              ;   in Loop: Header=BB4_137 Depth=3
	s_or_b32 exec_lo, exec_lo, s72
	s_and_saveexec_b32 s72, s16
	s_cbranch_execz .LBB4_753
.LBB4_752:                              ;   in Loop: Header=BB4_137 Depth=3
	v_bfe_u32 v1, v10, 24, 2
	v_bfe_u32 v8, v10, 26, 5
	v_ffbh_u32_e32 v4, v1
	v_cmp_eq_u32_e32 vcc_lo, 0, v8
	v_min_u32_e32 v4, 32, v4
	v_subrev_nc_u32_e32 v5, 29, v4
	v_sub_nc_u32_e32 v4, 30, v4
	v_lshlrev_b32_sdwa v5, v5, v10 dst_sel:DWORD dst_unused:UNUSED_PAD src0_sel:DWORD src1_sel:BYTE_3
	v_cndmask_b32_e32 v4, v8, v4, vcc_lo
	v_and_b32_e32 v5, 3, v5
	v_lshl_add_u32 v4, v4, 23, 0x37800000
	v_cndmask_b32_e32 v1, v1, v5, vcc_lo
	v_and_b32_e32 v5, 0x80000000, v10
	v_lshlrev_b32_e32 v1, 21, v1
	v_or3_b32 v1, v5, v4, v1
.LBB4_753:                              ;   in Loop: Header=BB4_137 Depth=3
	s_or_b32 exec_lo, exec_lo, s72
	v_mul_f32_e32 v1, s63, v1
	v_mov_b32_e32 v21, 0x8000
	s_mov_b32 s72, exec_lo
	v_and_b32_e32 v4, 0x7f800000, v1
	v_cmpx_ne_u32_e32 0x7f800000, v4
	s_cbranch_execz .LBB4_761
; %bb.754:                              ;   in Loop: Header=BB4_137 Depth=3
	v_mov_b32_e32 v21, 0
	s_mov_b32 s73, exec_lo
	v_cmpx_ne_u32_e32 0, v1
	s_cbranch_execz .LBB4_760
; %bb.755:                              ;   in Loop: Header=BB4_137 Depth=3
	v_bfe_u32 v5, v1, 23, 8
	v_and_b32_e32 v4, 0x7fffff, v1
	v_cmp_gt_u32_e64 s16, 0x71, v5
	v_sub_nc_u32_e32 v8, 0x70, v5
	v_cmp_eq_u32_e32 vcc_lo, 0, v5
	v_or_b32_e32 v9, 0x800000, v4
	v_cndmask_b32_e64 v8, 0, v8, s16
	v_cndmask_b32_e32 v4, v9, v4, vcc_lo
	v_cndmask_b32_e64 v8, v8, 0x6f, vcc_lo
	v_lshl_add_u32 v9, 0x200000, v8, -1
	v_lshlrev_b32_e64 v10, v8, 0x100000
	v_and_b32_e32 v9, v9, v4
	v_cmp_eq_u32_e64 s16, v9, v10
	v_lshrrev_b32_e32 v9, v8, v4
	v_add_nc_u32_e32 v4, 0xffffff91, v5
	v_lshrrev_b32_e32 v5, 23, v9
	v_cndmask_b32_e64 v4, v4, 0xffffff92, vcc_lo
	v_xor_b32_e32 v5, 1, v5
	v_add_nc_u32_e32 v4, v8, v4
	v_bfe_u32 v8, v9, 21, 1
	v_add_nc_u32_e32 v8, -1, v8
	v_cndmask_b32_e64 v8, 0, v8, s16
	s_mov_b32 s16, exec_lo
	v_add_nc_u32_e32 v8, v8, v9
	v_and_b32_e32 v8, 0x1fffff, v8
	v_add_nc_u32_e32 v8, v8, v9
                                        ; implicit-def: $vgpr9
	v_cmpx_ne_u32_e64 v4, v5
	s_xor_b32 s16, exec_lo, s16
; %bb.756:                              ;   in Loop: Header=BB4_137 Depth=3
	v_cmp_lt_u32_e32 vcc_lo, 0xffffff, v8
	v_sub_nc_u32_e32 v4, v4, v5
	v_cndmask_b32_e64 v5, 0, 1, vcc_lo
	v_add_co_ci_u32_e64 v9, null, 0, v4, vcc_lo
	v_lshrrev_b32_e32 v8, v5, v8
; %bb.757:                              ;   in Loop: Header=BB4_137 Depth=3
	s_andn2_saveexec_b32 s16, s16
; %bb.758:                              ;   in Loop: Header=BB4_137 Depth=3
	v_bfe_u32 v9, v8, 23, 1
; %bb.759:                              ;   in Loop: Header=BB4_137 Depth=3
	s_or_b32 exec_lo, exec_lo, s16
	v_lshrrev_b32_e32 v4, 21, v8
	v_min_i32_e32 v5, 31, v9
	v_cmp_gt_i32_e32 vcc_lo, 32, v9
	v_and_b32_sdwa v1, v1, v101 dst_sel:DWORD dst_unused:UNUSED_PAD src0_sel:BYTE_3 src1_sel:DWORD
	v_lshlrev_b32_e32 v5, 2, v5
	v_cndmask_b32_e32 v4, 3, v4, vcc_lo
	v_and_b32_e32 v5, 0xfc, v5
	v_or_b32_e32 v8, v9, v4
	v_and_b32_e32 v4, 3, v4
	v_cmp_ne_u32_e32 vcc_lo, 0, v8
	v_or3_b32 v1, v1, v5, v4
	v_lshlrev_b32_e32 v1, 8, v1
	v_cndmask_b32_e32 v21, 0, v1, vcc_lo
.LBB4_760:                              ;   in Loop: Header=BB4_137 Depth=3
	s_or_b32 exec_lo, exec_lo, s73
.LBB4_761:                              ;   in Loop: Header=BB4_137 Depth=3
	s_or_b32 exec_lo, exec_lo, s72
	v_cmp_gt_i16_sdwa s16, v11, v100 src0_sel:BYTE_0 src1_sel:DWORD
	s_mov_b32 s72, 0
	s_and_saveexec_b32 s73, s16
	s_xor_b32 s16, exec_lo, s73
	s_cbranch_execz .LBB4_1127
; %bb.762:                              ;   in Loop: Header=BB4_137 Depth=3
	v_cmp_eq_u16_sdwa s74, v11, v101 src0_sel:BYTE_0 src1_sel:DWORD
	s_mov_b32 s72, -1
	s_and_saveexec_b32 s73, s74
; %bb.763:                              ;   in Loop: Header=BB4_137 Depth=3
	s_xor_b32 s72, exec_lo, -1
; %bb.764:                              ;   in Loop: Header=BB4_137 Depth=3
	s_or_b32 exec_lo, exec_lo, s73
	s_and_b32 s72, s72, exec_lo
	s_or_saveexec_b32 s16, s16
	v_mov_b32_e32 v1, 0x7f800001
	s_xor_b32 exec_lo, exec_lo, s16
	s_cbranch_execnz .LBB4_1128
.LBB4_765:                              ;   in Loop: Header=BB4_137 Depth=3
	s_or_b32 exec_lo, exec_lo, s16
	s_and_saveexec_b32 s16, s72
	s_cbranch_execz .LBB4_767
.LBB4_766:                              ;   in Loop: Header=BB4_137 Depth=3
	v_and_b32_e32 v1, 3, v11
	v_bfe_u32 v4, v11, 2, 5
	v_ffbh_u32_e32 v5, v1
	v_cmp_eq_u32_e32 vcc_lo, 0, v4
	v_min_u32_e32 v5, 32, v5
	v_subrev_nc_u32_e32 v8, 29, v5
	v_sub_nc_u32_e32 v5, 30, v5
	v_lshlrev_b32_e32 v8, v8, v11
	v_cndmask_b32_e32 v4, v4, v5, vcc_lo
	v_lshlrev_b32_e32 v5, 24, v11
	v_and_b32_e32 v8, 3, v8
	v_lshl_add_u32 v4, v4, 23, 0x37800000
	v_and_b32_e32 v5, 0x80000000, v5
	v_cndmask_b32_e32 v1, v1, v8, vcc_lo
	v_lshlrev_b32_e32 v1, 21, v1
	v_or3_b32 v1, v5, v4, v1
.LBB4_767:                              ;   in Loop: Header=BB4_137 Depth=3
	s_or_b32 exec_lo, exec_lo, s16
	v_mul_f32_e32 v1, s63, v1
	v_mov_b32_e32 v16, 0x80
	s_mov_b32 s72, exec_lo
	v_and_b32_e32 v4, 0x7f800000, v1
	v_cmpx_ne_u32_e32 0x7f800000, v4
	s_cbranch_execz .LBB4_775
; %bb.768:                              ;   in Loop: Header=BB4_137 Depth=3
	v_mov_b32_e32 v16, 0
	s_mov_b32 s73, exec_lo
	v_cmpx_ne_u32_e32 0, v1
	s_cbranch_execz .LBB4_774
; %bb.769:                              ;   in Loop: Header=BB4_137 Depth=3
	v_bfe_u32 v5, v1, 23, 8
	v_and_b32_e32 v4, 0x7fffff, v1
	v_cmp_gt_u32_e64 s16, 0x71, v5
	v_sub_nc_u32_e32 v8, 0x70, v5
	v_cmp_eq_u32_e32 vcc_lo, 0, v5
	v_or_b32_e32 v9, 0x800000, v4
	v_cndmask_b32_e64 v8, 0, v8, s16
	v_cndmask_b32_e32 v4, v9, v4, vcc_lo
	v_cndmask_b32_e64 v8, v8, 0x6f, vcc_lo
	v_lshl_add_u32 v9, 0x200000, v8, -1
	v_lshlrev_b32_e64 v10, v8, 0x100000
	v_and_b32_e32 v9, v9, v4
	v_cmp_eq_u32_e64 s16, v9, v10
	v_lshrrev_b32_e32 v9, v8, v4
	v_add_nc_u32_e32 v4, 0xffffff91, v5
	v_lshrrev_b32_e32 v5, 23, v9
	v_cndmask_b32_e64 v4, v4, 0xffffff92, vcc_lo
	v_xor_b32_e32 v5, 1, v5
	v_add_nc_u32_e32 v4, v8, v4
	v_bfe_u32 v8, v9, 21, 1
	v_add_nc_u32_e32 v8, -1, v8
	v_cndmask_b32_e64 v8, 0, v8, s16
	s_mov_b32 s16, exec_lo
	v_add_nc_u32_e32 v8, v8, v9
	v_and_b32_e32 v8, 0x1fffff, v8
	v_add_nc_u32_e32 v8, v8, v9
                                        ; implicit-def: $vgpr9
	v_cmpx_ne_u32_e64 v4, v5
	s_xor_b32 s16, exec_lo, s16
; %bb.770:                              ;   in Loop: Header=BB4_137 Depth=3
	v_cmp_lt_u32_e32 vcc_lo, 0xffffff, v8
	v_sub_nc_u32_e32 v4, v4, v5
	v_cndmask_b32_e64 v5, 0, 1, vcc_lo
	v_add_co_ci_u32_e64 v9, null, 0, v4, vcc_lo
	v_lshrrev_b32_e32 v8, v5, v8
; %bb.771:                              ;   in Loop: Header=BB4_137 Depth=3
	s_andn2_saveexec_b32 s16, s16
; %bb.772:                              ;   in Loop: Header=BB4_137 Depth=3
	v_bfe_u32 v9, v8, 23, 1
; %bb.773:                              ;   in Loop: Header=BB4_137 Depth=3
	s_or_b32 exec_lo, exec_lo, s16
	v_lshrrev_b32_e32 v4, 21, v8
	v_min_i32_e32 v5, 31, v9
	v_cmp_gt_i32_e32 vcc_lo, 32, v9
	v_and_b32_sdwa v1, v1, v101 dst_sel:DWORD dst_unused:UNUSED_PAD src0_sel:BYTE_3 src1_sel:DWORD
	v_lshlrev_b32_e32 v5, 2, v5
	v_cndmask_b32_e32 v4, 3, v4, vcc_lo
	v_and_b32_e32 v5, 0xfc, v5
	v_or_b32_e32 v8, v9, v4
	v_and_b32_e32 v4, 3, v4
	v_cmp_ne_u32_e32 vcc_lo, 0, v8
	v_or3_b32 v1, v5, v1, v4
	v_cndmask_b32_e32 v16, 0, v1, vcc_lo
.LBB4_774:                              ;   in Loop: Header=BB4_137 Depth=3
	s_or_b32 exec_lo, exec_lo, s73
.LBB4_775:                              ;   in Loop: Header=BB4_137 Depth=3
	s_or_b32 exec_lo, exec_lo, s72
	v_cmp_gt_i16_sdwa s72, v11, v100 src0_sel:BYTE_1 src1_sel:DWORD
	s_mov_b32 s16, 0
	s_and_saveexec_b32 s73, s72
	s_xor_b32 s72, exec_lo, s73
	s_cbranch_execz .LBB4_1129
; %bb.776:                              ;   in Loop: Header=BB4_137 Depth=3
	v_cmp_eq_u16_sdwa s74, v11, v101 src0_sel:BYTE_1 src1_sel:DWORD
	s_mov_b32 s16, -1
	s_and_saveexec_b32 s73, s74
; %bb.777:                              ;   in Loop: Header=BB4_137 Depth=3
	s_xor_b32 s16, exec_lo, -1
; %bb.778:                              ;   in Loop: Header=BB4_137 Depth=3
	s_or_b32 exec_lo, exec_lo, s73
	s_and_b32 s16, s16, exec_lo
	s_or_saveexec_b32 s72, s72
	v_mov_b32_e32 v1, 0x7f800001
	s_xor_b32 exec_lo, exec_lo, s72
	s_cbranch_execnz .LBB4_1130
.LBB4_779:                              ;   in Loop: Header=BB4_137 Depth=3
	s_or_b32 exec_lo, exec_lo, s72
	s_and_saveexec_b32 s72, s16
	s_cbranch_execz .LBB4_781
.LBB4_780:                              ;   in Loop: Header=BB4_137 Depth=3
	v_and_b32_sdwa v1, v102, v11 dst_sel:DWORD dst_unused:UNUSED_PAD src0_sel:DWORD src1_sel:BYTE_1
	v_and_b32_e32 v4, 3, v1
	v_bfe_u32 v9, v1, 2, 5
	v_ffbh_u32_e32 v5, v4
	v_cmp_eq_u32_e32 vcc_lo, 0, v9
	v_min_u32_e32 v5, 32, v5
	v_subrev_nc_u32_e32 v8, 29, v5
	v_sub_nc_u32_e32 v5, 30, v5
	v_lshlrev_b32_e32 v1, v8, v1
	v_lshlrev_b32_sdwa v8, v103, v11 dst_sel:DWORD dst_unused:UNUSED_PAD src0_sel:DWORD src1_sel:BYTE_1
	v_cndmask_b32_e32 v5, v9, v5, vcc_lo
	v_and_b32_e32 v1, 3, v1
	v_lshl_add_u32 v5, v5, 23, 0x37800000
	v_cndmask_b32_e32 v1, v4, v1, vcc_lo
	v_and_b32_e32 v4, 0x80000000, v8
	v_lshlrev_b32_e32 v1, 21, v1
	v_or3_b32 v1, v4, v5, v1
.LBB4_781:                              ;   in Loop: Header=BB4_137 Depth=3
	s_or_b32 exec_lo, exec_lo, s72
	v_mul_f32_e32 v1, s63, v1
	v_mov_b32_e32 v17, 0x8000
	s_mov_b32 s72, exec_lo
	v_and_b32_e32 v4, 0x7f800000, v1
	v_cmpx_ne_u32_e32 0x7f800000, v4
	s_cbranch_execz .LBB4_789
; %bb.782:                              ;   in Loop: Header=BB4_137 Depth=3
	v_mov_b32_e32 v17, 0
	s_mov_b32 s73, exec_lo
	v_cmpx_ne_u32_e32 0, v1
	s_cbranch_execz .LBB4_788
; %bb.783:                              ;   in Loop: Header=BB4_137 Depth=3
	v_bfe_u32 v5, v1, 23, 8
	v_and_b32_e32 v4, 0x7fffff, v1
	v_cmp_gt_u32_e64 s16, 0x71, v5
	v_sub_nc_u32_e32 v8, 0x70, v5
	v_cmp_eq_u32_e32 vcc_lo, 0, v5
	v_or_b32_e32 v9, 0x800000, v4
	v_cndmask_b32_e64 v8, 0, v8, s16
	v_cndmask_b32_e32 v4, v9, v4, vcc_lo
	v_cndmask_b32_e64 v8, v8, 0x6f, vcc_lo
	v_lshl_add_u32 v9, 0x200000, v8, -1
	v_lshlrev_b32_e64 v10, v8, 0x100000
	v_and_b32_e32 v9, v9, v4
	v_cmp_eq_u32_e64 s16, v9, v10
	v_lshrrev_b32_e32 v9, v8, v4
	v_add_nc_u32_e32 v4, 0xffffff91, v5
	v_lshrrev_b32_e32 v5, 23, v9
	v_cndmask_b32_e64 v4, v4, 0xffffff92, vcc_lo
	v_xor_b32_e32 v5, 1, v5
	v_add_nc_u32_e32 v4, v8, v4
	v_bfe_u32 v8, v9, 21, 1
	v_add_nc_u32_e32 v8, -1, v8
	v_cndmask_b32_e64 v8, 0, v8, s16
	s_mov_b32 s16, exec_lo
	v_add_nc_u32_e32 v8, v8, v9
	v_and_b32_e32 v8, 0x1fffff, v8
	v_add_nc_u32_e32 v8, v8, v9
                                        ; implicit-def: $vgpr9
	v_cmpx_ne_u32_e64 v4, v5
	s_xor_b32 s16, exec_lo, s16
; %bb.784:                              ;   in Loop: Header=BB4_137 Depth=3
	v_cmp_lt_u32_e32 vcc_lo, 0xffffff, v8
	v_sub_nc_u32_e32 v4, v4, v5
	v_cndmask_b32_e64 v5, 0, 1, vcc_lo
	v_add_co_ci_u32_e64 v9, null, 0, v4, vcc_lo
	v_lshrrev_b32_e32 v8, v5, v8
; %bb.785:                              ;   in Loop: Header=BB4_137 Depth=3
	s_andn2_saveexec_b32 s16, s16
; %bb.786:                              ;   in Loop: Header=BB4_137 Depth=3
	v_bfe_u32 v9, v8, 23, 1
; %bb.787:                              ;   in Loop: Header=BB4_137 Depth=3
	s_or_b32 exec_lo, exec_lo, s16
	v_lshrrev_b32_e32 v4, 21, v8
	v_min_i32_e32 v5, 31, v9
	v_cmp_gt_i32_e32 vcc_lo, 32, v9
	v_and_b32_sdwa v1, v1, v101 dst_sel:DWORD dst_unused:UNUSED_PAD src0_sel:BYTE_3 src1_sel:DWORD
	v_lshlrev_b32_e32 v5, 2, v5
	v_cndmask_b32_e32 v4, 3, v4, vcc_lo
	v_and_b32_e32 v5, 0xfc, v5
	v_or_b32_e32 v8, v9, v4
	v_and_b32_e32 v4, 3, v4
	v_cmp_ne_u32_e32 vcc_lo, 0, v8
	v_or3_b32 v1, v1, v5, v4
	v_lshlrev_b32_e32 v1, 8, v1
	v_cndmask_b32_e32 v17, 0, v1, vcc_lo
.LBB4_788:                              ;   in Loop: Header=BB4_137 Depth=3
	s_or_b32 exec_lo, exec_lo, s73
.LBB4_789:                              ;   in Loop: Header=BB4_137 Depth=3
	s_or_b32 exec_lo, exec_lo, s72
	v_and_b32_sdwa v4, v11, v112 dst_sel:DWORD dst_unused:UNUSED_PAD src0_sel:WORD_1 src1_sel:DWORD
	s_mov_b32 s72, 0
	s_mov_b32 s16, exec_lo
	v_cmpx_lt_i16_e32 0x7f, v4
	s_xor_b32 s16, exec_lo, s16
	s_cbranch_execz .LBB4_1131
; %bb.790:                              ;   in Loop: Header=BB4_137 Depth=3
	s_mov_b32 s72, -1
	s_mov_b32 s73, exec_lo
	v_cmpx_eq_u16_e32 0x80, v4
; %bb.791:                              ;   in Loop: Header=BB4_137 Depth=3
	s_xor_b32 s72, exec_lo, -1
; %bb.792:                              ;   in Loop: Header=BB4_137 Depth=3
	s_or_b32 exec_lo, exec_lo, s73
	s_and_b32 s72, s72, exec_lo
                                        ; implicit-def: $vgpr4
	s_or_saveexec_b32 s16, s16
	v_mov_b32_e32 v1, 0x7f800001
	s_xor_b32 exec_lo, exec_lo, s16
	s_cbranch_execnz .LBB4_1132
.LBB4_793:                              ;   in Loop: Header=BB4_137 Depth=3
	s_or_b32 exec_lo, exec_lo, s16
	s_and_saveexec_b32 s16, s72
	s_cbranch_execz .LBB4_795
.LBB4_794:                              ;   in Loop: Header=BB4_137 Depth=3
	v_bfe_u32 v1, v11, 16, 2
	v_bfe_u32 v4, v11, 18, 5
	v_ffbh_u32_e32 v5, v1
	v_cmp_eq_u32_e32 vcc_lo, 0, v4
	v_min_u32_e32 v5, 32, v5
	v_subrev_nc_u32_e32 v8, 29, v5
	v_sub_nc_u32_e32 v5, 30, v5
	v_lshlrev_b32_sdwa v8, v8, v11 dst_sel:DWORD dst_unused:UNUSED_PAD src0_sel:DWORD src1_sel:WORD_1
	v_cndmask_b32_e32 v4, v4, v5, vcc_lo
	v_lshlrev_b32_e32 v5, 8, v11
	v_and_b32_e32 v8, 3, v8
	v_lshl_add_u32 v4, v4, 23, 0x37800000
	v_and_b32_e32 v5, 0x80000000, v5
	v_cndmask_b32_e32 v1, v1, v8, vcc_lo
	v_lshlrev_b32_e32 v1, 21, v1
	v_or3_b32 v1, v5, v4, v1
.LBB4_795:                              ;   in Loop: Header=BB4_137 Depth=3
	s_or_b32 exec_lo, exec_lo, s16
	v_mul_f32_e32 v1, s63, v1
	v_mov_b32_e32 v36, 0x80
	s_mov_b32 s72, exec_lo
	v_and_b32_e32 v4, 0x7f800000, v1
	v_cmpx_ne_u32_e32 0x7f800000, v4
	s_cbranch_execz .LBB4_803
; %bb.796:                              ;   in Loop: Header=BB4_137 Depth=3
	v_mov_b32_e32 v36, 0
	s_mov_b32 s73, exec_lo
	v_cmpx_ne_u32_e32 0, v1
	s_cbranch_execz .LBB4_802
; %bb.797:                              ;   in Loop: Header=BB4_137 Depth=3
	v_bfe_u32 v5, v1, 23, 8
	v_and_b32_e32 v4, 0x7fffff, v1
	v_cmp_gt_u32_e64 s16, 0x71, v5
	v_sub_nc_u32_e32 v8, 0x70, v5
	v_cmp_eq_u32_e32 vcc_lo, 0, v5
	v_or_b32_e32 v9, 0x800000, v4
	v_cndmask_b32_e64 v8, 0, v8, s16
	v_cndmask_b32_e32 v4, v9, v4, vcc_lo
	v_cndmask_b32_e64 v8, v8, 0x6f, vcc_lo
	v_lshl_add_u32 v9, 0x200000, v8, -1
	v_lshlrev_b32_e64 v10, v8, 0x100000
	v_and_b32_e32 v9, v9, v4
	v_cmp_eq_u32_e64 s16, v9, v10
	v_lshrrev_b32_e32 v9, v8, v4
	v_add_nc_u32_e32 v4, 0xffffff91, v5
	v_lshrrev_b32_e32 v5, 23, v9
	v_cndmask_b32_e64 v4, v4, 0xffffff92, vcc_lo
	v_xor_b32_e32 v5, 1, v5
	v_add_nc_u32_e32 v4, v8, v4
	v_bfe_u32 v8, v9, 21, 1
	v_add_nc_u32_e32 v8, -1, v8
	v_cndmask_b32_e64 v8, 0, v8, s16
	s_mov_b32 s16, exec_lo
	v_add_nc_u32_e32 v8, v8, v9
	v_and_b32_e32 v8, 0x1fffff, v8
	v_add_nc_u32_e32 v8, v8, v9
                                        ; implicit-def: $vgpr9
	v_cmpx_ne_u32_e64 v4, v5
	s_xor_b32 s16, exec_lo, s16
; %bb.798:                              ;   in Loop: Header=BB4_137 Depth=3
	v_cmp_lt_u32_e32 vcc_lo, 0xffffff, v8
	v_sub_nc_u32_e32 v4, v4, v5
	v_cndmask_b32_e64 v5, 0, 1, vcc_lo
	v_add_co_ci_u32_e64 v9, null, 0, v4, vcc_lo
	v_lshrrev_b32_e32 v8, v5, v8
; %bb.799:                              ;   in Loop: Header=BB4_137 Depth=3
	s_andn2_saveexec_b32 s16, s16
; %bb.800:                              ;   in Loop: Header=BB4_137 Depth=3
	v_bfe_u32 v9, v8, 23, 1
; %bb.801:                              ;   in Loop: Header=BB4_137 Depth=3
	s_or_b32 exec_lo, exec_lo, s16
	v_lshrrev_b32_e32 v4, 21, v8
	v_min_i32_e32 v5, 31, v9
	v_cmp_gt_i32_e32 vcc_lo, 32, v9
	v_and_b32_sdwa v1, v1, v101 dst_sel:DWORD dst_unused:UNUSED_PAD src0_sel:BYTE_3 src1_sel:DWORD
	v_lshlrev_b32_e32 v5, 2, v5
	v_cndmask_b32_e32 v4, 3, v4, vcc_lo
	v_and_b32_e32 v5, 0xfc, v5
	v_or_b32_e32 v8, v9, v4
	v_and_b32_e32 v4, 3, v4
	v_cmp_ne_u32_e32 vcc_lo, 0, v8
	v_or3_b32 v1, v5, v1, v4
	v_cndmask_b32_e32 v36, 0, v1, vcc_lo
.LBB4_802:                              ;   in Loop: Header=BB4_137 Depth=3
	s_or_b32 exec_lo, exec_lo, s73
.LBB4_803:                              ;   in Loop: Header=BB4_137 Depth=3
	s_or_b32 exec_lo, exec_lo, s72
	v_cmp_gt_i16_sdwa s72, v11, v100 src0_sel:BYTE_3 src1_sel:DWORD
	s_mov_b32 s16, 0
	s_and_saveexec_b32 s73, s72
	s_xor_b32 s72, exec_lo, s73
	s_cbranch_execz .LBB4_1133
; %bb.804:                              ;   in Loop: Header=BB4_137 Depth=3
	v_cmp_eq_u16_sdwa s74, v11, v101 src0_sel:BYTE_3 src1_sel:DWORD
	s_mov_b32 s16, -1
	s_and_saveexec_b32 s73, s74
; %bb.805:                              ;   in Loop: Header=BB4_137 Depth=3
	s_xor_b32 s16, exec_lo, -1
; %bb.806:                              ;   in Loop: Header=BB4_137 Depth=3
	s_or_b32 exec_lo, exec_lo, s73
	s_and_b32 s16, s16, exec_lo
	s_or_saveexec_b32 s72, s72
	v_mov_b32_e32 v1, 0x7f800001
	s_xor_b32 exec_lo, exec_lo, s72
	s_cbranch_execnz .LBB4_1134
.LBB4_807:                              ;   in Loop: Header=BB4_137 Depth=3
	s_or_b32 exec_lo, exec_lo, s72
	s_and_saveexec_b32 s72, s16
	s_cbranch_execz .LBB4_809
.LBB4_808:                              ;   in Loop: Header=BB4_137 Depth=3
	v_bfe_u32 v1, v11, 24, 2
	v_bfe_u32 v8, v11, 26, 5
	v_ffbh_u32_e32 v4, v1
	v_cmp_eq_u32_e32 vcc_lo, 0, v8
	v_min_u32_e32 v4, 32, v4
	v_subrev_nc_u32_e32 v5, 29, v4
	v_sub_nc_u32_e32 v4, 30, v4
	v_lshlrev_b32_sdwa v5, v5, v11 dst_sel:DWORD dst_unused:UNUSED_PAD src0_sel:DWORD src1_sel:BYTE_3
	v_cndmask_b32_e32 v4, v8, v4, vcc_lo
	v_and_b32_e32 v5, 3, v5
	v_lshl_add_u32 v4, v4, 23, 0x37800000
	v_cndmask_b32_e32 v1, v1, v5, vcc_lo
	v_and_b32_e32 v5, 0x80000000, v11
	v_lshlrev_b32_e32 v1, 21, v1
	v_or3_b32 v1, v5, v4, v1
.LBB4_809:                              ;   in Loop: Header=BB4_137 Depth=3
	s_or_b32 exec_lo, exec_lo, s72
	v_mul_f32_e32 v1, s63, v1
	v_mov_b32_e32 v37, 0x8000
	s_mov_b32 s72, exec_lo
	v_and_b32_e32 v4, 0x7f800000, v1
	v_cmpx_ne_u32_e32 0x7f800000, v4
	s_cbranch_execz .LBB4_817
; %bb.810:                              ;   in Loop: Header=BB4_137 Depth=3
	v_mov_b32_e32 v37, 0
	s_mov_b32 s73, exec_lo
	v_cmpx_ne_u32_e32 0, v1
	s_cbranch_execz .LBB4_816
; %bb.811:                              ;   in Loop: Header=BB4_137 Depth=3
	v_bfe_u32 v5, v1, 23, 8
	v_and_b32_e32 v4, 0x7fffff, v1
	v_cmp_gt_u32_e64 s16, 0x71, v5
	v_sub_nc_u32_e32 v8, 0x70, v5
	v_cmp_eq_u32_e32 vcc_lo, 0, v5
	v_or_b32_e32 v9, 0x800000, v4
	v_cndmask_b32_e64 v8, 0, v8, s16
	v_cndmask_b32_e32 v4, v9, v4, vcc_lo
	v_cndmask_b32_e64 v8, v8, 0x6f, vcc_lo
	v_lshl_add_u32 v9, 0x200000, v8, -1
	v_lshlrev_b32_e64 v10, v8, 0x100000
	v_and_b32_e32 v9, v9, v4
	v_cmp_eq_u32_e64 s16, v9, v10
	v_lshrrev_b32_e32 v9, v8, v4
	v_add_nc_u32_e32 v4, 0xffffff91, v5
	v_lshrrev_b32_e32 v5, 23, v9
	v_cndmask_b32_e64 v4, v4, 0xffffff92, vcc_lo
	v_xor_b32_e32 v5, 1, v5
	v_add_nc_u32_e32 v4, v8, v4
	v_bfe_u32 v8, v9, 21, 1
	v_add_nc_u32_e32 v8, -1, v8
	v_cndmask_b32_e64 v8, 0, v8, s16
	s_mov_b32 s16, exec_lo
	v_add_nc_u32_e32 v8, v8, v9
	v_and_b32_e32 v8, 0x1fffff, v8
	v_add_nc_u32_e32 v8, v8, v9
                                        ; implicit-def: $vgpr9
	v_cmpx_ne_u32_e64 v4, v5
	s_xor_b32 s16, exec_lo, s16
; %bb.812:                              ;   in Loop: Header=BB4_137 Depth=3
	v_cmp_lt_u32_e32 vcc_lo, 0xffffff, v8
	v_sub_nc_u32_e32 v4, v4, v5
	v_cndmask_b32_e64 v5, 0, 1, vcc_lo
	v_add_co_ci_u32_e64 v9, null, 0, v4, vcc_lo
	v_lshrrev_b32_e32 v8, v5, v8
; %bb.813:                              ;   in Loop: Header=BB4_137 Depth=3
	s_andn2_saveexec_b32 s16, s16
; %bb.814:                              ;   in Loop: Header=BB4_137 Depth=3
	v_bfe_u32 v9, v8, 23, 1
; %bb.815:                              ;   in Loop: Header=BB4_137 Depth=3
	s_or_b32 exec_lo, exec_lo, s16
	v_lshrrev_b32_e32 v4, 21, v8
	v_min_i32_e32 v5, 31, v9
	v_cmp_gt_i32_e32 vcc_lo, 32, v9
	v_and_b32_sdwa v1, v1, v101 dst_sel:DWORD dst_unused:UNUSED_PAD src0_sel:BYTE_3 src1_sel:DWORD
	v_lshlrev_b32_e32 v5, 2, v5
	v_cndmask_b32_e32 v4, 3, v4, vcc_lo
	v_and_b32_e32 v5, 0xfc, v5
	v_or_b32_e32 v8, v9, v4
	v_and_b32_e32 v4, 3, v4
	v_cmp_ne_u32_e32 vcc_lo, 0, v8
	v_or3_b32 v1, v1, v5, v4
	v_lshlrev_b32_e32 v1, 8, v1
	v_cndmask_b32_e32 v37, 0, v1, vcc_lo
.LBB4_816:                              ;   in Loop: Header=BB4_137 Depth=3
	s_or_b32 exec_lo, exec_lo, s73
.LBB4_817:                              ;   in Loop: Header=BB4_137 Depth=3
	s_or_b32 exec_lo, exec_lo, s72
	global_load_dwordx4 v[8:11], v[68:69], off offset:1536 slc
	s_mov_b32 s72, 0
	s_waitcnt vmcnt(0)
	v_cmp_gt_i16_sdwa s16, v8, v100 src0_sel:BYTE_0 src1_sel:DWORD
	s_and_saveexec_b32 s73, s16
	s_xor_b32 s16, exec_lo, s73
	s_cbranch_execz .LBB4_1135
; %bb.818:                              ;   in Loop: Header=BB4_137 Depth=3
	v_cmp_eq_u16_sdwa s74, v8, v101 src0_sel:BYTE_0 src1_sel:DWORD
	s_mov_b32 s72, -1
	s_and_saveexec_b32 s73, s74
; %bb.819:                              ;   in Loop: Header=BB4_137 Depth=3
	s_xor_b32 s72, exec_lo, -1
; %bb.820:                              ;   in Loop: Header=BB4_137 Depth=3
	s_or_b32 exec_lo, exec_lo, s73
	s_and_b32 s72, s72, exec_lo
	s_or_saveexec_b32 s16, s16
	v_mov_b32_e32 v1, 0x7f800001
	s_xor_b32 exec_lo, exec_lo, s16
	s_cbranch_execnz .LBB4_1136
.LBB4_821:                              ;   in Loop: Header=BB4_137 Depth=3
	s_or_b32 exec_lo, exec_lo, s16
	s_and_saveexec_b32 s16, s72
	s_cbranch_execz .LBB4_823
.LBB4_822:                              ;   in Loop: Header=BB4_137 Depth=3
	v_and_b32_e32 v1, 3, v8
	v_bfe_u32 v4, v8, 2, 5
	v_ffbh_u32_e32 v5, v1
	v_cmp_eq_u32_e32 vcc_lo, 0, v4
	v_min_u32_e32 v5, 32, v5
	v_subrev_nc_u32_e32 v14, 29, v5
	v_sub_nc_u32_e32 v5, 30, v5
	v_lshlrev_b32_e32 v14, v14, v8
	v_cndmask_b32_e32 v4, v4, v5, vcc_lo
	v_lshlrev_b32_e32 v5, 24, v8
	v_and_b32_e32 v14, 3, v14
	v_lshl_add_u32 v4, v4, 23, 0x37800000
	v_and_b32_e32 v5, 0x80000000, v5
	v_cndmask_b32_e32 v1, v1, v14, vcc_lo
	v_lshlrev_b32_e32 v1, 21, v1
	v_or3_b32 v1, v5, v4, v1
.LBB4_823:                              ;   in Loop: Header=BB4_137 Depth=3
	s_or_b32 exec_lo, exec_lo, s16
	v_mul_f32_e32 v1, s63, v1
	v_mov_b32_e32 v68, 0x80
	s_mov_b32 s72, exec_lo
	v_and_b32_e32 v4, 0x7f800000, v1
	v_cmpx_ne_u32_e32 0x7f800000, v4
	s_cbranch_execz .LBB4_831
; %bb.824:                              ;   in Loop: Header=BB4_137 Depth=3
	v_mov_b32_e32 v68, 0
	s_mov_b32 s73, exec_lo
	v_cmpx_ne_u32_e32 0, v1
	s_cbranch_execz .LBB4_830
; %bb.825:                              ;   in Loop: Header=BB4_137 Depth=3
	v_bfe_u32 v5, v1, 23, 8
	v_and_b32_e32 v4, 0x7fffff, v1
	v_cmp_gt_u32_e64 s16, 0x71, v5
	v_sub_nc_u32_e32 v14, 0x70, v5
	v_cmp_eq_u32_e32 vcc_lo, 0, v5
	v_or_b32_e32 v15, 0x800000, v4
	v_cndmask_b32_e64 v14, 0, v14, s16
	v_cndmask_b32_e32 v4, v15, v4, vcc_lo
	v_cndmask_b32_e64 v14, v14, 0x6f, vcc_lo
	v_lshl_add_u32 v15, 0x200000, v14, -1
	v_lshlrev_b32_e64 v31, v14, 0x100000
	v_and_b32_e32 v15, v15, v4
	v_cmp_eq_u32_e64 s16, v15, v31
	v_lshrrev_b32_e32 v15, v14, v4
	v_add_nc_u32_e32 v4, 0xffffff91, v5
	v_lshrrev_b32_e32 v5, 23, v15
	v_cndmask_b32_e64 v4, v4, 0xffffff92, vcc_lo
	v_xor_b32_e32 v5, 1, v5
	v_add_nc_u32_e32 v4, v14, v4
	v_bfe_u32 v14, v15, 21, 1
	v_add_nc_u32_e32 v14, -1, v14
	v_cndmask_b32_e64 v14, 0, v14, s16
	s_mov_b32 s16, exec_lo
	v_add_nc_u32_e32 v14, v14, v15
	v_and_b32_e32 v14, 0x1fffff, v14
	v_add_nc_u32_e32 v31, v14, v15
                                        ; implicit-def: $vgpr14
	v_cmpx_ne_u32_e64 v4, v5
	s_xor_b32 s16, exec_lo, s16
; %bb.826:                              ;   in Loop: Header=BB4_137 Depth=3
	v_cmp_lt_u32_e32 vcc_lo, 0xffffff, v31
	v_sub_nc_u32_e32 v4, v4, v5
	v_cndmask_b32_e64 v5, 0, 1, vcc_lo
	v_add_co_ci_u32_e64 v14, null, 0, v4, vcc_lo
	v_lshrrev_b32_e32 v31, v5, v31
; %bb.827:                              ;   in Loop: Header=BB4_137 Depth=3
	s_andn2_saveexec_b32 s16, s16
; %bb.828:                              ;   in Loop: Header=BB4_137 Depth=3
	v_bfe_u32 v14, v31, 23, 1
; %bb.829:                              ;   in Loop: Header=BB4_137 Depth=3
	s_or_b32 exec_lo, exec_lo, s16
	v_lshrrev_b32_e32 v4, 21, v31
	v_min_i32_e32 v5, 31, v14
	v_cmp_gt_i32_e32 vcc_lo, 32, v14
	v_and_b32_sdwa v1, v1, v101 dst_sel:DWORD dst_unused:UNUSED_PAD src0_sel:BYTE_3 src1_sel:DWORD
	v_lshlrev_b32_e32 v5, 2, v5
	v_cndmask_b32_e32 v4, 3, v4, vcc_lo
	v_and_b32_e32 v5, 0xfc, v5
	v_or_b32_e32 v14, v14, v4
	v_and_b32_e32 v4, 3, v4
	v_cmp_ne_u32_e32 vcc_lo, 0, v14
	v_or3_b32 v1, v5, v1, v4
	v_cndmask_b32_e32 v68, 0, v1, vcc_lo
.LBB4_830:                              ;   in Loop: Header=BB4_137 Depth=3
	s_or_b32 exec_lo, exec_lo, s73
.LBB4_831:                              ;   in Loop: Header=BB4_137 Depth=3
	s_or_b32 exec_lo, exec_lo, s72
	v_cmp_gt_i16_sdwa s72, v8, v100 src0_sel:BYTE_1 src1_sel:DWORD
	s_mov_b32 s16, 0
	s_and_saveexec_b32 s73, s72
	s_xor_b32 s72, exec_lo, s73
	s_cbranch_execz .LBB4_1137
; %bb.832:                              ;   in Loop: Header=BB4_137 Depth=3
	v_cmp_eq_u16_sdwa s74, v8, v101 src0_sel:BYTE_1 src1_sel:DWORD
	s_mov_b32 s16, -1
	s_and_saveexec_b32 s73, s74
; %bb.833:                              ;   in Loop: Header=BB4_137 Depth=3
	s_xor_b32 s16, exec_lo, -1
; %bb.834:                              ;   in Loop: Header=BB4_137 Depth=3
	s_or_b32 exec_lo, exec_lo, s73
	s_and_b32 s16, s16, exec_lo
	s_or_saveexec_b32 s72, s72
	v_mov_b32_e32 v1, 0x7f800001
	s_xor_b32 exec_lo, exec_lo, s72
	s_cbranch_execnz .LBB4_1138
.LBB4_835:                              ;   in Loop: Header=BB4_137 Depth=3
	s_or_b32 exec_lo, exec_lo, s72
	s_and_saveexec_b32 s72, s16
	s_cbranch_execz .LBB4_837
.LBB4_836:                              ;   in Loop: Header=BB4_137 Depth=3
	v_and_b32_sdwa v1, v102, v8 dst_sel:DWORD dst_unused:UNUSED_PAD src0_sel:DWORD src1_sel:BYTE_1
	v_and_b32_e32 v4, 3, v1
	v_bfe_u32 v15, v1, 2, 5
	v_ffbh_u32_e32 v5, v4
	v_cmp_eq_u32_e32 vcc_lo, 0, v15
	v_min_u32_e32 v5, 32, v5
	v_subrev_nc_u32_e32 v14, 29, v5
	v_sub_nc_u32_e32 v5, 30, v5
	v_lshlrev_b32_e32 v1, v14, v1
	v_lshlrev_b32_sdwa v14, v103, v8 dst_sel:DWORD dst_unused:UNUSED_PAD src0_sel:DWORD src1_sel:BYTE_1
	v_cndmask_b32_e32 v5, v15, v5, vcc_lo
	v_and_b32_e32 v1, 3, v1
	v_lshl_add_u32 v5, v5, 23, 0x37800000
	v_cndmask_b32_e32 v1, v4, v1, vcc_lo
	v_and_b32_e32 v4, 0x80000000, v14
	v_lshlrev_b32_e32 v1, 21, v1
	v_or3_b32 v1, v4, v5, v1
.LBB4_837:                              ;   in Loop: Header=BB4_137 Depth=3
	s_or_b32 exec_lo, exec_lo, s72
	v_mul_f32_e32 v1, s63, v1
	v_mov_b32_e32 v69, 0x8000
	s_mov_b32 s72, exec_lo
	v_and_b32_e32 v4, 0x7f800000, v1
	v_cmpx_ne_u32_e32 0x7f800000, v4
	s_cbranch_execz .LBB4_845
; %bb.838:                              ;   in Loop: Header=BB4_137 Depth=3
	v_mov_b32_e32 v69, 0
	s_mov_b32 s73, exec_lo
	v_cmpx_ne_u32_e32 0, v1
	s_cbranch_execz .LBB4_844
; %bb.839:                              ;   in Loop: Header=BB4_137 Depth=3
	v_bfe_u32 v5, v1, 23, 8
	v_and_b32_e32 v4, 0x7fffff, v1
	v_cmp_gt_u32_e64 s16, 0x71, v5
	v_sub_nc_u32_e32 v14, 0x70, v5
	v_cmp_eq_u32_e32 vcc_lo, 0, v5
	v_or_b32_e32 v15, 0x800000, v4
	v_cndmask_b32_e64 v14, 0, v14, s16
	v_cndmask_b32_e32 v4, v15, v4, vcc_lo
	v_cndmask_b32_e64 v14, v14, 0x6f, vcc_lo
	v_lshl_add_u32 v15, 0x200000, v14, -1
	v_lshlrev_b32_e64 v31, v14, 0x100000
	v_and_b32_e32 v15, v15, v4
	v_cmp_eq_u32_e64 s16, v15, v31
	v_lshrrev_b32_e32 v15, v14, v4
	v_add_nc_u32_e32 v4, 0xffffff91, v5
	v_lshrrev_b32_e32 v5, 23, v15
	v_cndmask_b32_e64 v4, v4, 0xffffff92, vcc_lo
	v_xor_b32_e32 v5, 1, v5
	v_add_nc_u32_e32 v4, v14, v4
	v_bfe_u32 v14, v15, 21, 1
	v_add_nc_u32_e32 v14, -1, v14
	v_cndmask_b32_e64 v14, 0, v14, s16
	s_mov_b32 s16, exec_lo
	v_add_nc_u32_e32 v14, v14, v15
	v_and_b32_e32 v14, 0x1fffff, v14
	v_add_nc_u32_e32 v31, v14, v15
                                        ; implicit-def: $vgpr14
	v_cmpx_ne_u32_e64 v4, v5
	s_xor_b32 s16, exec_lo, s16
; %bb.840:                              ;   in Loop: Header=BB4_137 Depth=3
	v_cmp_lt_u32_e32 vcc_lo, 0xffffff, v31
	v_sub_nc_u32_e32 v4, v4, v5
	v_cndmask_b32_e64 v5, 0, 1, vcc_lo
	v_add_co_ci_u32_e64 v14, null, 0, v4, vcc_lo
	v_lshrrev_b32_e32 v31, v5, v31
; %bb.841:                              ;   in Loop: Header=BB4_137 Depth=3
	s_andn2_saveexec_b32 s16, s16
; %bb.842:                              ;   in Loop: Header=BB4_137 Depth=3
	v_bfe_u32 v14, v31, 23, 1
; %bb.843:                              ;   in Loop: Header=BB4_137 Depth=3
	s_or_b32 exec_lo, exec_lo, s16
	v_lshrrev_b32_e32 v4, 21, v31
	v_min_i32_e32 v5, 31, v14
	v_cmp_gt_i32_e32 vcc_lo, 32, v14
	v_and_b32_sdwa v1, v1, v101 dst_sel:DWORD dst_unused:UNUSED_PAD src0_sel:BYTE_3 src1_sel:DWORD
	v_lshlrev_b32_e32 v5, 2, v5
	v_cndmask_b32_e32 v4, 3, v4, vcc_lo
	v_and_b32_e32 v5, 0xfc, v5
	v_or_b32_e32 v14, v14, v4
	v_and_b32_e32 v4, 3, v4
	v_cmp_ne_u32_e32 vcc_lo, 0, v14
	v_or3_b32 v1, v1, v5, v4
	v_lshlrev_b32_e32 v1, 8, v1
	v_cndmask_b32_e32 v69, 0, v1, vcc_lo
.LBB4_844:                              ;   in Loop: Header=BB4_137 Depth=3
	s_or_b32 exec_lo, exec_lo, s73
.LBB4_845:                              ;   in Loop: Header=BB4_137 Depth=3
	s_or_b32 exec_lo, exec_lo, s72
	v_and_b32_sdwa v4, v8, v112 dst_sel:DWORD dst_unused:UNUSED_PAD src0_sel:WORD_1 src1_sel:DWORD
	s_mov_b32 s72, 0
	s_mov_b32 s16, exec_lo
	v_cmpx_lt_i16_e32 0x7f, v4
	s_xor_b32 s16, exec_lo, s16
	s_cbranch_execz .LBB4_1139
; %bb.846:                              ;   in Loop: Header=BB4_137 Depth=3
	s_mov_b32 s72, -1
	s_mov_b32 s73, exec_lo
	v_cmpx_eq_u16_e32 0x80, v4
; %bb.847:                              ;   in Loop: Header=BB4_137 Depth=3
	s_xor_b32 s72, exec_lo, -1
; %bb.848:                              ;   in Loop: Header=BB4_137 Depth=3
	s_or_b32 exec_lo, exec_lo, s73
	s_and_b32 s72, s72, exec_lo
                                        ; implicit-def: $vgpr4
	s_or_saveexec_b32 s16, s16
	v_mov_b32_e32 v1, 0x7f800001
	s_xor_b32 exec_lo, exec_lo, s16
	s_cbranch_execnz .LBB4_1140
.LBB4_849:                              ;   in Loop: Header=BB4_137 Depth=3
	s_or_b32 exec_lo, exec_lo, s16
	s_and_saveexec_b32 s16, s72
	s_cbranch_execz .LBB4_851
.LBB4_850:                              ;   in Loop: Header=BB4_137 Depth=3
	v_bfe_u32 v1, v8, 16, 2
	v_bfe_u32 v4, v8, 18, 5
	v_ffbh_u32_e32 v5, v1
	v_cmp_eq_u32_e32 vcc_lo, 0, v4
	v_min_u32_e32 v5, 32, v5
	v_subrev_nc_u32_e32 v14, 29, v5
	v_sub_nc_u32_e32 v5, 30, v5
	v_lshlrev_b32_sdwa v14, v14, v8 dst_sel:DWORD dst_unused:UNUSED_PAD src0_sel:DWORD src1_sel:WORD_1
	v_cndmask_b32_e32 v4, v4, v5, vcc_lo
	v_lshlrev_b32_e32 v5, 8, v8
	v_and_b32_e32 v14, 3, v14
	v_lshl_add_u32 v4, v4, 23, 0x37800000
	v_and_b32_e32 v5, 0x80000000, v5
	v_cndmask_b32_e32 v1, v1, v14, vcc_lo
	v_lshlrev_b32_e32 v1, 21, v1
	v_or3_b32 v1, v5, v4, v1
.LBB4_851:                              ;   in Loop: Header=BB4_137 Depth=3
	s_or_b32 exec_lo, exec_lo, s16
	v_mul_f32_e32 v1, s63, v1
	v_and_b32_e32 v4, 0x7f800000, v1
	v_cmp_ne_u32_e32 vcc_lo, 0x7f800000, v4
	v_mov_b32_e32 v4, 0x80
	s_and_saveexec_b32 s72, vcc_lo
	s_cbranch_execz .LBB4_859
; %bb.852:                              ;   in Loop: Header=BB4_137 Depth=3
	v_mov_b32_e32 v4, 0
	s_mov_b32 s73, exec_lo
	v_cmpx_ne_u32_e32 0, v1
	s_cbranch_execz .LBB4_858
; %bb.853:                              ;   in Loop: Header=BB4_137 Depth=3
	v_bfe_u32 v5, v1, 23, 8
	v_and_b32_e32 v4, 0x7fffff, v1
	v_cmp_gt_u32_e64 s16, 0x71, v5
	v_sub_nc_u32_e32 v14, 0x70, v5
	v_cmp_eq_u32_e32 vcc_lo, 0, v5
	v_or_b32_e32 v15, 0x800000, v4
	v_cndmask_b32_e64 v14, 0, v14, s16
	v_cndmask_b32_e32 v4, v15, v4, vcc_lo
	v_cndmask_b32_e64 v14, v14, 0x6f, vcc_lo
	v_lshl_add_u32 v15, 0x200000, v14, -1
	v_lshlrev_b32_e64 v31, v14, 0x100000
	v_and_b32_e32 v15, v15, v4
	v_cmp_eq_u32_e64 s16, v15, v31
	v_lshrrev_b32_e32 v15, v14, v4
	v_add_nc_u32_e32 v4, 0xffffff91, v5
	v_lshrrev_b32_e32 v5, 23, v15
	v_cndmask_b32_e64 v4, v4, 0xffffff92, vcc_lo
	v_xor_b32_e32 v5, 1, v5
	v_add_nc_u32_e32 v4, v14, v4
	v_bfe_u32 v14, v15, 21, 1
	v_add_nc_u32_e32 v14, -1, v14
	v_cndmask_b32_e64 v14, 0, v14, s16
	s_mov_b32 s16, exec_lo
	v_add_nc_u32_e32 v14, v14, v15
	v_and_b32_e32 v14, 0x1fffff, v14
	v_add_nc_u32_e32 v31, v14, v15
                                        ; implicit-def: $vgpr14
	v_cmpx_ne_u32_e64 v4, v5
	s_xor_b32 s16, exec_lo, s16
; %bb.854:                              ;   in Loop: Header=BB4_137 Depth=3
	v_cmp_lt_u32_e32 vcc_lo, 0xffffff, v31
	v_sub_nc_u32_e32 v4, v4, v5
	v_cndmask_b32_e64 v5, 0, 1, vcc_lo
	v_add_co_ci_u32_e64 v14, null, 0, v4, vcc_lo
	v_lshrrev_b32_e32 v31, v5, v31
; %bb.855:                              ;   in Loop: Header=BB4_137 Depth=3
	s_andn2_saveexec_b32 s16, s16
; %bb.856:                              ;   in Loop: Header=BB4_137 Depth=3
	v_bfe_u32 v14, v31, 23, 1
; %bb.857:                              ;   in Loop: Header=BB4_137 Depth=3
	s_or_b32 exec_lo, exec_lo, s16
	v_lshrrev_b32_e32 v4, 21, v31
	v_min_i32_e32 v5, 31, v14
	v_cmp_gt_i32_e32 vcc_lo, 32, v14
	v_and_b32_sdwa v1, v1, v101 dst_sel:DWORD dst_unused:UNUSED_PAD src0_sel:BYTE_3 src1_sel:DWORD
	v_lshlrev_b32_e32 v5, 2, v5
	v_cndmask_b32_e32 v4, 3, v4, vcc_lo
	v_and_b32_e32 v5, 0xfc, v5
	v_or_b32_e32 v14, v14, v4
	v_and_b32_e32 v4, 3, v4
	v_cmp_ne_u32_e32 vcc_lo, 0, v14
	v_or3_b32 v1, v5, v1, v4
	v_cndmask_b32_e32 v4, 0, v1, vcc_lo
.LBB4_858:                              ;   in Loop: Header=BB4_137 Depth=3
	s_or_b32 exec_lo, exec_lo, s73
.LBB4_859:                              ;   in Loop: Header=BB4_137 Depth=3
	s_or_b32 exec_lo, exec_lo, s72
	v_cmp_gt_i16_sdwa s72, v8, v100 src0_sel:BYTE_3 src1_sel:DWORD
	s_mov_b32 s16, 0
	s_and_saveexec_b32 s73, s72
	s_xor_b32 s72, exec_lo, s73
	s_cbranch_execz .LBB4_1141
; %bb.860:                              ;   in Loop: Header=BB4_137 Depth=3
	v_cmp_eq_u16_sdwa s74, v8, v101 src0_sel:BYTE_3 src1_sel:DWORD
	s_mov_b32 s16, -1
	s_and_saveexec_b32 s73, s74
; %bb.861:                              ;   in Loop: Header=BB4_137 Depth=3
	s_xor_b32 s16, exec_lo, -1
; %bb.862:                              ;   in Loop: Header=BB4_137 Depth=3
	s_or_b32 exec_lo, exec_lo, s73
	s_and_b32 s16, s16, exec_lo
	s_or_saveexec_b32 s72, s72
	v_mov_b32_e32 v1, 0x7f800001
	s_xor_b32 exec_lo, exec_lo, s72
	s_cbranch_execnz .LBB4_1142
.LBB4_863:                              ;   in Loop: Header=BB4_137 Depth=3
	s_or_b32 exec_lo, exec_lo, s72
	s_and_saveexec_b32 s72, s16
	s_cbranch_execz .LBB4_865
.LBB4_864:                              ;   in Loop: Header=BB4_137 Depth=3
	v_bfe_u32 v1, v8, 24, 2
	v_bfe_u32 v15, v8, 26, 5
	v_ffbh_u32_e32 v5, v1
	v_cmp_eq_u32_e32 vcc_lo, 0, v15
	v_min_u32_e32 v5, 32, v5
	v_subrev_nc_u32_e32 v14, 29, v5
	v_sub_nc_u32_e32 v5, 30, v5
	v_lshlrev_b32_sdwa v14, v14, v8 dst_sel:DWORD dst_unused:UNUSED_PAD src0_sel:DWORD src1_sel:BYTE_3
	v_cndmask_b32_e32 v5, v15, v5, vcc_lo
	v_and_b32_e32 v8, 0x80000000, v8
	v_and_b32_e32 v14, 3, v14
	v_lshl_add_u32 v5, v5, 23, 0x37800000
	v_cndmask_b32_e32 v1, v1, v14, vcc_lo
	v_lshlrev_b32_e32 v1, 21, v1
	v_or3_b32 v1, v8, v5, v1
.LBB4_865:                              ;   in Loop: Header=BB4_137 Depth=3
	s_or_b32 exec_lo, exec_lo, s72
	v_mul_f32_e32 v1, s63, v1
	v_and_b32_e32 v5, 0x7f800000, v1
	v_cmp_ne_u32_e32 vcc_lo, 0x7f800000, v5
	v_mov_b32_e32 v5, 0x8000
	s_and_saveexec_b32 s72, vcc_lo
	s_cbranch_execz .LBB4_873
; %bb.866:                              ;   in Loop: Header=BB4_137 Depth=3
	v_mov_b32_e32 v5, 0
	s_mov_b32 s73, exec_lo
	v_cmpx_ne_u32_e32 0, v1
	s_cbranch_execz .LBB4_872
; %bb.867:                              ;   in Loop: Header=BB4_137 Depth=3
	v_bfe_u32 v8, v1, 23, 8
	v_and_b32_e32 v5, 0x7fffff, v1
	v_cmp_gt_u32_e64 s16, 0x71, v8
	v_sub_nc_u32_e32 v14, 0x70, v8
	v_cmp_eq_u32_e32 vcc_lo, 0, v8
	v_or_b32_e32 v15, 0x800000, v5
	v_cndmask_b32_e64 v14, 0, v14, s16
	v_cndmask_b32_e32 v5, v15, v5, vcc_lo
	v_cndmask_b32_e64 v14, v14, 0x6f, vcc_lo
	v_lshl_add_u32 v15, 0x200000, v14, -1
	v_lshlrev_b32_e64 v31, v14, 0x100000
	v_and_b32_e32 v15, v15, v5
	v_cmp_eq_u32_e64 s16, v15, v31
	v_lshrrev_b32_e32 v15, v14, v5
	v_add_nc_u32_e32 v5, 0xffffff91, v8
	v_lshrrev_b32_e32 v8, 23, v15
	v_cndmask_b32_e64 v5, v5, 0xffffff92, vcc_lo
	v_xor_b32_e32 v8, 1, v8
	v_add_nc_u32_e32 v5, v14, v5
	v_bfe_u32 v14, v15, 21, 1
	v_add_nc_u32_e32 v14, -1, v14
	v_cndmask_b32_e64 v14, 0, v14, s16
	s_mov_b32 s16, exec_lo
	v_add_nc_u32_e32 v14, v14, v15
	v_and_b32_e32 v14, 0x1fffff, v14
	v_add_nc_u32_e32 v31, v14, v15
                                        ; implicit-def: $vgpr14
	v_cmpx_ne_u32_e64 v5, v8
	s_xor_b32 s16, exec_lo, s16
; %bb.868:                              ;   in Loop: Header=BB4_137 Depth=3
	v_cmp_lt_u32_e32 vcc_lo, 0xffffff, v31
	v_sub_nc_u32_e32 v5, v5, v8
	v_cndmask_b32_e64 v8, 0, 1, vcc_lo
	v_add_co_ci_u32_e64 v14, null, 0, v5, vcc_lo
	v_lshrrev_b32_e32 v31, v8, v31
; %bb.869:                              ;   in Loop: Header=BB4_137 Depth=3
	s_andn2_saveexec_b32 s16, s16
; %bb.870:                              ;   in Loop: Header=BB4_137 Depth=3
	v_bfe_u32 v14, v31, 23, 1
; %bb.871:                              ;   in Loop: Header=BB4_137 Depth=3
	s_or_b32 exec_lo, exec_lo, s16
	v_lshrrev_b32_e32 v5, 21, v31
	v_min_i32_e32 v8, 31, v14
	v_cmp_gt_i32_e32 vcc_lo, 32, v14
	v_and_b32_sdwa v1, v1, v101 dst_sel:DWORD dst_unused:UNUSED_PAD src0_sel:BYTE_3 src1_sel:DWORD
	v_lshlrev_b32_e32 v8, 2, v8
	v_cndmask_b32_e32 v5, 3, v5, vcc_lo
	v_and_b32_e32 v8, 0xfc, v8
	v_or_b32_e32 v14, v14, v5
	v_and_b32_e32 v5, 3, v5
	v_cmp_ne_u32_e32 vcc_lo, 0, v14
	v_or3_b32 v1, v1, v8, v5
	v_lshlrev_b32_e32 v1, 8, v1
	v_cndmask_b32_e32 v5, 0, v1, vcc_lo
.LBB4_872:                              ;   in Loop: Header=BB4_137 Depth=3
	s_or_b32 exec_lo, exec_lo, s73
.LBB4_873:                              ;   in Loop: Header=BB4_137 Depth=3
	s_or_b32 exec_lo, exec_lo, s72
	v_cmp_gt_i16_sdwa s16, v9, v100 src0_sel:BYTE_0 src1_sel:DWORD
	s_mov_b32 s72, 0
	s_and_saveexec_b32 s73, s16
	s_xor_b32 s16, exec_lo, s73
	s_cbranch_execz .LBB4_1143
; %bb.874:                              ;   in Loop: Header=BB4_137 Depth=3
	v_cmp_eq_u16_sdwa s74, v9, v101 src0_sel:BYTE_0 src1_sel:DWORD
	s_mov_b32 s72, -1
	s_and_saveexec_b32 s73, s74
; %bb.875:                              ;   in Loop: Header=BB4_137 Depth=3
	s_xor_b32 s72, exec_lo, -1
; %bb.876:                              ;   in Loop: Header=BB4_137 Depth=3
	s_or_b32 exec_lo, exec_lo, s73
	s_and_b32 s72, s72, exec_lo
	s_or_saveexec_b32 s16, s16
	v_mov_b32_e32 v1, 0x7f800001
	s_xor_b32 exec_lo, exec_lo, s16
	s_cbranch_execnz .LBB4_1144
.LBB4_877:                              ;   in Loop: Header=BB4_137 Depth=3
	s_or_b32 exec_lo, exec_lo, s16
	s_and_saveexec_b32 s16, s72
	s_cbranch_execz .LBB4_879
.LBB4_878:                              ;   in Loop: Header=BB4_137 Depth=3
	v_and_b32_e32 v1, 3, v9
	v_bfe_u32 v8, v9, 2, 5
	v_ffbh_u32_e32 v14, v1
	v_cmp_eq_u32_e32 vcc_lo, 0, v8
	v_min_u32_e32 v14, 32, v14
	v_subrev_nc_u32_e32 v15, 29, v14
	v_sub_nc_u32_e32 v14, 30, v14
	v_lshlrev_b32_e32 v15, v15, v9
	v_cndmask_b32_e32 v8, v8, v14, vcc_lo
	v_lshlrev_b32_e32 v14, 24, v9
	v_and_b32_e32 v15, 3, v15
	v_lshl_add_u32 v8, v8, 23, 0x37800000
	v_and_b32_e32 v14, 0x80000000, v14
	v_cndmask_b32_e32 v1, v1, v15, vcc_lo
	v_lshlrev_b32_e32 v1, 21, v1
	v_or3_b32 v1, v14, v8, v1
.LBB4_879:                              ;   in Loop: Header=BB4_137 Depth=3
	s_or_b32 exec_lo, exec_lo, s16
	v_mul_f32_e32 v1, s63, v1
	v_and_b32_e32 v8, 0x7f800000, v1
	v_cmp_ne_u32_e32 vcc_lo, 0x7f800000, v8
	v_mov_b32_e32 v8, 0x80
	s_and_saveexec_b32 s72, vcc_lo
	s_cbranch_execz .LBB4_887
; %bb.880:                              ;   in Loop: Header=BB4_137 Depth=3
	v_mov_b32_e32 v8, 0
	s_mov_b32 s73, exec_lo
	v_cmpx_ne_u32_e32 0, v1
	s_cbranch_execz .LBB4_886
; %bb.881:                              ;   in Loop: Header=BB4_137 Depth=3
	v_bfe_u32 v14, v1, 23, 8
	v_and_b32_e32 v8, 0x7fffff, v1
	v_cmp_gt_u32_e64 s16, 0x71, v14
	v_sub_nc_u32_e32 v15, 0x70, v14
	v_cmp_eq_u32_e32 vcc_lo, 0, v14
	v_or_b32_e32 v31, 0x800000, v8
	v_cndmask_b32_e64 v15, 0, v15, s16
	v_cndmask_b32_e32 v8, v31, v8, vcc_lo
	v_cndmask_b32_e64 v15, v15, 0x6f, vcc_lo
	v_lshl_add_u32 v31, 0x200000, v15, -1
	v_lshlrev_b32_e64 v34, v15, 0x100000
	v_and_b32_e32 v31, v31, v8
	v_cmp_eq_u32_e64 s16, v31, v34
	v_lshrrev_b32_e32 v34, v15, v8
	v_add_nc_u32_e32 v8, 0xffffff91, v14
	v_lshrrev_b32_e32 v14, 23, v34
	v_cndmask_b32_e64 v8, v8, 0xffffff92, vcc_lo
	v_xor_b32_e32 v31, 1, v14
	v_bfe_u32 v14, v34, 21, 1
	v_add_nc_u32_e32 v8, v15, v8
	v_add_nc_u32_e32 v14, -1, v14
	v_cndmask_b32_e64 v14, 0, v14, s16
	s_mov_b32 s16, exec_lo
	v_add_nc_u32_e32 v14, v14, v34
	v_and_b32_e32 v14, 0x1fffff, v14
	v_add_nc_u32_e32 v34, v14, v34
                                        ; implicit-def: $vgpr14
	v_cmpx_ne_u32_e64 v8, v31
	s_xor_b32 s16, exec_lo, s16
; %bb.882:                              ;   in Loop: Header=BB4_137 Depth=3
	v_cmp_lt_u32_e32 vcc_lo, 0xffffff, v34
	v_sub_nc_u32_e32 v8, v8, v31
	v_cndmask_b32_e64 v15, 0, 1, vcc_lo
	v_add_co_ci_u32_e64 v14, null, 0, v8, vcc_lo
	v_lshrrev_b32_e32 v34, v15, v34
; %bb.883:                              ;   in Loop: Header=BB4_137 Depth=3
	s_andn2_saveexec_b32 s16, s16
; %bb.884:                              ;   in Loop: Header=BB4_137 Depth=3
	v_bfe_u32 v14, v34, 23, 1
; %bb.885:                              ;   in Loop: Header=BB4_137 Depth=3
	s_or_b32 exec_lo, exec_lo, s16
	v_lshrrev_b32_e32 v8, 21, v34
	v_min_i32_e32 v15, 31, v14
	v_cmp_gt_i32_e32 vcc_lo, 32, v14
	v_and_b32_sdwa v1, v1, v101 dst_sel:DWORD dst_unused:UNUSED_PAD src0_sel:BYTE_3 src1_sel:DWORD
	v_lshlrev_b32_e32 v15, 2, v15
	v_cndmask_b32_e32 v8, 3, v8, vcc_lo
	v_and_b32_e32 v15, 0xfc, v15
	v_or_b32_e32 v14, v14, v8
	v_and_b32_e32 v8, 3, v8
	v_cmp_ne_u32_e32 vcc_lo, 0, v14
	v_or3_b32 v1, v15, v1, v8
	v_cndmask_b32_e32 v8, 0, v1, vcc_lo
.LBB4_886:                              ;   in Loop: Header=BB4_137 Depth=3
	s_or_b32 exec_lo, exec_lo, s73
.LBB4_887:                              ;   in Loop: Header=BB4_137 Depth=3
	s_or_b32 exec_lo, exec_lo, s72
	v_cmp_gt_i16_sdwa s72, v9, v100 src0_sel:BYTE_1 src1_sel:DWORD
	s_mov_b32 s16, 0
	s_and_saveexec_b32 s73, s72
	s_xor_b32 s72, exec_lo, s73
	s_cbranch_execz .LBB4_1145
; %bb.888:                              ;   in Loop: Header=BB4_137 Depth=3
	v_cmp_eq_u16_sdwa s74, v9, v101 src0_sel:BYTE_1 src1_sel:DWORD
	s_mov_b32 s16, -1
	s_and_saveexec_b32 s73, s74
; %bb.889:                              ;   in Loop: Header=BB4_137 Depth=3
	s_xor_b32 s16, exec_lo, -1
; %bb.890:                              ;   in Loop: Header=BB4_137 Depth=3
	s_or_b32 exec_lo, exec_lo, s73
	s_and_b32 s16, s16, exec_lo
	s_or_saveexec_b32 s72, s72
	v_mov_b32_e32 v1, 0x7f800001
	s_xor_b32 exec_lo, exec_lo, s72
	s_cbranch_execnz .LBB4_1146
.LBB4_891:                              ;   in Loop: Header=BB4_137 Depth=3
	s_or_b32 exec_lo, exec_lo, s72
	s_and_saveexec_b32 s72, s16
	s_cbranch_execz .LBB4_893
.LBB4_892:                              ;   in Loop: Header=BB4_137 Depth=3
	v_and_b32_sdwa v1, v102, v9 dst_sel:DWORD dst_unused:UNUSED_PAD src0_sel:DWORD src1_sel:BYTE_1
	v_and_b32_e32 v14, 3, v1
	v_bfe_u32 v34, v1, 2, 5
	v_ffbh_u32_e32 v15, v14
	v_cmp_eq_u32_e32 vcc_lo, 0, v34
	v_min_u32_e32 v15, 32, v15
	v_subrev_nc_u32_e32 v31, 29, v15
	v_sub_nc_u32_e32 v15, 30, v15
	v_lshlrev_b32_e32 v1, v31, v1
	v_lshlrev_b32_sdwa v31, v103, v9 dst_sel:DWORD dst_unused:UNUSED_PAD src0_sel:DWORD src1_sel:BYTE_1
	v_cndmask_b32_e32 v15, v34, v15, vcc_lo
	v_and_b32_e32 v1, 3, v1
	v_lshl_add_u32 v15, v15, 23, 0x37800000
	v_cndmask_b32_e32 v1, v14, v1, vcc_lo
	v_and_b32_e32 v14, 0x80000000, v31
	v_lshlrev_b32_e32 v1, 21, v1
	v_or3_b32 v1, v14, v15, v1
.LBB4_893:                              ;   in Loop: Header=BB4_137 Depth=3
	s_or_b32 exec_lo, exec_lo, s72
	v_mul_f32_e32 v1, s63, v1
	v_mov_b32_e32 v34, 0x8000
	s_mov_b32 s72, exec_lo
	v_and_b32_e32 v14, 0x7f800000, v1
	v_cmpx_ne_u32_e32 0x7f800000, v14
	s_cbranch_execz .LBB4_901
; %bb.894:                              ;   in Loop: Header=BB4_137 Depth=3
	v_mov_b32_e32 v34, 0
	s_mov_b32 s73, exec_lo
	v_cmpx_ne_u32_e32 0, v1
	s_cbranch_execz .LBB4_900
; %bb.895:                              ;   in Loop: Header=BB4_137 Depth=3
	v_bfe_u32 v15, v1, 23, 8
	v_and_b32_e32 v14, 0x7fffff, v1
	v_cmp_gt_u32_e64 s16, 0x71, v15
	v_sub_nc_u32_e32 v31, 0x70, v15
	v_cmp_eq_u32_e32 vcc_lo, 0, v15
	v_or_b32_e32 v34, 0x800000, v14
	v_add_nc_u32_e32 v15, 0xffffff91, v15
	v_cndmask_b32_e64 v31, 0, v31, s16
	v_cndmask_b32_e32 v14, v34, v14, vcc_lo
	v_cndmask_b32_e64 v15, v15, 0xffffff92, vcc_lo
	v_cndmask_b32_e64 v31, v31, 0x6f, vcc_lo
	v_lshl_add_u32 v34, 0x200000, v31, -1
	v_lshlrev_b32_e64 v35, v31, 0x100000
	v_and_b32_e32 v34, v34, v14
	v_lshrrev_b32_e32 v14, v31, v14
	v_add_nc_u32_e32 v31, v31, v15
	v_cmp_eq_u32_e64 s16, v34, v35
	v_lshrrev_b32_e32 v15, 23, v14
	v_xor_b32_e32 v34, 1, v15
	v_bfe_u32 v15, v14, 21, 1
	v_add_nc_u32_e32 v15, -1, v15
	v_cndmask_b32_e64 v15, 0, v15, s16
	s_mov_b32 s16, exec_lo
	v_add_nc_u32_e32 v15, v15, v14
	v_and_b32_e32 v15, 0x1fffff, v15
	v_add_nc_u32_e32 v35, v15, v14
                                        ; implicit-def: $vgpr14
	v_cmpx_ne_u32_e64 v31, v34
	s_xor_b32 s16, exec_lo, s16
; %bb.896:                              ;   in Loop: Header=BB4_137 Depth=3
	v_cmp_lt_u32_e32 vcc_lo, 0xffffff, v35
	v_sub_nc_u32_e32 v14, v31, v34
	v_cndmask_b32_e64 v15, 0, 1, vcc_lo
	v_add_co_ci_u32_e64 v14, null, 0, v14, vcc_lo
	v_lshrrev_b32_e32 v35, v15, v35
; %bb.897:                              ;   in Loop: Header=BB4_137 Depth=3
	s_andn2_saveexec_b32 s16, s16
; %bb.898:                              ;   in Loop: Header=BB4_137 Depth=3
	v_bfe_u32 v14, v35, 23, 1
; %bb.899:                              ;   in Loop: Header=BB4_137 Depth=3
	s_or_b32 exec_lo, exec_lo, s16
	v_lshrrev_b32_e32 v15, 21, v35
	v_min_i32_e32 v31, 31, v14
	v_cmp_gt_i32_e32 vcc_lo, 32, v14
	v_and_b32_sdwa v1, v1, v101 dst_sel:DWORD dst_unused:UNUSED_PAD src0_sel:BYTE_3 src1_sel:DWORD
	v_lshlrev_b32_e32 v31, 2, v31
	v_cndmask_b32_e32 v15, 3, v15, vcc_lo
	v_and_b32_e32 v31, 0xfc, v31
	v_or_b32_e32 v14, v14, v15
	v_and_b32_e32 v15, 3, v15
	v_cmp_ne_u32_e32 vcc_lo, 0, v14
	v_or3_b32 v1, v1, v31, v15
	v_lshlrev_b32_e32 v1, 8, v1
	v_cndmask_b32_e32 v34, 0, v1, vcc_lo
.LBB4_900:                              ;   in Loop: Header=BB4_137 Depth=3
	s_or_b32 exec_lo, exec_lo, s73
.LBB4_901:                              ;   in Loop: Header=BB4_137 Depth=3
	s_or_b32 exec_lo, exec_lo, s72
	v_and_b32_sdwa v14, v9, v112 dst_sel:DWORD dst_unused:UNUSED_PAD src0_sel:WORD_1 src1_sel:DWORD
	s_mov_b32 s72, 0
	s_mov_b32 s16, exec_lo
	v_cmpx_lt_i16_e32 0x7f, v14
	s_xor_b32 s16, exec_lo, s16
	s_cbranch_execz .LBB4_1147
; %bb.902:                              ;   in Loop: Header=BB4_137 Depth=3
	s_mov_b32 s72, -1
	s_mov_b32 s73, exec_lo
	v_cmpx_eq_u16_e32 0x80, v14
; %bb.903:                              ;   in Loop: Header=BB4_137 Depth=3
	s_xor_b32 s72, exec_lo, -1
; %bb.904:                              ;   in Loop: Header=BB4_137 Depth=3
	s_or_b32 exec_lo, exec_lo, s73
	s_and_b32 s72, s72, exec_lo
                                        ; implicit-def: $vgpr14
	s_or_saveexec_b32 s16, s16
	v_mov_b32_e32 v1, 0x7f800001
	s_xor_b32 exec_lo, exec_lo, s16
	s_cbranch_execnz .LBB4_1148
.LBB4_905:                              ;   in Loop: Header=BB4_137 Depth=3
	s_or_b32 exec_lo, exec_lo, s16
	s_and_saveexec_b32 s16, s72
	s_cbranch_execz .LBB4_907
.LBB4_906:                              ;   in Loop: Header=BB4_137 Depth=3
	v_bfe_u32 v1, v9, 16, 2
	v_bfe_u32 v14, v9, 18, 5
	v_ffbh_u32_e32 v15, v1
	v_cmp_eq_u32_e32 vcc_lo, 0, v14
	v_min_u32_e32 v15, 32, v15
	v_subrev_nc_u32_e32 v31, 29, v15
	v_sub_nc_u32_e32 v15, 30, v15
	v_lshlrev_b32_sdwa v31, v31, v9 dst_sel:DWORD dst_unused:UNUSED_PAD src0_sel:DWORD src1_sel:WORD_1
	v_cndmask_b32_e32 v14, v14, v15, vcc_lo
	v_lshlrev_b32_e32 v15, 8, v9
	v_and_b32_e32 v31, 3, v31
	v_lshl_add_u32 v14, v14, 23, 0x37800000
	v_and_b32_e32 v15, 0x80000000, v15
	v_cndmask_b32_e32 v1, v1, v31, vcc_lo
	v_lshlrev_b32_e32 v1, 21, v1
	v_or3_b32 v1, v15, v14, v1
.LBB4_907:                              ;   in Loop: Header=BB4_137 Depth=3
	s_or_b32 exec_lo, exec_lo, s16
	v_mul_f32_e32 v1, s63, v1
	v_mov_b32_e32 v35, 0x80
	s_mov_b32 s72, exec_lo
	v_and_b32_e32 v14, 0x7f800000, v1
	v_cmpx_ne_u32_e32 0x7f800000, v14
	s_cbranch_execz .LBB4_915
; %bb.908:                              ;   in Loop: Header=BB4_137 Depth=3
	v_mov_b32_e32 v35, 0
	s_mov_b32 s73, exec_lo
	v_cmpx_ne_u32_e32 0, v1
	s_cbranch_execz .LBB4_914
; %bb.909:                              ;   in Loop: Header=BB4_137 Depth=3
	v_bfe_u32 v15, v1, 23, 8
	v_and_b32_e32 v14, 0x7fffff, v1
	v_cmp_gt_u32_e64 s16, 0x71, v15
	v_sub_nc_u32_e32 v31, 0x70, v15
	v_cmp_eq_u32_e32 vcc_lo, 0, v15
	v_or_b32_e32 v35, 0x800000, v14
	v_add_nc_u32_e32 v15, 0xffffff91, v15
	v_cndmask_b32_e64 v31, 0, v31, s16
	v_cndmask_b32_e32 v14, v35, v14, vcc_lo
	v_cndmask_b32_e64 v15, v15, 0xffffff92, vcc_lo
	v_cndmask_b32_e64 v31, v31, 0x6f, vcc_lo
	v_lshl_add_u32 v35, 0x200000, v31, -1
	v_lshlrev_b32_e64 v50, v31, 0x100000
	v_and_b32_e32 v35, v35, v14
	v_lshrrev_b32_e32 v14, v31, v14
	v_add_nc_u32_e32 v31, v31, v15
	v_cmp_eq_u32_e64 s16, v35, v50
	v_lshrrev_b32_e32 v15, 23, v14
	v_xor_b32_e32 v35, 1, v15
	v_bfe_u32 v15, v14, 21, 1
	v_add_nc_u32_e32 v15, -1, v15
	v_cndmask_b32_e64 v15, 0, v15, s16
	s_mov_b32 s16, exec_lo
	v_add_nc_u32_e32 v15, v15, v14
	v_and_b32_e32 v15, 0x1fffff, v15
	v_add_nc_u32_e32 v50, v15, v14
                                        ; implicit-def: $vgpr14
	v_cmpx_ne_u32_e64 v31, v35
	s_xor_b32 s16, exec_lo, s16
; %bb.910:                              ;   in Loop: Header=BB4_137 Depth=3
	v_cmp_lt_u32_e32 vcc_lo, 0xffffff, v50
	v_sub_nc_u32_e32 v14, v31, v35
	v_cndmask_b32_e64 v15, 0, 1, vcc_lo
	v_add_co_ci_u32_e64 v14, null, 0, v14, vcc_lo
	v_lshrrev_b32_e32 v50, v15, v50
; %bb.911:                              ;   in Loop: Header=BB4_137 Depth=3
	s_andn2_saveexec_b32 s16, s16
; %bb.912:                              ;   in Loop: Header=BB4_137 Depth=3
	v_bfe_u32 v14, v50, 23, 1
; %bb.913:                              ;   in Loop: Header=BB4_137 Depth=3
	s_or_b32 exec_lo, exec_lo, s16
	v_lshrrev_b32_e32 v15, 21, v50
	v_min_i32_e32 v31, 31, v14
	v_cmp_gt_i32_e32 vcc_lo, 32, v14
	v_and_b32_sdwa v1, v1, v101 dst_sel:DWORD dst_unused:UNUSED_PAD src0_sel:BYTE_3 src1_sel:DWORD
	v_lshlrev_b32_e32 v31, 2, v31
	v_cndmask_b32_e32 v15, 3, v15, vcc_lo
	v_and_b32_e32 v31, 0xfc, v31
	v_or_b32_e32 v14, v14, v15
	v_and_b32_e32 v15, 3, v15
	v_cmp_ne_u32_e32 vcc_lo, 0, v14
	v_or3_b32 v1, v31, v1, v15
	v_cndmask_b32_e32 v35, 0, v1, vcc_lo
.LBB4_914:                              ;   in Loop: Header=BB4_137 Depth=3
	s_or_b32 exec_lo, exec_lo, s73
.LBB4_915:                              ;   in Loop: Header=BB4_137 Depth=3
	s_or_b32 exec_lo, exec_lo, s72
	v_cmp_gt_i16_sdwa s72, v9, v100 src0_sel:BYTE_3 src1_sel:DWORD
	s_mov_b32 s16, 0
	s_and_saveexec_b32 s73, s72
	s_xor_b32 s72, exec_lo, s73
	s_cbranch_execz .LBB4_1149
; %bb.916:                              ;   in Loop: Header=BB4_137 Depth=3
	v_cmp_eq_u16_sdwa s74, v9, v101 src0_sel:BYTE_3 src1_sel:DWORD
	s_mov_b32 s16, -1
	s_and_saveexec_b32 s73, s74
; %bb.917:                              ;   in Loop: Header=BB4_137 Depth=3
	s_xor_b32 s16, exec_lo, -1
; %bb.918:                              ;   in Loop: Header=BB4_137 Depth=3
	s_or_b32 exec_lo, exec_lo, s73
	s_and_b32 s16, s16, exec_lo
	s_or_saveexec_b32 s72, s72
	v_mov_b32_e32 v1, 0x7f800001
	s_xor_b32 exec_lo, exec_lo, s72
	s_cbranch_execnz .LBB4_1150
.LBB4_919:                              ;   in Loop: Header=BB4_137 Depth=3
	s_or_b32 exec_lo, exec_lo, s72
	s_and_saveexec_b32 s72, s16
	s_cbranch_execz .LBB4_921
.LBB4_920:                              ;   in Loop: Header=BB4_137 Depth=3
	v_bfe_u32 v1, v9, 24, 2
	v_bfe_u32 v31, v9, 26, 5
	v_ffbh_u32_e32 v14, v1
	v_cmp_eq_u32_e32 vcc_lo, 0, v31
	v_min_u32_e32 v14, 32, v14
	v_subrev_nc_u32_e32 v15, 29, v14
	v_sub_nc_u32_e32 v14, 30, v14
	v_lshlrev_b32_sdwa v15, v15, v9 dst_sel:DWORD dst_unused:UNUSED_PAD src0_sel:DWORD src1_sel:BYTE_3
	v_cndmask_b32_e32 v14, v31, v14, vcc_lo
	v_and_b32_e32 v9, 0x80000000, v9
	v_and_b32_e32 v15, 3, v15
	v_lshl_add_u32 v14, v14, 23, 0x37800000
	v_cndmask_b32_e32 v1, v1, v15, vcc_lo
	v_lshlrev_b32_e32 v1, 21, v1
	v_or3_b32 v1, v9, v14, v1
.LBB4_921:                              ;   in Loop: Header=BB4_137 Depth=3
	s_or_b32 exec_lo, exec_lo, s72
	v_mul_f32_e32 v1, s63, v1
	v_and_b32_e32 v9, 0x7f800000, v1
	v_cmp_ne_u32_e32 vcc_lo, 0x7f800000, v9
	v_mov_b32_e32 v9, 0x8000
	s_and_saveexec_b32 s72, vcc_lo
	s_cbranch_execz .LBB4_929
; %bb.922:                              ;   in Loop: Header=BB4_137 Depth=3
	v_mov_b32_e32 v9, 0
	s_mov_b32 s73, exec_lo
	v_cmpx_ne_u32_e32 0, v1
	s_cbranch_execz .LBB4_928
; %bb.923:                              ;   in Loop: Header=BB4_137 Depth=3
	v_bfe_u32 v14, v1, 23, 8
	v_and_b32_e32 v9, 0x7fffff, v1
	v_cmp_gt_u32_e64 s16, 0x71, v14
	v_sub_nc_u32_e32 v15, 0x70, v14
	v_cmp_eq_u32_e32 vcc_lo, 0, v14
	v_or_b32_e32 v31, 0x800000, v9
	v_cndmask_b32_e64 v15, 0, v15, s16
	v_cndmask_b32_e32 v9, v31, v9, vcc_lo
	v_cndmask_b32_e64 v15, v15, 0x6f, vcc_lo
	v_lshl_add_u32 v31, 0x200000, v15, -1
	v_lshlrev_b32_e64 v50, v15, 0x100000
	v_and_b32_e32 v31, v31, v9
	v_cmp_eq_u32_e64 s16, v31, v50
	v_lshrrev_b32_e32 v50, v15, v9
	v_add_nc_u32_e32 v9, 0xffffff91, v14
	v_lshrrev_b32_e32 v14, 23, v50
	v_cndmask_b32_e64 v9, v9, 0xffffff92, vcc_lo
	v_xor_b32_e32 v31, 1, v14
	v_bfe_u32 v14, v50, 21, 1
	v_add_nc_u32_e32 v9, v15, v9
	v_add_nc_u32_e32 v14, -1, v14
	v_cndmask_b32_e64 v14, 0, v14, s16
	s_mov_b32 s16, exec_lo
	v_add_nc_u32_e32 v14, v14, v50
	v_and_b32_e32 v14, 0x1fffff, v14
	v_add_nc_u32_e32 v50, v14, v50
                                        ; implicit-def: $vgpr14
	v_cmpx_ne_u32_e64 v9, v31
	s_xor_b32 s16, exec_lo, s16
; %bb.924:                              ;   in Loop: Header=BB4_137 Depth=3
	v_cmp_lt_u32_e32 vcc_lo, 0xffffff, v50
	v_sub_nc_u32_e32 v9, v9, v31
	v_cndmask_b32_e64 v15, 0, 1, vcc_lo
	v_add_co_ci_u32_e64 v14, null, 0, v9, vcc_lo
	v_lshrrev_b32_e32 v50, v15, v50
; %bb.925:                              ;   in Loop: Header=BB4_137 Depth=3
	s_andn2_saveexec_b32 s16, s16
; %bb.926:                              ;   in Loop: Header=BB4_137 Depth=3
	v_bfe_u32 v14, v50, 23, 1
; %bb.927:                              ;   in Loop: Header=BB4_137 Depth=3
	s_or_b32 exec_lo, exec_lo, s16
	v_lshrrev_b32_e32 v9, 21, v50
	v_min_i32_e32 v15, 31, v14
	v_cmp_gt_i32_e32 vcc_lo, 32, v14
	v_and_b32_sdwa v1, v1, v101 dst_sel:DWORD dst_unused:UNUSED_PAD src0_sel:BYTE_3 src1_sel:DWORD
	v_lshlrev_b32_e32 v15, 2, v15
	v_cndmask_b32_e32 v9, 3, v9, vcc_lo
	v_and_b32_e32 v15, 0xfc, v15
	v_or_b32_e32 v14, v14, v9
	v_and_b32_e32 v9, 3, v9
	v_cmp_ne_u32_e32 vcc_lo, 0, v14
	v_or3_b32 v1, v1, v15, v9
	v_lshlrev_b32_e32 v1, 8, v1
	v_cndmask_b32_e32 v9, 0, v1, vcc_lo
.LBB4_928:                              ;   in Loop: Header=BB4_137 Depth=3
	s_or_b32 exec_lo, exec_lo, s73
.LBB4_929:                              ;   in Loop: Header=BB4_137 Depth=3
	s_or_b32 exec_lo, exec_lo, s72
	v_cmp_gt_i16_sdwa s16, v10, v100 src0_sel:BYTE_0 src1_sel:DWORD
	s_mov_b32 s72, 0
	s_and_saveexec_b32 s73, s16
	s_xor_b32 s16, exec_lo, s73
	s_cbranch_execz .LBB4_1151
; %bb.930:                              ;   in Loop: Header=BB4_137 Depth=3
	v_cmp_eq_u16_sdwa s74, v10, v101 src0_sel:BYTE_0 src1_sel:DWORD
	s_mov_b32 s72, -1
	s_and_saveexec_b32 s73, s74
; %bb.931:                              ;   in Loop: Header=BB4_137 Depth=3
	s_xor_b32 s72, exec_lo, -1
; %bb.932:                              ;   in Loop: Header=BB4_137 Depth=3
	s_or_b32 exec_lo, exec_lo, s73
	s_and_b32 s72, s72, exec_lo
	s_or_saveexec_b32 s16, s16
	v_mov_b32_e32 v1, 0x7f800001
	s_xor_b32 exec_lo, exec_lo, s16
	s_cbranch_execnz .LBB4_1152
.LBB4_933:                              ;   in Loop: Header=BB4_137 Depth=3
	s_or_b32 exec_lo, exec_lo, s16
	s_and_saveexec_b32 s16, s72
	s_cbranch_execz .LBB4_935
.LBB4_934:                              ;   in Loop: Header=BB4_137 Depth=3
	v_and_b32_e32 v1, 3, v10
	v_bfe_u32 v14, v10, 2, 5
	v_ffbh_u32_e32 v15, v1
	v_cmp_eq_u32_e32 vcc_lo, 0, v14
	v_min_u32_e32 v15, 32, v15
	v_subrev_nc_u32_e32 v31, 29, v15
	v_sub_nc_u32_e32 v15, 30, v15
	v_lshlrev_b32_e32 v31, v31, v10
	v_cndmask_b32_e32 v14, v14, v15, vcc_lo
	v_lshlrev_b32_e32 v15, 24, v10
	v_and_b32_e32 v31, 3, v31
	v_lshl_add_u32 v14, v14, 23, 0x37800000
	v_and_b32_e32 v15, 0x80000000, v15
	v_cndmask_b32_e32 v1, v1, v31, vcc_lo
	v_lshlrev_b32_e32 v1, 21, v1
	v_or3_b32 v1, v15, v14, v1
.LBB4_935:                              ;   in Loop: Header=BB4_137 Depth=3
	s_or_b32 exec_lo, exec_lo, s16
	v_mul_f32_e32 v1, s63, v1
	v_mov_b32_e32 v96, 0x80
	s_mov_b32 s72, exec_lo
	v_and_b32_e32 v14, 0x7f800000, v1
	v_cmpx_ne_u32_e32 0x7f800000, v14
	s_cbranch_execz .LBB4_943
; %bb.936:                              ;   in Loop: Header=BB4_137 Depth=3
	v_mov_b32_e32 v96, 0
	s_mov_b32 s73, exec_lo
	v_cmpx_ne_u32_e32 0, v1
	s_cbranch_execz .LBB4_942
; %bb.937:                              ;   in Loop: Header=BB4_137 Depth=3
	v_bfe_u32 v15, v1, 23, 8
	v_and_b32_e32 v14, 0x7fffff, v1
	v_cmp_gt_u32_e64 s16, 0x71, v15
	v_sub_nc_u32_e32 v31, 0x70, v15
	v_cmp_eq_u32_e32 vcc_lo, 0, v15
	v_or_b32_e32 v50, 0x800000, v14
	v_add_nc_u32_e32 v15, 0xffffff91, v15
	v_cndmask_b32_e64 v31, 0, v31, s16
	v_cndmask_b32_e32 v14, v50, v14, vcc_lo
	v_cndmask_b32_e64 v15, v15, 0xffffff92, vcc_lo
	v_cndmask_b32_e64 v31, v31, 0x6f, vcc_lo
	v_lshl_add_u32 v50, 0x200000, v31, -1
	v_lshlrev_b32_e64 v51, v31, 0x100000
	v_and_b32_e32 v50, v50, v14
	v_lshrrev_b32_e32 v14, v31, v14
	v_add_nc_u32_e32 v31, v31, v15
	v_cmp_eq_u32_e64 s16, v50, v51
	v_lshrrev_b32_e32 v15, 23, v14
	v_xor_b32_e32 v50, 1, v15
	v_bfe_u32 v15, v14, 21, 1
	v_add_nc_u32_e32 v15, -1, v15
	v_cndmask_b32_e64 v15, 0, v15, s16
	s_mov_b32 s16, exec_lo
	v_add_nc_u32_e32 v15, v15, v14
	v_and_b32_e32 v15, 0x1fffff, v15
	v_add_nc_u32_e32 v51, v15, v14
                                        ; implicit-def: $vgpr14
	v_cmpx_ne_u32_e64 v31, v50
	s_xor_b32 s16, exec_lo, s16
; %bb.938:                              ;   in Loop: Header=BB4_137 Depth=3
	v_cmp_lt_u32_e32 vcc_lo, 0xffffff, v51
	v_sub_nc_u32_e32 v14, v31, v50
	v_cndmask_b32_e64 v15, 0, 1, vcc_lo
	v_add_co_ci_u32_e64 v14, null, 0, v14, vcc_lo
	v_lshrrev_b32_e32 v51, v15, v51
; %bb.939:                              ;   in Loop: Header=BB4_137 Depth=3
	s_andn2_saveexec_b32 s16, s16
; %bb.940:                              ;   in Loop: Header=BB4_137 Depth=3
	v_bfe_u32 v14, v51, 23, 1
; %bb.941:                              ;   in Loop: Header=BB4_137 Depth=3
	s_or_b32 exec_lo, exec_lo, s16
	v_lshrrev_b32_e32 v15, 21, v51
	v_min_i32_e32 v31, 31, v14
	v_cmp_gt_i32_e32 vcc_lo, 32, v14
	v_and_b32_sdwa v1, v1, v101 dst_sel:DWORD dst_unused:UNUSED_PAD src0_sel:BYTE_3 src1_sel:DWORD
	v_lshlrev_b32_e32 v31, 2, v31
	v_cndmask_b32_e32 v15, 3, v15, vcc_lo
	v_and_b32_e32 v31, 0xfc, v31
	v_or_b32_e32 v14, v14, v15
	v_and_b32_e32 v15, 3, v15
	v_cmp_ne_u32_e32 vcc_lo, 0, v14
	v_or3_b32 v1, v31, v1, v15
	v_cndmask_b32_e32 v96, 0, v1, vcc_lo
.LBB4_942:                              ;   in Loop: Header=BB4_137 Depth=3
	s_or_b32 exec_lo, exec_lo, s73
.LBB4_943:                              ;   in Loop: Header=BB4_137 Depth=3
	s_or_b32 exec_lo, exec_lo, s72
	v_cmp_gt_i16_sdwa s72, v10, v100 src0_sel:BYTE_1 src1_sel:DWORD
	s_mov_b32 s16, 0
	s_and_saveexec_b32 s73, s72
	s_xor_b32 s72, exec_lo, s73
	s_cbranch_execz .LBB4_1153
; %bb.944:                              ;   in Loop: Header=BB4_137 Depth=3
	v_cmp_eq_u16_sdwa s74, v10, v101 src0_sel:BYTE_1 src1_sel:DWORD
	s_mov_b32 s16, -1
	s_and_saveexec_b32 s73, s74
; %bb.945:                              ;   in Loop: Header=BB4_137 Depth=3
	s_xor_b32 s16, exec_lo, -1
; %bb.946:                              ;   in Loop: Header=BB4_137 Depth=3
	s_or_b32 exec_lo, exec_lo, s73
	s_and_b32 s16, s16, exec_lo
	s_or_saveexec_b32 s72, s72
	v_mov_b32_e32 v1, 0x7f800001
	s_xor_b32 exec_lo, exec_lo, s72
	s_cbranch_execnz .LBB4_1154
.LBB4_947:                              ;   in Loop: Header=BB4_137 Depth=3
	s_or_b32 exec_lo, exec_lo, s72
	s_and_saveexec_b32 s72, s16
	s_cbranch_execz .LBB4_949
.LBB4_948:                              ;   in Loop: Header=BB4_137 Depth=3
	v_and_b32_sdwa v1, v102, v10 dst_sel:DWORD dst_unused:UNUSED_PAD src0_sel:DWORD src1_sel:BYTE_1
	v_and_b32_e32 v14, 3, v1
	v_bfe_u32 v50, v1, 2, 5
	v_ffbh_u32_e32 v15, v14
	v_cmp_eq_u32_e32 vcc_lo, 0, v50
	v_min_u32_e32 v15, 32, v15
	v_subrev_nc_u32_e32 v31, 29, v15
	v_sub_nc_u32_e32 v15, 30, v15
	v_lshlrev_b32_e32 v1, v31, v1
	v_lshlrev_b32_sdwa v31, v103, v10 dst_sel:DWORD dst_unused:UNUSED_PAD src0_sel:DWORD src1_sel:BYTE_1
	v_cndmask_b32_e32 v15, v50, v15, vcc_lo
	v_and_b32_e32 v1, 3, v1
	v_lshl_add_u32 v15, v15, 23, 0x37800000
	v_cndmask_b32_e32 v1, v14, v1, vcc_lo
	v_and_b32_e32 v14, 0x80000000, v31
	v_lshlrev_b32_e32 v1, 21, v1
	v_or3_b32 v1, v14, v15, v1
.LBB4_949:                              ;   in Loop: Header=BB4_137 Depth=3
	s_or_b32 exec_lo, exec_lo, s72
	v_mul_f32_e32 v1, s63, v1
	v_mov_b32_e32 v31, 0x8000
	s_mov_b32 s72, exec_lo
	v_and_b32_e32 v14, 0x7f800000, v1
	v_cmpx_ne_u32_e32 0x7f800000, v14
	s_cbranch_execz .LBB4_957
; %bb.950:                              ;   in Loop: Header=BB4_137 Depth=3
	v_mov_b32_e32 v31, 0
	s_mov_b32 s73, exec_lo
	v_cmpx_ne_u32_e32 0, v1
	s_cbranch_execz .LBB4_956
; %bb.951:                              ;   in Loop: Header=BB4_137 Depth=3
	v_bfe_u32 v15, v1, 23, 8
	v_and_b32_e32 v14, 0x7fffff, v1
	v_cmp_gt_u32_e64 s16, 0x71, v15
	v_sub_nc_u32_e32 v31, 0x70, v15
	v_cmp_eq_u32_e32 vcc_lo, 0, v15
	v_or_b32_e32 v50, 0x800000, v14
	v_add_nc_u32_e32 v15, 0xffffff91, v15
	v_cndmask_b32_e64 v31, 0, v31, s16
	v_cndmask_b32_e32 v14, v50, v14, vcc_lo
	v_cndmask_b32_e64 v15, v15, 0xffffff92, vcc_lo
	v_cndmask_b32_e64 v31, v31, 0x6f, vcc_lo
	v_lshl_add_u32 v50, 0x200000, v31, -1
	v_lshlrev_b32_e64 v51, v31, 0x100000
	v_and_b32_e32 v50, v50, v14
	v_lshrrev_b32_e32 v14, v31, v14
	v_add_nc_u32_e32 v31, v31, v15
	v_cmp_eq_u32_e64 s16, v50, v51
	v_lshrrev_b32_e32 v15, 23, v14
	v_xor_b32_e32 v50, 1, v15
	v_bfe_u32 v15, v14, 21, 1
	v_add_nc_u32_e32 v15, -1, v15
	v_cndmask_b32_e64 v15, 0, v15, s16
	s_mov_b32 s16, exec_lo
	v_add_nc_u32_e32 v15, v15, v14
	v_and_b32_e32 v15, 0x1fffff, v15
	v_add_nc_u32_e32 v51, v15, v14
                                        ; implicit-def: $vgpr14
	v_cmpx_ne_u32_e64 v31, v50
	s_xor_b32 s16, exec_lo, s16
; %bb.952:                              ;   in Loop: Header=BB4_137 Depth=3
	v_cmp_lt_u32_e32 vcc_lo, 0xffffff, v51
	v_sub_nc_u32_e32 v14, v31, v50
	v_cndmask_b32_e64 v15, 0, 1, vcc_lo
	v_add_co_ci_u32_e64 v14, null, 0, v14, vcc_lo
	v_lshrrev_b32_e32 v51, v15, v51
; %bb.953:                              ;   in Loop: Header=BB4_137 Depth=3
	s_andn2_saveexec_b32 s16, s16
; %bb.954:                              ;   in Loop: Header=BB4_137 Depth=3
	v_bfe_u32 v14, v51, 23, 1
; %bb.955:                              ;   in Loop: Header=BB4_137 Depth=3
	s_or_b32 exec_lo, exec_lo, s16
	v_lshrrev_b32_e32 v15, 21, v51
	v_min_i32_e32 v31, 31, v14
	v_cmp_gt_i32_e32 vcc_lo, 32, v14
	v_and_b32_sdwa v1, v1, v101 dst_sel:DWORD dst_unused:UNUSED_PAD src0_sel:BYTE_3 src1_sel:DWORD
	v_lshlrev_b32_e32 v31, 2, v31
	v_cndmask_b32_e32 v15, 3, v15, vcc_lo
	v_and_b32_e32 v31, 0xfc, v31
	v_or_b32_e32 v14, v14, v15
	v_and_b32_e32 v15, 3, v15
	v_cmp_ne_u32_e32 vcc_lo, 0, v14
	v_or3_b32 v1, v1, v31, v15
	v_lshlrev_b32_e32 v1, 8, v1
	v_cndmask_b32_e32 v31, 0, v1, vcc_lo
.LBB4_956:                              ;   in Loop: Header=BB4_137 Depth=3
	s_or_b32 exec_lo, exec_lo, s73
.LBB4_957:                              ;   in Loop: Header=BB4_137 Depth=3
	s_or_b32 exec_lo, exec_lo, s72
	v_and_b32_sdwa v14, v10, v112 dst_sel:DWORD dst_unused:UNUSED_PAD src0_sel:WORD_1 src1_sel:DWORD
	s_mov_b32 s72, 0
	s_mov_b32 s16, exec_lo
	v_cmpx_lt_i16_e32 0x7f, v14
	s_xor_b32 s16, exec_lo, s16
	s_cbranch_execz .LBB4_1155
; %bb.958:                              ;   in Loop: Header=BB4_137 Depth=3
	s_mov_b32 s72, -1
	s_mov_b32 s73, exec_lo
	v_cmpx_eq_u16_e32 0x80, v14
; %bb.959:                              ;   in Loop: Header=BB4_137 Depth=3
	s_xor_b32 s72, exec_lo, -1
; %bb.960:                              ;   in Loop: Header=BB4_137 Depth=3
	s_or_b32 exec_lo, exec_lo, s73
	s_and_b32 s72, s72, exec_lo
                                        ; implicit-def: $vgpr14
	s_or_saveexec_b32 s16, s16
	v_mov_b32_e32 v1, 0x7f800001
	s_xor_b32 exec_lo, exec_lo, s16
	s_cbranch_execnz .LBB4_1156
.LBB4_961:                              ;   in Loop: Header=BB4_137 Depth=3
	s_or_b32 exec_lo, exec_lo, s16
	s_and_saveexec_b32 s16, s72
	s_cbranch_execz .LBB4_963
.LBB4_962:                              ;   in Loop: Header=BB4_137 Depth=3
	v_bfe_u32 v1, v10, 16, 2
	v_bfe_u32 v14, v10, 18, 5
	v_ffbh_u32_e32 v15, v1
	v_cmp_eq_u32_e32 vcc_lo, 0, v14
	v_min_u32_e32 v15, 32, v15
	v_subrev_nc_u32_e32 v50, 29, v15
	v_sub_nc_u32_e32 v15, 30, v15
	v_lshlrev_b32_sdwa v50, v50, v10 dst_sel:DWORD dst_unused:UNUSED_PAD src0_sel:DWORD src1_sel:WORD_1
	v_cndmask_b32_e32 v14, v14, v15, vcc_lo
	v_lshlrev_b32_e32 v15, 8, v10
	v_and_b32_e32 v50, 3, v50
	v_lshl_add_u32 v14, v14, 23, 0x37800000
	v_and_b32_e32 v15, 0x80000000, v15
	v_cndmask_b32_e32 v1, v1, v50, vcc_lo
	v_lshlrev_b32_e32 v1, 21, v1
	v_or3_b32 v1, v15, v14, v1
.LBB4_963:                              ;   in Loop: Header=BB4_137 Depth=3
	s_or_b32 exec_lo, exec_lo, s16
	v_mul_f32_e32 v50, s63, v1
	v_and_b32_e32 v1, 0x7f800000, v50
	v_cmp_ne_u32_e32 vcc_lo, 0x7f800000, v1
	v_mov_b32_e32 v1, 0x80
	s_and_saveexec_b32 s72, vcc_lo
	s_cbranch_execz .LBB4_971
; %bb.964:                              ;   in Loop: Header=BB4_137 Depth=3
	v_mov_b32_e32 v1, 0
	s_mov_b32 s73, exec_lo
	v_cmpx_ne_u32_e32 0, v50
	s_cbranch_execz .LBB4_970
; %bb.965:                              ;   in Loop: Header=BB4_137 Depth=3
	v_bfe_u32 v14, v50, 23, 8
	v_and_b32_e32 v1, 0x7fffff, v50
	v_cmp_gt_u32_e64 s16, 0x71, v14
	v_sub_nc_u32_e32 v15, 0x70, v14
	v_cmp_eq_u32_e32 vcc_lo, 0, v14
	v_or_b32_e32 v51, 0x800000, v1
	v_cndmask_b32_e64 v15, 0, v15, s16
	v_cndmask_b32_e32 v1, v51, v1, vcc_lo
	v_cndmask_b32_e64 v15, v15, 0x6f, vcc_lo
	v_lshl_add_u32 v51, 0x200000, v15, -1
	v_lshlrev_b32_e64 v80, v15, 0x100000
	v_and_b32_e32 v51, v51, v1
	v_cmp_eq_u32_e64 s16, v51, v80
	v_lshrrev_b32_e32 v80, v15, v1
	v_add_nc_u32_e32 v1, 0xffffff91, v14
	v_lshrrev_b32_e32 v14, 23, v80
	v_cndmask_b32_e64 v1, v1, 0xffffff92, vcc_lo
	v_xor_b32_e32 v51, 1, v14
	v_bfe_u32 v14, v80, 21, 1
	v_add_nc_u32_e32 v1, v15, v1
	v_add_nc_u32_e32 v14, -1, v14
	v_cndmask_b32_e64 v14, 0, v14, s16
	s_mov_b32 s16, exec_lo
	v_add_nc_u32_e32 v14, v14, v80
	v_and_b32_e32 v14, 0x1fffff, v14
	v_add_nc_u32_e32 v80, v14, v80
                                        ; implicit-def: $vgpr14
	v_cmpx_ne_u32_e64 v1, v51
	s_xor_b32 s16, exec_lo, s16
; %bb.966:                              ;   in Loop: Header=BB4_137 Depth=3
	v_cmp_lt_u32_e32 vcc_lo, 0xffffff, v80
	v_sub_nc_u32_e32 v1, v1, v51
	v_cndmask_b32_e64 v15, 0, 1, vcc_lo
	v_add_co_ci_u32_e64 v14, null, 0, v1, vcc_lo
	v_lshrrev_b32_e32 v80, v15, v80
; %bb.967:                              ;   in Loop: Header=BB4_137 Depth=3
	s_andn2_saveexec_b32 s16, s16
; %bb.968:                              ;   in Loop: Header=BB4_137 Depth=3
	v_bfe_u32 v14, v80, 23, 1
; %bb.969:                              ;   in Loop: Header=BB4_137 Depth=3
	s_or_b32 exec_lo, exec_lo, s16
	v_and_b32_sdwa v1, v50, v101 dst_sel:DWORD dst_unused:UNUSED_PAD src0_sel:BYTE_3 src1_sel:DWORD
	v_lshrrev_b32_e32 v15, 21, v80
	v_min_i32_e32 v50, 31, v14
	v_cmp_gt_i32_e32 vcc_lo, 32, v14
	v_lshlrev_b32_e32 v50, 2, v50
	v_cndmask_b32_e32 v15, 3, v15, vcc_lo
	v_and_b32_e32 v50, 0xfc, v50
	v_or_b32_e32 v14, v14, v15
	v_and_b32_e32 v15, 3, v15
	v_cmp_ne_u32_e32 vcc_lo, 0, v14
	v_or3_b32 v1, v50, v1, v15
	v_cndmask_b32_e32 v1, 0, v1, vcc_lo
.LBB4_970:                              ;   in Loop: Header=BB4_137 Depth=3
	s_or_b32 exec_lo, exec_lo, s73
.LBB4_971:                              ;   in Loop: Header=BB4_137 Depth=3
	s_or_b32 exec_lo, exec_lo, s72
	v_cmp_gt_i16_sdwa s72, v10, v100 src0_sel:BYTE_3 src1_sel:DWORD
	s_mov_b32 s16, 0
	s_and_saveexec_b32 s73, s72
	s_xor_b32 s72, exec_lo, s73
	s_cbranch_execz .LBB4_1157
; %bb.972:                              ;   in Loop: Header=BB4_137 Depth=3
	v_cmp_eq_u16_sdwa s74, v10, v101 src0_sel:BYTE_3 src1_sel:DWORD
	s_mov_b32 s16, -1
	s_and_saveexec_b32 s73, s74
; %bb.973:                              ;   in Loop: Header=BB4_137 Depth=3
	s_xor_b32 s16, exec_lo, -1
; %bb.974:                              ;   in Loop: Header=BB4_137 Depth=3
	s_or_b32 exec_lo, exec_lo, s73
	s_and_b32 s16, s16, exec_lo
	s_or_saveexec_b32 s72, s72
	v_mov_b32_e32 v14, 0x7f800001
	s_xor_b32 exec_lo, exec_lo, s72
	s_cbranch_execnz .LBB4_1158
.LBB4_975:                              ;   in Loop: Header=BB4_137 Depth=3
	s_or_b32 exec_lo, exec_lo, s72
	s_and_saveexec_b32 s72, s16
	s_cbranch_execz .LBB4_977
.LBB4_976:                              ;   in Loop: Header=BB4_137 Depth=3
	v_bfe_u32 v14, v10, 24, 2
	v_bfe_u32 v51, v10, 26, 5
	v_ffbh_u32_e32 v15, v14
	v_cmp_eq_u32_e32 vcc_lo, 0, v51
	v_min_u32_e32 v15, 32, v15
	v_subrev_nc_u32_e32 v50, 29, v15
	v_sub_nc_u32_e32 v15, 30, v15
	v_lshlrev_b32_sdwa v50, v50, v10 dst_sel:DWORD dst_unused:UNUSED_PAD src0_sel:DWORD src1_sel:BYTE_3
	v_cndmask_b32_e32 v15, v51, v15, vcc_lo
	v_and_b32_e32 v10, 0x80000000, v10
	v_and_b32_e32 v50, 3, v50
	v_lshl_add_u32 v15, v15, 23, 0x37800000
	v_cndmask_b32_e32 v14, v14, v50, vcc_lo
	v_lshlrev_b32_e32 v14, 21, v14
	v_or3_b32 v14, v10, v15, v14
.LBB4_977:                              ;   in Loop: Header=BB4_137 Depth=3
	s_or_b32 exec_lo, exec_lo, s72
	v_mul_f32_e32 v50, s63, v14
	v_and_b32_e32 v10, 0x7f800000, v50
	v_cmp_ne_u32_e32 vcc_lo, 0x7f800000, v10
	v_mov_b32_e32 v10, 0x8000
	s_and_saveexec_b32 s72, vcc_lo
	s_cbranch_execz .LBB4_985
; %bb.978:                              ;   in Loop: Header=BB4_137 Depth=3
	v_mov_b32_e32 v10, 0
	s_mov_b32 s73, exec_lo
	v_cmpx_ne_u32_e32 0, v50
	s_cbranch_execz .LBB4_984
; %bb.979:                              ;   in Loop: Header=BB4_137 Depth=3
	v_bfe_u32 v14, v50, 23, 8
	v_and_b32_e32 v10, 0x7fffff, v50
	v_cmp_gt_u32_e64 s16, 0x71, v14
	v_sub_nc_u32_e32 v15, 0x70, v14
	v_cmp_eq_u32_e32 vcc_lo, 0, v14
	v_or_b32_e32 v51, 0x800000, v10
	v_cndmask_b32_e64 v15, 0, v15, s16
	v_cndmask_b32_e32 v10, v51, v10, vcc_lo
	v_cndmask_b32_e64 v15, v15, 0x6f, vcc_lo
	v_lshl_add_u32 v51, 0x200000, v15, -1
	v_lshlrev_b32_e64 v80, v15, 0x100000
	v_and_b32_e32 v51, v51, v10
	v_cmp_eq_u32_e64 s16, v51, v80
	v_lshrrev_b32_e32 v80, v15, v10
	v_add_nc_u32_e32 v10, 0xffffff91, v14
	v_lshrrev_b32_e32 v14, 23, v80
	v_cndmask_b32_e64 v10, v10, 0xffffff92, vcc_lo
	v_xor_b32_e32 v51, 1, v14
	v_bfe_u32 v14, v80, 21, 1
	v_add_nc_u32_e32 v10, v15, v10
	v_add_nc_u32_e32 v14, -1, v14
	v_cndmask_b32_e64 v14, 0, v14, s16
	s_mov_b32 s16, exec_lo
	v_add_nc_u32_e32 v14, v14, v80
	v_and_b32_e32 v14, 0x1fffff, v14
	v_add_nc_u32_e32 v80, v14, v80
                                        ; implicit-def: $vgpr14
	v_cmpx_ne_u32_e64 v10, v51
	s_xor_b32 s16, exec_lo, s16
; %bb.980:                              ;   in Loop: Header=BB4_137 Depth=3
	v_cmp_lt_u32_e32 vcc_lo, 0xffffff, v80
	v_sub_nc_u32_e32 v10, v10, v51
	v_cndmask_b32_e64 v15, 0, 1, vcc_lo
	v_add_co_ci_u32_e64 v14, null, 0, v10, vcc_lo
	v_lshrrev_b32_e32 v80, v15, v80
; %bb.981:                              ;   in Loop: Header=BB4_137 Depth=3
	s_andn2_saveexec_b32 s16, s16
; %bb.982:                              ;   in Loop: Header=BB4_137 Depth=3
	v_bfe_u32 v14, v80, 23, 1
; %bb.983:                              ;   in Loop: Header=BB4_137 Depth=3
	s_or_b32 exec_lo, exec_lo, s16
	v_and_b32_sdwa v10, v50, v101 dst_sel:DWORD dst_unused:UNUSED_PAD src0_sel:BYTE_3 src1_sel:DWORD
	v_lshrrev_b32_e32 v15, 21, v80
	v_min_i32_e32 v50, 31, v14
	v_cmp_gt_i32_e32 vcc_lo, 32, v14
	v_lshlrev_b32_e32 v50, 2, v50
	v_cndmask_b32_e32 v15, 3, v15, vcc_lo
	v_and_b32_e32 v50, 0xfc, v50
	v_or_b32_e32 v14, v14, v15
	v_and_b32_e32 v15, 3, v15
	v_cmp_ne_u32_e32 vcc_lo, 0, v14
	v_or3_b32 v10, v10, v50, v15
	v_lshlrev_b32_e32 v10, 8, v10
	v_cndmask_b32_e32 v10, 0, v10, vcc_lo
.LBB4_984:                              ;   in Loop: Header=BB4_137 Depth=3
	s_or_b32 exec_lo, exec_lo, s73
.LBB4_985:                              ;   in Loop: Header=BB4_137 Depth=3
	s_or_b32 exec_lo, exec_lo, s72
	v_cmp_gt_i16_sdwa s16, v11, v100 src0_sel:BYTE_0 src1_sel:DWORD
	s_mov_b32 s72, 0
	s_and_saveexec_b32 s73, s16
	s_xor_b32 s16, exec_lo, s73
	s_cbranch_execz .LBB4_1159
; %bb.986:                              ;   in Loop: Header=BB4_137 Depth=3
	v_cmp_eq_u16_sdwa s74, v11, v101 src0_sel:BYTE_0 src1_sel:DWORD
	s_mov_b32 s72, -1
	s_and_saveexec_b32 s73, s74
; %bb.987:                              ;   in Loop: Header=BB4_137 Depth=3
	s_xor_b32 s72, exec_lo, -1
; %bb.988:                              ;   in Loop: Header=BB4_137 Depth=3
	s_or_b32 exec_lo, exec_lo, s73
	s_and_b32 s72, s72, exec_lo
	s_or_saveexec_b32 s16, s16
	v_mov_b32_e32 v14, 0x7f800001
	s_xor_b32 exec_lo, exec_lo, s16
	s_cbranch_execnz .LBB4_1160
.LBB4_989:                              ;   in Loop: Header=BB4_137 Depth=3
	s_or_b32 exec_lo, exec_lo, s16
	s_and_saveexec_b32 s16, s72
	s_cbranch_execz .LBB4_991
.LBB4_990:                              ;   in Loop: Header=BB4_137 Depth=3
	v_and_b32_e32 v14, 3, v11
	v_bfe_u32 v15, v11, 2, 5
	v_ffbh_u32_e32 v50, v14
	v_cmp_eq_u32_e32 vcc_lo, 0, v15
	v_min_u32_e32 v50, 32, v50
	v_subrev_nc_u32_e32 v51, 29, v50
	v_sub_nc_u32_e32 v50, 30, v50
	v_lshlrev_b32_e32 v51, v51, v11
	v_cndmask_b32_e32 v15, v15, v50, vcc_lo
	v_lshlrev_b32_e32 v50, 24, v11
	v_and_b32_e32 v51, 3, v51
	v_lshl_add_u32 v15, v15, 23, 0x37800000
	v_and_b32_e32 v50, 0x80000000, v50
	v_cndmask_b32_e32 v14, v14, v51, vcc_lo
	v_lshlrev_b32_e32 v14, 21, v14
	v_or3_b32 v14, v50, v15, v14
.LBB4_991:                              ;   in Loop: Header=BB4_137 Depth=3
	s_or_b32 exec_lo, exec_lo, s16
	v_mul_f32_e32 v50, s63, v14
	v_mov_b32_e32 v97, 0x80
	s_mov_b32 s72, exec_lo
	v_and_b32_e32 v14, 0x7f800000, v50
	v_cmpx_ne_u32_e32 0x7f800000, v14
	s_cbranch_execz .LBB4_999
; %bb.992:                              ;   in Loop: Header=BB4_137 Depth=3
	v_mov_b32_e32 v97, 0
	s_mov_b32 s73, exec_lo
	v_cmpx_ne_u32_e32 0, v50
	s_cbranch_execz .LBB4_998
; %bb.993:                              ;   in Loop: Header=BB4_137 Depth=3
	v_bfe_u32 v15, v50, 23, 8
	v_and_b32_e32 v14, 0x7fffff, v50
	v_cmp_gt_u32_e64 s16, 0x71, v15
	v_sub_nc_u32_e32 v51, 0x70, v15
	v_cmp_eq_u32_e32 vcc_lo, 0, v15
	v_or_b32_e32 v80, 0x800000, v14
	v_add_nc_u32_e32 v15, 0xffffff91, v15
	v_cndmask_b32_e64 v51, 0, v51, s16
	v_cndmask_b32_e32 v14, v80, v14, vcc_lo
	v_cndmask_b32_e64 v15, v15, 0xffffff92, vcc_lo
	v_cndmask_b32_e64 v51, v51, 0x6f, vcc_lo
	v_lshl_add_u32 v80, 0x200000, v51, -1
	v_lshlrev_b32_e64 v97, v51, 0x100000
	v_and_b32_e32 v80, v80, v14
	v_lshrrev_b32_e32 v14, v51, v14
	v_add_nc_u32_e32 v51, v51, v15
	v_cmp_eq_u32_e64 s16, v80, v97
	v_lshrrev_b32_e32 v15, 23, v14
	v_xor_b32_e32 v80, 1, v15
	v_bfe_u32 v15, v14, 21, 1
	v_add_nc_u32_e32 v15, -1, v15
	v_cndmask_b32_e64 v15, 0, v15, s16
	s_mov_b32 s16, exec_lo
	v_add_nc_u32_e32 v15, v15, v14
	v_and_b32_e32 v15, 0x1fffff, v15
	v_add_nc_u32_e32 v97, v15, v14
                                        ; implicit-def: $vgpr14
	v_cmpx_ne_u32_e64 v51, v80
	s_xor_b32 s16, exec_lo, s16
; %bb.994:                              ;   in Loop: Header=BB4_137 Depth=3
	v_cmp_lt_u32_e32 vcc_lo, 0xffffff, v97
	v_sub_nc_u32_e32 v14, v51, v80
	v_cndmask_b32_e64 v15, 0, 1, vcc_lo
	v_add_co_ci_u32_e64 v14, null, 0, v14, vcc_lo
	v_lshrrev_b32_e32 v97, v15, v97
; %bb.995:                              ;   in Loop: Header=BB4_137 Depth=3
	s_andn2_saveexec_b32 s16, s16
; %bb.996:                              ;   in Loop: Header=BB4_137 Depth=3
	v_bfe_u32 v14, v97, 23, 1
; %bb.997:                              ;   in Loop: Header=BB4_137 Depth=3
	s_or_b32 exec_lo, exec_lo, s16
	v_and_b32_sdwa v15, v50, v101 dst_sel:DWORD dst_unused:UNUSED_PAD src0_sel:BYTE_3 src1_sel:DWORD
	v_lshrrev_b32_e32 v50, 21, v97
	v_min_i32_e32 v51, 31, v14
	v_cmp_gt_i32_e32 vcc_lo, 32, v14
	v_lshlrev_b32_e32 v51, 2, v51
	v_cndmask_b32_e32 v50, 3, v50, vcc_lo
	v_and_b32_e32 v51, 0xfc, v51
	v_or_b32_e32 v14, v14, v50
	v_and_b32_e32 v50, 3, v50
	v_cmp_ne_u32_e32 vcc_lo, 0, v14
	v_or3_b32 v15, v51, v15, v50
	v_cndmask_b32_e32 v97, 0, v15, vcc_lo
.LBB4_998:                              ;   in Loop: Header=BB4_137 Depth=3
	s_or_b32 exec_lo, exec_lo, s73
.LBB4_999:                              ;   in Loop: Header=BB4_137 Depth=3
	s_or_b32 exec_lo, exec_lo, s72
	v_cmp_gt_i16_sdwa s72, v11, v100 src0_sel:BYTE_1 src1_sel:DWORD
	s_mov_b32 s16, 0
	s_and_saveexec_b32 s73, s72
	s_xor_b32 s72, exec_lo, s73
	s_cbranch_execz .LBB4_1161
; %bb.1000:                             ;   in Loop: Header=BB4_137 Depth=3
	v_cmp_eq_u16_sdwa s74, v11, v101 src0_sel:BYTE_1 src1_sel:DWORD
	s_mov_b32 s16, -1
	s_and_saveexec_b32 s73, s74
; %bb.1001:                             ;   in Loop: Header=BB4_137 Depth=3
	s_xor_b32 s16, exec_lo, -1
; %bb.1002:                             ;   in Loop: Header=BB4_137 Depth=3
	s_or_b32 exec_lo, exec_lo, s73
	s_and_b32 s16, s16, exec_lo
	s_or_saveexec_b32 s72, s72
	v_mov_b32_e32 v14, 0x7f800001
	s_xor_b32 exec_lo, exec_lo, s72
	s_cbranch_execnz .LBB4_1162
.LBB4_1003:                             ;   in Loop: Header=BB4_137 Depth=3
	s_or_b32 exec_lo, exec_lo, s72
	s_and_saveexec_b32 s72, s16
	s_cbranch_execz .LBB4_1005
.LBB4_1004:                             ;   in Loop: Header=BB4_137 Depth=3
	v_and_b32_sdwa v14, v102, v11 dst_sel:DWORD dst_unused:UNUSED_PAD src0_sel:DWORD src1_sel:BYTE_1
	v_and_b32_e32 v15, 3, v14
	v_bfe_u32 v80, v14, 2, 5
	v_ffbh_u32_e32 v50, v15
	v_cmp_eq_u32_e32 vcc_lo, 0, v80
	v_min_u32_e32 v50, 32, v50
	v_subrev_nc_u32_e32 v51, 29, v50
	v_sub_nc_u32_e32 v50, 30, v50
	v_lshlrev_b32_e32 v14, v51, v14
	v_lshlrev_b32_sdwa v51, v103, v11 dst_sel:DWORD dst_unused:UNUSED_PAD src0_sel:DWORD src1_sel:BYTE_1
	v_cndmask_b32_e32 v50, v80, v50, vcc_lo
	v_and_b32_e32 v14, 3, v14
	v_lshl_add_u32 v50, v50, 23, 0x37800000
	v_cndmask_b32_e32 v14, v15, v14, vcc_lo
	v_and_b32_e32 v15, 0x80000000, v51
	v_lshlrev_b32_e32 v14, 21, v14
	v_or3_b32 v14, v15, v50, v14
.LBB4_1005:                             ;   in Loop: Header=BB4_137 Depth=3
	s_or_b32 exec_lo, exec_lo, s72
	v_mul_f32_e32 v50, s63, v14
	v_mov_b32_e32 v80, 0x8000
	s_mov_b32 s72, exec_lo
	v_and_b32_e32 v14, 0x7f800000, v50
	v_cmpx_ne_u32_e32 0x7f800000, v14
	s_cbranch_execz .LBB4_1013
; %bb.1006:                             ;   in Loop: Header=BB4_137 Depth=3
	v_mov_b32_e32 v80, 0
	s_mov_b32 s73, exec_lo
	v_cmpx_ne_u32_e32 0, v50
	s_cbranch_execz .LBB4_1012
; %bb.1007:                             ;   in Loop: Header=BB4_137 Depth=3
	v_bfe_u32 v15, v50, 23, 8
	v_and_b32_e32 v14, 0x7fffff, v50
	v_cmp_gt_u32_e64 s16, 0x71, v15
	v_sub_nc_u32_e32 v51, 0x70, v15
	v_cmp_eq_u32_e32 vcc_lo, 0, v15
	v_or_b32_e32 v80, 0x800000, v14
	v_add_nc_u32_e32 v15, 0xffffff91, v15
	v_cndmask_b32_e64 v51, 0, v51, s16
	v_cndmask_b32_e32 v14, v80, v14, vcc_lo
	v_cndmask_b32_e64 v15, v15, 0xffffff92, vcc_lo
	v_cndmask_b32_e64 v51, v51, 0x6f, vcc_lo
	v_lshl_add_u32 v80, 0x200000, v51, -1
	v_lshlrev_b32_e64 v40, v51, 0x100000
	v_and_b32_e32 v80, v80, v14
	v_lshrrev_b32_e32 v14, v51, v14
	v_add_nc_u32_e32 v51, v51, v15
	v_cmp_eq_u32_e64 s16, v80, v40
	v_lshrrev_b32_e32 v15, 23, v14
	v_xor_b32_e32 v80, 1, v15
	v_bfe_u32 v15, v14, 21, 1
	v_add_nc_u32_e32 v15, -1, v15
	v_cndmask_b32_e64 v15, 0, v15, s16
	s_mov_b32 s16, exec_lo
	v_add_nc_u32_e32 v15, v15, v14
	v_and_b32_e32 v15, 0x1fffff, v15
	v_add_nc_u32_e32 v40, v15, v14
                                        ; implicit-def: $vgpr14
	v_cmpx_ne_u32_e64 v51, v80
	s_xor_b32 s16, exec_lo, s16
; %bb.1008:                             ;   in Loop: Header=BB4_137 Depth=3
	v_cmp_lt_u32_e32 vcc_lo, 0xffffff, v40
	v_sub_nc_u32_e32 v14, v51, v80
	v_cndmask_b32_e64 v15, 0, 1, vcc_lo
	v_add_co_ci_u32_e64 v14, null, 0, v14, vcc_lo
	v_lshrrev_b32_e32 v40, v15, v40
; %bb.1009:                             ;   in Loop: Header=BB4_137 Depth=3
	s_andn2_saveexec_b32 s16, s16
; %bb.1010:                             ;   in Loop: Header=BB4_137 Depth=3
	v_bfe_u32 v14, v40, 23, 1
; %bb.1011:                             ;   in Loop: Header=BB4_137 Depth=3
	s_or_b32 exec_lo, exec_lo, s16
	v_and_b32_sdwa v15, v50, v101 dst_sel:DWORD dst_unused:UNUSED_PAD src0_sel:BYTE_3 src1_sel:DWORD
	v_lshrrev_b32_e32 v50, 21, v40
	v_min_i32_e32 v51, 31, v14
	v_cmp_gt_i32_e32 vcc_lo, 32, v14
	v_lshlrev_b32_e32 v51, 2, v51
	v_cndmask_b32_e32 v50, 3, v50, vcc_lo
	v_and_b32_e32 v51, 0xfc, v51
	v_or_b32_e32 v14, v14, v50
	v_and_b32_e32 v50, 3, v50
	v_cmp_ne_u32_e32 vcc_lo, 0, v14
	v_or3_b32 v15, v15, v51, v50
	v_lshlrev_b32_e32 v15, 8, v15
	v_cndmask_b32_e32 v80, 0, v15, vcc_lo
.LBB4_1012:                             ;   in Loop: Header=BB4_137 Depth=3
	s_or_b32 exec_lo, exec_lo, s73
.LBB4_1013:                             ;   in Loop: Header=BB4_137 Depth=3
	s_or_b32 exec_lo, exec_lo, s72
	v_and_b32_sdwa v15, v11, v112 dst_sel:DWORD dst_unused:UNUSED_PAD src0_sel:WORD_1 src1_sel:DWORD
	s_mov_b32 s72, 0
	s_mov_b32 s16, exec_lo
	v_cmpx_lt_i16_e32 0x7f, v15
	s_xor_b32 s16, exec_lo, s16
	s_cbranch_execz .LBB4_1163
; %bb.1014:                             ;   in Loop: Header=BB4_137 Depth=3
	s_mov_b32 s72, -1
	s_mov_b32 s73, exec_lo
	v_cmpx_eq_u16_e32 0x80, v15
; %bb.1015:                             ;   in Loop: Header=BB4_137 Depth=3
	s_xor_b32 s72, exec_lo, -1
; %bb.1016:                             ;   in Loop: Header=BB4_137 Depth=3
	s_or_b32 exec_lo, exec_lo, s73
	s_and_b32 s72, s72, exec_lo
                                        ; implicit-def: $vgpr15
	s_or_saveexec_b32 s16, s16
	v_mov_b32_e32 v14, 0x7f800001
	s_xor_b32 exec_lo, exec_lo, s16
	s_cbranch_execnz .LBB4_1164
.LBB4_1017:                             ;   in Loop: Header=BB4_137 Depth=3
	s_or_b32 exec_lo, exec_lo, s16
	s_and_saveexec_b32 s16, s72
	s_cbranch_execz .LBB4_1019
.LBB4_1018:                             ;   in Loop: Header=BB4_137 Depth=3
	v_bfe_u32 v14, v11, 16, 2
	v_bfe_u32 v15, v11, 18, 5
	v_ffbh_u32_e32 v50, v14
	v_cmp_eq_u32_e32 vcc_lo, 0, v15
	v_min_u32_e32 v50, 32, v50
	v_subrev_nc_u32_e32 v51, 29, v50
	v_sub_nc_u32_e32 v50, 30, v50
	v_lshlrev_b32_sdwa v51, v51, v11 dst_sel:DWORD dst_unused:UNUSED_PAD src0_sel:DWORD src1_sel:WORD_1
	v_cndmask_b32_e32 v15, v15, v50, vcc_lo
	v_lshlrev_b32_e32 v50, 8, v11
	v_and_b32_e32 v51, 3, v51
	v_lshl_add_u32 v15, v15, 23, 0x37800000
	v_and_b32_e32 v50, 0x80000000, v50
	v_cndmask_b32_e32 v14, v14, v51, vcc_lo
	v_lshlrev_b32_e32 v14, 21, v14
	v_or3_b32 v14, v50, v15, v14
.LBB4_1019:                             ;   in Loop: Header=BB4_137 Depth=3
	s_or_b32 exec_lo, exec_lo, s16
	v_mul_f32_e32 v51, s63, v14
	v_mov_b32_e32 v50, 0x80
	s_mov_b32 s72, exec_lo
	v_and_b32_e32 v14, 0x7f800000, v51
	v_cmpx_ne_u32_e32 0x7f800000, v14
	s_cbranch_execz .LBB4_1027
; %bb.1020:                             ;   in Loop: Header=BB4_137 Depth=3
	v_mov_b32_e32 v50, 0
	s_mov_b32 s73, exec_lo
	v_cmpx_ne_u32_e32 0, v51
	s_cbranch_execz .LBB4_1026
; %bb.1021:                             ;   in Loop: Header=BB4_137 Depth=3
	v_bfe_u32 v15, v51, 23, 8
	v_and_b32_e32 v14, 0x7fffff, v51
	v_cmp_gt_u32_e64 s16, 0x71, v15
	v_sub_nc_u32_e32 v50, 0x70, v15
	v_cmp_eq_u32_e32 vcc_lo, 0, v15
	v_or_b32_e32 v40, 0x800000, v14
	v_add_nc_u32_e32 v15, 0xffffff91, v15
	v_cndmask_b32_e64 v50, 0, v50, s16
	v_cndmask_b32_e32 v14, v40, v14, vcc_lo
	v_cndmask_b32_e64 v15, v15, 0xffffff92, vcc_lo
	v_cndmask_b32_e64 v50, v50, 0x6f, vcc_lo
	v_lshl_add_u32 v40, 0x200000, v50, -1
	v_lshlrev_b32_e64 v115, v50, 0x100000
	v_and_b32_e32 v40, v40, v14
	v_lshrrev_b32_e32 v14, v50, v14
	v_add_nc_u32_e32 v50, v50, v15
	v_cmp_eq_u32_e64 s16, v40, v115
	v_lshrrev_b32_e32 v15, 23, v14
	v_xor_b32_e32 v40, 1, v15
	v_bfe_u32 v15, v14, 21, 1
	v_add_nc_u32_e32 v15, -1, v15
	v_cndmask_b32_e64 v15, 0, v15, s16
	s_mov_b32 s16, exec_lo
	v_add_nc_u32_e32 v15, v15, v14
	v_and_b32_e32 v15, 0x1fffff, v15
	v_add_nc_u32_e32 v14, v15, v14
                                        ; implicit-def: $vgpr15
	v_cmpx_ne_u32_e64 v50, v40
	s_xor_b32 s16, exec_lo, s16
; %bb.1022:                             ;   in Loop: Header=BB4_137 Depth=3
	v_cmp_lt_u32_e32 vcc_lo, 0xffffff, v14
	v_sub_nc_u32_e32 v15, v50, v40
	v_cndmask_b32_e64 v50, 0, 1, vcc_lo
	v_add_co_ci_u32_e64 v15, null, 0, v15, vcc_lo
	v_lshrrev_b32_e32 v14, v50, v14
; %bb.1023:                             ;   in Loop: Header=BB4_137 Depth=3
	s_andn2_saveexec_b32 s16, s16
; %bb.1024:                             ;   in Loop: Header=BB4_137 Depth=3
	v_bfe_u32 v15, v14, 23, 1
; %bb.1025:                             ;   in Loop: Header=BB4_137 Depth=3
	s_or_b32 exec_lo, exec_lo, s16
	v_and_b32_sdwa v50, v51, v101 dst_sel:DWORD dst_unused:UNUSED_PAD src0_sel:BYTE_3 src1_sel:DWORD
	v_lshrrev_b32_e32 v14, 21, v14
	v_min_i32_e32 v51, 31, v15
	v_cmp_gt_i32_e32 vcc_lo, 32, v15
	v_lshlrev_b32_e32 v51, 2, v51
	v_cndmask_b32_e32 v14, 3, v14, vcc_lo
	v_and_b32_e32 v51, 0xfc, v51
	v_or_b32_e32 v15, v15, v14
	v_and_b32_e32 v14, 3, v14
	v_cmp_ne_u32_e32 vcc_lo, 0, v15
	v_or3_b32 v14, v51, v50, v14
	v_cndmask_b32_e32 v50, 0, v14, vcc_lo
.LBB4_1026:                             ;   in Loop: Header=BB4_137 Depth=3
	s_or_b32 exec_lo, exec_lo, s73
.LBB4_1027:                             ;   in Loop: Header=BB4_137 Depth=3
	s_or_b32 exec_lo, exec_lo, s72
	v_cmp_gt_i16_sdwa s72, v11, v100 src0_sel:BYTE_3 src1_sel:DWORD
	s_mov_b32 s16, 0
	s_and_saveexec_b32 s73, s72
	s_xor_b32 s72, exec_lo, s73
	s_cbranch_execz .LBB4_1165
; %bb.1028:                             ;   in Loop: Header=BB4_137 Depth=3
	v_cmp_eq_u16_sdwa s74, v11, v101 src0_sel:BYTE_3 src1_sel:DWORD
	s_mov_b32 s16, -1
	s_and_saveexec_b32 s73, s74
; %bb.1029:                             ;   in Loop: Header=BB4_137 Depth=3
	s_xor_b32 s16, exec_lo, -1
; %bb.1030:                             ;   in Loop: Header=BB4_137 Depth=3
	s_or_b32 exec_lo, exec_lo, s73
	s_and_b32 s16, s16, exec_lo
	s_or_saveexec_b32 s72, s72
	v_mov_b32_e32 v14, 0x7f800001
	s_xor_b32 exec_lo, exec_lo, s72
	s_cbranch_execnz .LBB4_1166
.LBB4_1031:                             ;   in Loop: Header=BB4_137 Depth=3
	s_or_b32 exec_lo, exec_lo, s72
	s_and_saveexec_b32 s72, s16
	s_cbranch_execz .LBB4_1033
.LBB4_1032:                             ;   in Loop: Header=BB4_137 Depth=3
	v_bfe_u32 v14, v11, 24, 2
	v_bfe_u32 v115, v11, 26, 5
	v_ffbh_u32_e32 v15, v14
	v_cmp_eq_u32_e32 vcc_lo, 0, v115
	v_min_u32_e32 v15, 32, v15
	v_subrev_nc_u32_e32 v51, 29, v15
	v_sub_nc_u32_e32 v15, 30, v15
	v_lshlrev_b32_sdwa v51, v51, v11 dst_sel:DWORD dst_unused:UNUSED_PAD src0_sel:DWORD src1_sel:BYTE_3
	v_cndmask_b32_e32 v15, v115, v15, vcc_lo
	v_and_b32_e32 v11, 0x80000000, v11
	v_and_b32_e32 v51, 3, v51
	v_lshl_add_u32 v15, v15, 23, 0x37800000
	v_cndmask_b32_e32 v14, v14, v51, vcc_lo
	v_lshlrev_b32_e32 v14, 21, v14
	v_or3_b32 v14, v11, v15, v14
.LBB4_1033:                             ;   in Loop: Header=BB4_137 Depth=3
	s_or_b32 exec_lo, exec_lo, s72
	v_mul_f32_e32 v11, s63, v14
	v_mov_b32_e32 v51, 0x8000
	s_mov_b32 s63, exec_lo
	v_and_b32_e32 v14, 0x7f800000, v11
	v_cmpx_ne_u32_e32 0x7f800000, v14
	s_cbranch_execz .LBB4_136
; %bb.1034:                             ;   in Loop: Header=BB4_137 Depth=3
	v_mov_b32_e32 v51, 0
	s_mov_b32 s72, exec_lo
	v_cmpx_ne_u32_e32 0, v11
	s_cbranch_execz .LBB4_135
; %bb.1035:                             ;   in Loop: Header=BB4_137 Depth=3
	v_bfe_u32 v15, v11, 23, 8
	v_and_b32_e32 v14, 0x7fffff, v11
	v_cmp_gt_u32_e64 s16, 0x71, v15
	v_sub_nc_u32_e32 v51, 0x70, v15
	v_cmp_eq_u32_e32 vcc_lo, 0, v15
	v_or_b32_e32 v115, 0x800000, v14
	v_add_nc_u32_e32 v15, 0xffffff91, v15
	v_cndmask_b32_e64 v51, 0, v51, s16
	v_cndmask_b32_e32 v14, v115, v14, vcc_lo
	v_cndmask_b32_e64 v15, v15, 0xffffff92, vcc_lo
	v_cndmask_b32_e64 v51, v51, 0x6f, vcc_lo
	v_lshl_add_u32 v115, 0x200000, v51, -1
	v_lshlrev_b32_e64 v40, v51, 0x100000
	v_and_b32_e32 v115, v115, v14
	v_lshrrev_b32_e32 v14, v51, v14
	v_add_nc_u32_e32 v51, v51, v15
	v_cmp_eq_u32_e64 s16, v115, v40
	v_lshrrev_b32_e32 v15, 23, v14
	v_xor_b32_e32 v40, 1, v15
	v_bfe_u32 v15, v14, 21, 1
	v_add_nc_u32_e32 v15, -1, v15
	v_cndmask_b32_e64 v15, 0, v15, s16
	s_mov_b32 s16, exec_lo
	v_add_nc_u32_e32 v15, v15, v14
	v_and_b32_e32 v15, 0x1fffff, v15
	v_add_nc_u32_e32 v14, v15, v14
                                        ; implicit-def: $vgpr15
	v_cmpx_ne_u32_e64 v51, v40
	s_xor_b32 s16, exec_lo, s16
; %bb.1036:                             ;   in Loop: Header=BB4_137 Depth=3
	v_cmp_lt_u32_e32 vcc_lo, 0xffffff, v14
	v_sub_nc_u32_e32 v15, v51, v40
	v_cndmask_b32_e64 v51, 0, 1, vcc_lo
	v_add_co_ci_u32_e64 v15, null, 0, v15, vcc_lo
	v_lshrrev_b32_e32 v14, v51, v14
; %bb.1037:                             ;   in Loop: Header=BB4_137 Depth=3
	s_andn2_saveexec_b32 s16, s16
	s_cbranch_execz .LBB4_134
; %bb.1038:                             ;   in Loop: Header=BB4_137 Depth=3
	v_bfe_u32 v15, v14, 23, 1
	s_branch .LBB4_134
.LBB4_1039:                             ;   in Loop: Header=BB4_137 Depth=3
	s_or_saveexec_b32 s72, s72
	v_mov_b32_e32 v1, 0x7f800001
	s_xor_b32 exec_lo, exec_lo, s72
	s_cbranch_execz .LBB4_149
.LBB4_1040:                             ;   in Loop: Header=BB4_137 Depth=3
	v_cmp_ne_u16_sdwa s73, v8, v2 src0_sel:BYTE_0 src1_sel:DWORD
	v_mov_b32_e32 v1, 0
	s_andn2_b32 s16, s16, exec_lo
	s_and_b32 s73, s73, exec_lo
	s_or_b32 s16, s16, s73
	s_or_b32 exec_lo, exec_lo, s72
	s_and_saveexec_b32 s72, s16
	s_cbranch_execnz .LBB4_150
	s_branch .LBB4_151
.LBB4_1041:                             ;   in Loop: Header=BB4_137 Depth=3
	s_or_saveexec_b32 s72, s72
	v_mov_b32_e32 v1, 0x7f800001
	s_xor_b32 exec_lo, exec_lo, s72
	s_cbranch_execz .LBB4_163
.LBB4_1042:                             ;   in Loop: Header=BB4_137 Depth=3
	v_cmp_ne_u16_sdwa s73, v8, v2 src0_sel:BYTE_1 src1_sel:DWORD
	v_mov_b32_e32 v1, 0
	s_andn2_b32 s16, s16, exec_lo
	s_and_b32 s73, s73, exec_lo
	s_or_b32 s16, s16, s73
	s_or_b32 exec_lo, exec_lo, s72
	s_and_saveexec_b32 s72, s16
	s_cbranch_execnz .LBB4_164
	s_branch .LBB4_165
.LBB4_1043:                             ;   in Loop: Header=BB4_137 Depth=3
	s_or_saveexec_b32 s72, s72
	v_mov_b32_e32 v1, 0x7f800001
	s_xor_b32 exec_lo, exec_lo, s72
	s_cbranch_execz .LBB4_177
.LBB4_1044:                             ;   in Loop: Header=BB4_137 Depth=3
	v_cmp_ne_u16_e32 vcc_lo, 0, v4
	v_mov_b32_e32 v1, 0
	s_andn2_b32 s16, s16, exec_lo
	s_and_b32 s73, vcc_lo, exec_lo
	s_or_b32 s16, s16, s73
	s_or_b32 exec_lo, exec_lo, s72
	s_and_saveexec_b32 s72, s16
	s_cbranch_execnz .LBB4_178
	s_branch .LBB4_179
.LBB4_1045:                             ;   in Loop: Header=BB4_137 Depth=3
	s_or_saveexec_b32 s72, s72
	v_mov_b32_e32 v1, 0x7f800001
	s_xor_b32 exec_lo, exec_lo, s72
	s_cbranch_execz .LBB4_191
.LBB4_1046:                             ;   in Loop: Header=BB4_137 Depth=3
	v_cmp_ne_u16_sdwa s73, v8, v2 src0_sel:BYTE_3 src1_sel:DWORD
	v_mov_b32_e32 v1, 0
	s_andn2_b32 s16, s16, exec_lo
	s_and_b32 s73, s73, exec_lo
	s_or_b32 s16, s16, s73
	s_or_b32 exec_lo, exec_lo, s72
	s_and_saveexec_b32 s72, s16
	s_cbranch_execnz .LBB4_192
	s_branch .LBB4_193
.LBB4_1047:                             ;   in Loop: Header=BB4_137 Depth=3
	s_or_saveexec_b32 s72, s72
	v_mov_b32_e32 v1, 0x7f800001
	s_xor_b32 exec_lo, exec_lo, s72
	s_cbranch_execz .LBB4_205
.LBB4_1048:                             ;   in Loop: Header=BB4_137 Depth=3
	v_cmp_ne_u16_sdwa s73, v9, v2 src0_sel:BYTE_0 src1_sel:DWORD
	v_mov_b32_e32 v1, 0
	s_andn2_b32 s16, s16, exec_lo
	s_and_b32 s73, s73, exec_lo
	s_or_b32 s16, s16, s73
	s_or_b32 exec_lo, exec_lo, s72
	s_and_saveexec_b32 s72, s16
	s_cbranch_execnz .LBB4_206
	s_branch .LBB4_207
.LBB4_1049:                             ;   in Loop: Header=BB4_137 Depth=3
	s_or_saveexec_b32 s72, s72
	v_mov_b32_e32 v1, 0x7f800001
	s_xor_b32 exec_lo, exec_lo, s72
	s_cbranch_execz .LBB4_219
.LBB4_1050:                             ;   in Loop: Header=BB4_137 Depth=3
	v_cmp_ne_u16_sdwa s73, v9, v2 src0_sel:BYTE_1 src1_sel:DWORD
	v_mov_b32_e32 v1, 0
	s_andn2_b32 s16, s16, exec_lo
	s_and_b32 s73, s73, exec_lo
	s_or_b32 s16, s16, s73
	s_or_b32 exec_lo, exec_lo, s72
	s_and_saveexec_b32 s72, s16
	s_cbranch_execnz .LBB4_220
	s_branch .LBB4_221
.LBB4_1051:                             ;   in Loop: Header=BB4_137 Depth=3
	s_or_saveexec_b32 s72, s72
	v_mov_b32_e32 v1, 0x7f800001
	s_xor_b32 exec_lo, exec_lo, s72
	s_cbranch_execz .LBB4_233
.LBB4_1052:                             ;   in Loop: Header=BB4_137 Depth=3
	v_cmp_ne_u16_e32 vcc_lo, 0, v4
	v_mov_b32_e32 v1, 0
	s_andn2_b32 s16, s16, exec_lo
	s_and_b32 s73, vcc_lo, exec_lo
	s_or_b32 s16, s16, s73
	s_or_b32 exec_lo, exec_lo, s72
	s_and_saveexec_b32 s72, s16
	s_cbranch_execnz .LBB4_234
	s_branch .LBB4_235
.LBB4_1053:                             ;   in Loop: Header=BB4_137 Depth=3
	s_or_saveexec_b32 s72, s72
	v_mov_b32_e32 v1, 0x7f800001
	s_xor_b32 exec_lo, exec_lo, s72
	s_cbranch_execz .LBB4_247
.LBB4_1054:                             ;   in Loop: Header=BB4_137 Depth=3
	v_cmp_ne_u16_sdwa s73, v9, v2 src0_sel:BYTE_3 src1_sel:DWORD
	v_mov_b32_e32 v1, 0
	s_andn2_b32 s16, s16, exec_lo
	s_and_b32 s73, s73, exec_lo
	s_or_b32 s16, s16, s73
	s_or_b32 exec_lo, exec_lo, s72
	s_and_saveexec_b32 s72, s16
	s_cbranch_execnz .LBB4_248
	s_branch .LBB4_249
.LBB4_1055:                             ;   in Loop: Header=BB4_137 Depth=3
	s_or_saveexec_b32 s72, s72
	v_mov_b32_e32 v1, 0x7f800001
	s_xor_b32 exec_lo, exec_lo, s72
	s_cbranch_execz .LBB4_261
.LBB4_1056:                             ;   in Loop: Header=BB4_137 Depth=3
	v_cmp_ne_u16_sdwa s73, v10, v2 src0_sel:BYTE_0 src1_sel:DWORD
	v_mov_b32_e32 v1, 0
	s_andn2_b32 s16, s16, exec_lo
	s_and_b32 s73, s73, exec_lo
	s_or_b32 s16, s16, s73
	s_or_b32 exec_lo, exec_lo, s72
	s_and_saveexec_b32 s72, s16
	s_cbranch_execnz .LBB4_262
	s_branch .LBB4_263
.LBB4_1057:                             ;   in Loop: Header=BB4_137 Depth=3
	s_or_saveexec_b32 s72, s72
	v_mov_b32_e32 v1, 0x7f800001
	s_xor_b32 exec_lo, exec_lo, s72
	s_cbranch_execz .LBB4_275
.LBB4_1058:                             ;   in Loop: Header=BB4_137 Depth=3
	v_cmp_ne_u16_sdwa s73, v10, v2 src0_sel:BYTE_1 src1_sel:DWORD
	v_mov_b32_e32 v1, 0
	s_andn2_b32 s16, s16, exec_lo
	s_and_b32 s73, s73, exec_lo
	s_or_b32 s16, s16, s73
	s_or_b32 exec_lo, exec_lo, s72
	s_and_saveexec_b32 s72, s16
	s_cbranch_execnz .LBB4_276
	s_branch .LBB4_277
.LBB4_1059:                             ;   in Loop: Header=BB4_137 Depth=3
	s_or_saveexec_b32 s72, s72
	v_mov_b32_e32 v1, 0x7f800001
	s_xor_b32 exec_lo, exec_lo, s72
	s_cbranch_execz .LBB4_289
.LBB4_1060:                             ;   in Loop: Header=BB4_137 Depth=3
	v_cmp_ne_u16_e32 vcc_lo, 0, v4
	v_mov_b32_e32 v1, 0
	s_andn2_b32 s16, s16, exec_lo
	s_and_b32 s73, vcc_lo, exec_lo
	s_or_b32 s16, s16, s73
	s_or_b32 exec_lo, exec_lo, s72
	s_and_saveexec_b32 s72, s16
	s_cbranch_execnz .LBB4_290
	s_branch .LBB4_291
.LBB4_1061:                             ;   in Loop: Header=BB4_137 Depth=3
	s_or_saveexec_b32 s72, s72
	v_mov_b32_e32 v1, 0x7f800001
	s_xor_b32 exec_lo, exec_lo, s72
	s_cbranch_execz .LBB4_303
.LBB4_1062:                             ;   in Loop: Header=BB4_137 Depth=3
	v_cmp_ne_u16_sdwa s73, v10, v2 src0_sel:BYTE_3 src1_sel:DWORD
	v_mov_b32_e32 v1, 0
	s_andn2_b32 s16, s16, exec_lo
	s_and_b32 s73, s73, exec_lo
	s_or_b32 s16, s16, s73
	s_or_b32 exec_lo, exec_lo, s72
	s_and_saveexec_b32 s72, s16
	s_cbranch_execnz .LBB4_304
	s_branch .LBB4_305
.LBB4_1063:                             ;   in Loop: Header=BB4_137 Depth=3
	s_or_saveexec_b32 s72, s72
	v_mov_b32_e32 v1, 0x7f800001
	s_xor_b32 exec_lo, exec_lo, s72
	s_cbranch_execz .LBB4_317
.LBB4_1064:                             ;   in Loop: Header=BB4_137 Depth=3
	v_cmp_ne_u16_sdwa s73, v11, v2 src0_sel:BYTE_0 src1_sel:DWORD
	v_mov_b32_e32 v1, 0
	s_andn2_b32 s16, s16, exec_lo
	s_and_b32 s73, s73, exec_lo
	s_or_b32 s16, s16, s73
	s_or_b32 exec_lo, exec_lo, s72
	s_and_saveexec_b32 s72, s16
	s_cbranch_execnz .LBB4_318
	s_branch .LBB4_319
.LBB4_1065:                             ;   in Loop: Header=BB4_137 Depth=3
	s_or_saveexec_b32 s72, s72
	v_mov_b32_e32 v1, 0x7f800001
	s_xor_b32 exec_lo, exec_lo, s72
	s_cbranch_execz .LBB4_331
.LBB4_1066:                             ;   in Loop: Header=BB4_137 Depth=3
	v_cmp_ne_u16_sdwa s73, v11, v2 src0_sel:BYTE_1 src1_sel:DWORD
	v_mov_b32_e32 v1, 0
	s_andn2_b32 s16, s16, exec_lo
	s_and_b32 s73, s73, exec_lo
	s_or_b32 s16, s16, s73
	s_or_b32 exec_lo, exec_lo, s72
	s_and_saveexec_b32 s72, s16
	s_cbranch_execnz .LBB4_332
	s_branch .LBB4_333
.LBB4_1067:                             ;   in Loop: Header=BB4_137 Depth=3
	s_or_saveexec_b32 s72, s72
	v_mov_b32_e32 v1, 0x7f800001
	s_xor_b32 exec_lo, exec_lo, s72
	s_cbranch_execz .LBB4_345
.LBB4_1068:                             ;   in Loop: Header=BB4_137 Depth=3
	v_cmp_ne_u16_e32 vcc_lo, 0, v4
	v_mov_b32_e32 v1, 0
	s_andn2_b32 s16, s16, exec_lo
	s_and_b32 s73, vcc_lo, exec_lo
	s_or_b32 s16, s16, s73
	s_or_b32 exec_lo, exec_lo, s72
	s_and_saveexec_b32 s72, s16
	s_cbranch_execnz .LBB4_346
	s_branch .LBB4_347
.LBB4_1069:                             ;   in Loop: Header=BB4_137 Depth=3
	s_or_saveexec_b32 s72, s72
	v_mov_b32_e32 v1, 0x7f800001
	s_xor_b32 exec_lo, exec_lo, s72
	s_cbranch_execz .LBB4_359
.LBB4_1070:                             ;   in Loop: Header=BB4_137 Depth=3
	v_cmp_ne_u16_sdwa s73, v11, v2 src0_sel:BYTE_3 src1_sel:DWORD
	v_mov_b32_e32 v1, 0
	s_andn2_b32 s16, s16, exec_lo
	s_and_b32 s73, s73, exec_lo
	s_or_b32 s16, s16, s73
	s_or_b32 exec_lo, exec_lo, s72
	s_and_saveexec_b32 s72, s16
	s_cbranch_execnz .LBB4_360
	s_branch .LBB4_361
.LBB4_1071:                             ;   in Loop: Header=BB4_137 Depth=3
	s_or_saveexec_b32 s72, s72
	v_mov_b32_e32 v1, 0x7f800001
	s_xor_b32 exec_lo, exec_lo, s72
	s_cbranch_execz .LBB4_373
.LBB4_1072:                             ;   in Loop: Header=BB4_137 Depth=3
	v_cmp_ne_u16_sdwa s73, v8, v2 src0_sel:BYTE_0 src1_sel:DWORD
	v_mov_b32_e32 v1, 0
	s_andn2_b32 s16, s16, exec_lo
	s_and_b32 s73, s73, exec_lo
	s_or_b32 s16, s16, s73
	s_or_b32 exec_lo, exec_lo, s72
	s_and_saveexec_b32 s72, s16
	s_cbranch_execnz .LBB4_374
	s_branch .LBB4_375
.LBB4_1073:                             ;   in Loop: Header=BB4_137 Depth=3
	s_or_saveexec_b32 s72, s72
	v_mov_b32_e32 v1, 0x7f800001
	s_xor_b32 exec_lo, exec_lo, s72
	s_cbranch_execz .LBB4_387
.LBB4_1074:                             ;   in Loop: Header=BB4_137 Depth=3
	v_cmp_ne_u16_sdwa s73, v8, v2 src0_sel:BYTE_1 src1_sel:DWORD
	v_mov_b32_e32 v1, 0
	s_andn2_b32 s16, s16, exec_lo
	s_and_b32 s73, s73, exec_lo
	s_or_b32 s16, s16, s73
	s_or_b32 exec_lo, exec_lo, s72
	s_and_saveexec_b32 s72, s16
	s_cbranch_execnz .LBB4_388
	s_branch .LBB4_389
.LBB4_1075:                             ;   in Loop: Header=BB4_137 Depth=3
	s_or_saveexec_b32 s72, s72
	v_mov_b32_e32 v1, 0x7f800001
	s_xor_b32 exec_lo, exec_lo, s72
	s_cbranch_execz .LBB4_401
.LBB4_1076:                             ;   in Loop: Header=BB4_137 Depth=3
	v_cmp_ne_u16_e32 vcc_lo, 0, v4
	v_mov_b32_e32 v1, 0
	s_andn2_b32 s16, s16, exec_lo
	s_and_b32 s73, vcc_lo, exec_lo
	s_or_b32 s16, s16, s73
	s_or_b32 exec_lo, exec_lo, s72
	s_and_saveexec_b32 s72, s16
	s_cbranch_execnz .LBB4_402
	s_branch .LBB4_403
.LBB4_1077:                             ;   in Loop: Header=BB4_137 Depth=3
	s_or_saveexec_b32 s72, s72
	v_mov_b32_e32 v1, 0x7f800001
	s_xor_b32 exec_lo, exec_lo, s72
	s_cbranch_execz .LBB4_415
.LBB4_1078:                             ;   in Loop: Header=BB4_137 Depth=3
	v_cmp_ne_u16_sdwa s73, v8, v2 src0_sel:BYTE_3 src1_sel:DWORD
	v_mov_b32_e32 v1, 0
	s_andn2_b32 s16, s16, exec_lo
	s_and_b32 s73, s73, exec_lo
	s_or_b32 s16, s16, s73
	s_or_b32 exec_lo, exec_lo, s72
	s_and_saveexec_b32 s72, s16
	s_cbranch_execnz .LBB4_416
	s_branch .LBB4_417
.LBB4_1079:                             ;   in Loop: Header=BB4_137 Depth=3
	s_or_saveexec_b32 s72, s72
	v_mov_b32_e32 v1, 0x7f800001
	s_xor_b32 exec_lo, exec_lo, s72
	s_cbranch_execz .LBB4_429
.LBB4_1080:                             ;   in Loop: Header=BB4_137 Depth=3
	v_cmp_ne_u16_sdwa s73, v9, v2 src0_sel:BYTE_0 src1_sel:DWORD
	v_mov_b32_e32 v1, 0
	s_andn2_b32 s16, s16, exec_lo
	s_and_b32 s73, s73, exec_lo
	s_or_b32 s16, s16, s73
	s_or_b32 exec_lo, exec_lo, s72
	s_and_saveexec_b32 s72, s16
	s_cbranch_execnz .LBB4_430
	s_branch .LBB4_431
.LBB4_1081:                             ;   in Loop: Header=BB4_137 Depth=3
	s_or_saveexec_b32 s72, s72
	v_mov_b32_e32 v1, 0x7f800001
	s_xor_b32 exec_lo, exec_lo, s72
	s_cbranch_execz .LBB4_443
.LBB4_1082:                             ;   in Loop: Header=BB4_137 Depth=3
	v_cmp_ne_u16_sdwa s73, v9, v2 src0_sel:BYTE_1 src1_sel:DWORD
	v_mov_b32_e32 v1, 0
	s_andn2_b32 s16, s16, exec_lo
	s_and_b32 s73, s73, exec_lo
	s_or_b32 s16, s16, s73
	s_or_b32 exec_lo, exec_lo, s72
	s_and_saveexec_b32 s72, s16
	s_cbranch_execnz .LBB4_444
	s_branch .LBB4_445
.LBB4_1083:                             ;   in Loop: Header=BB4_137 Depth=3
	s_or_saveexec_b32 s72, s72
	v_mov_b32_e32 v1, 0x7f800001
	s_xor_b32 exec_lo, exec_lo, s72
	s_cbranch_execz .LBB4_457
.LBB4_1084:                             ;   in Loop: Header=BB4_137 Depth=3
	v_cmp_ne_u16_e32 vcc_lo, 0, v4
	v_mov_b32_e32 v1, 0
	s_andn2_b32 s16, s16, exec_lo
	s_and_b32 s73, vcc_lo, exec_lo
	s_or_b32 s16, s16, s73
	s_or_b32 exec_lo, exec_lo, s72
	s_and_saveexec_b32 s72, s16
	s_cbranch_execnz .LBB4_458
	s_branch .LBB4_459
.LBB4_1085:                             ;   in Loop: Header=BB4_137 Depth=3
	s_or_saveexec_b32 s72, s72
	v_mov_b32_e32 v1, 0x7f800001
	s_xor_b32 exec_lo, exec_lo, s72
	s_cbranch_execz .LBB4_471
.LBB4_1086:                             ;   in Loop: Header=BB4_137 Depth=3
	v_cmp_ne_u16_sdwa s73, v9, v2 src0_sel:BYTE_3 src1_sel:DWORD
	v_mov_b32_e32 v1, 0
	s_andn2_b32 s16, s16, exec_lo
	s_and_b32 s73, s73, exec_lo
	s_or_b32 s16, s16, s73
	s_or_b32 exec_lo, exec_lo, s72
	s_and_saveexec_b32 s72, s16
	s_cbranch_execnz .LBB4_472
	s_branch .LBB4_473
.LBB4_1087:                             ;   in Loop: Header=BB4_137 Depth=3
	s_or_saveexec_b32 s72, s72
	v_mov_b32_e32 v1, 0x7f800001
	s_xor_b32 exec_lo, exec_lo, s72
	s_cbranch_execz .LBB4_485
.LBB4_1088:                             ;   in Loop: Header=BB4_137 Depth=3
	v_cmp_ne_u16_sdwa s73, v10, v2 src0_sel:BYTE_0 src1_sel:DWORD
	v_mov_b32_e32 v1, 0
	s_andn2_b32 s16, s16, exec_lo
	s_and_b32 s73, s73, exec_lo
	s_or_b32 s16, s16, s73
	s_or_b32 exec_lo, exec_lo, s72
	s_and_saveexec_b32 s72, s16
	s_cbranch_execnz .LBB4_486
	s_branch .LBB4_487
.LBB4_1089:                             ;   in Loop: Header=BB4_137 Depth=3
	s_or_saveexec_b32 s72, s72
	v_mov_b32_e32 v1, 0x7f800001
	s_xor_b32 exec_lo, exec_lo, s72
	s_cbranch_execz .LBB4_499
.LBB4_1090:                             ;   in Loop: Header=BB4_137 Depth=3
	v_cmp_ne_u16_sdwa s73, v10, v2 src0_sel:BYTE_1 src1_sel:DWORD
	v_mov_b32_e32 v1, 0
	s_andn2_b32 s16, s16, exec_lo
	s_and_b32 s73, s73, exec_lo
	s_or_b32 s16, s16, s73
	s_or_b32 exec_lo, exec_lo, s72
	s_and_saveexec_b32 s72, s16
	s_cbranch_execnz .LBB4_500
	s_branch .LBB4_501
.LBB4_1091:                             ;   in Loop: Header=BB4_137 Depth=3
	s_or_saveexec_b32 s72, s72
	v_mov_b32_e32 v1, 0x7f800001
	s_xor_b32 exec_lo, exec_lo, s72
	s_cbranch_execz .LBB4_513
.LBB4_1092:                             ;   in Loop: Header=BB4_137 Depth=3
	v_cmp_ne_u16_e32 vcc_lo, 0, v4
	v_mov_b32_e32 v1, 0
	s_andn2_b32 s16, s16, exec_lo
	s_and_b32 s73, vcc_lo, exec_lo
	s_or_b32 s16, s16, s73
	s_or_b32 exec_lo, exec_lo, s72
	s_and_saveexec_b32 s72, s16
	s_cbranch_execnz .LBB4_514
	s_branch .LBB4_515
.LBB4_1093:                             ;   in Loop: Header=BB4_137 Depth=3
	s_or_saveexec_b32 s72, s72
	v_mov_b32_e32 v1, 0x7f800001
	s_xor_b32 exec_lo, exec_lo, s72
	s_cbranch_execz .LBB4_527
.LBB4_1094:                             ;   in Loop: Header=BB4_137 Depth=3
	v_cmp_ne_u16_sdwa s73, v10, v2 src0_sel:BYTE_3 src1_sel:DWORD
	v_mov_b32_e32 v1, 0
	s_andn2_b32 s16, s16, exec_lo
	s_and_b32 s73, s73, exec_lo
	s_or_b32 s16, s16, s73
	s_or_b32 exec_lo, exec_lo, s72
	s_and_saveexec_b32 s72, s16
	s_cbranch_execnz .LBB4_528
	s_branch .LBB4_529
.LBB4_1095:                             ;   in Loop: Header=BB4_137 Depth=3
	s_or_saveexec_b32 s72, s72
	v_mov_b32_e32 v1, 0x7f800001
	s_xor_b32 exec_lo, exec_lo, s72
	s_cbranch_execz .LBB4_541
.LBB4_1096:                             ;   in Loop: Header=BB4_137 Depth=3
	v_cmp_ne_u16_sdwa s73, v11, v2 src0_sel:BYTE_0 src1_sel:DWORD
	v_mov_b32_e32 v1, 0
	s_andn2_b32 s16, s16, exec_lo
	s_and_b32 s73, s73, exec_lo
	s_or_b32 s16, s16, s73
	s_or_b32 exec_lo, exec_lo, s72
	s_and_saveexec_b32 s72, s16
	s_cbranch_execnz .LBB4_542
	s_branch .LBB4_543
.LBB4_1097:                             ;   in Loop: Header=BB4_137 Depth=3
	s_or_saveexec_b32 s72, s72
	v_mov_b32_e32 v1, 0x7f800001
	s_xor_b32 exec_lo, exec_lo, s72
	s_cbranch_execz .LBB4_555
.LBB4_1098:                             ;   in Loop: Header=BB4_137 Depth=3
	v_cmp_ne_u16_sdwa s73, v11, v2 src0_sel:BYTE_1 src1_sel:DWORD
	v_mov_b32_e32 v1, 0
	s_andn2_b32 s16, s16, exec_lo
	s_and_b32 s73, s73, exec_lo
	s_or_b32 s16, s16, s73
	s_or_b32 exec_lo, exec_lo, s72
	s_and_saveexec_b32 s72, s16
	s_cbranch_execnz .LBB4_556
	s_branch .LBB4_557
.LBB4_1099:                             ;   in Loop: Header=BB4_137 Depth=3
	s_or_saveexec_b32 s72, s72
	v_mov_b32_e32 v1, 0x7f800001
	s_xor_b32 exec_lo, exec_lo, s72
	s_cbranch_execz .LBB4_569
.LBB4_1100:                             ;   in Loop: Header=BB4_137 Depth=3
	v_cmp_ne_u16_e32 vcc_lo, 0, v4
	v_mov_b32_e32 v1, 0
	s_andn2_b32 s16, s16, exec_lo
	s_and_b32 s73, vcc_lo, exec_lo
	s_or_b32 s16, s16, s73
	s_or_b32 exec_lo, exec_lo, s72
	s_and_saveexec_b32 s72, s16
	s_cbranch_execnz .LBB4_570
	s_branch .LBB4_571
.LBB4_1101:                             ;   in Loop: Header=BB4_137 Depth=3
	s_or_saveexec_b32 s72, s72
	v_mov_b32_e32 v1, 0x7f800001
	s_xor_b32 exec_lo, exec_lo, s72
	s_cbranch_execz .LBB4_583
.LBB4_1102:                             ;   in Loop: Header=BB4_137 Depth=3
	v_cmp_ne_u16_sdwa s73, v11, v2 src0_sel:BYTE_3 src1_sel:DWORD
	v_mov_b32_e32 v1, 0
	s_andn2_b32 s16, s16, exec_lo
	s_and_b32 s73, s73, exec_lo
	s_or_b32 s16, s16, s73
	s_or_b32 exec_lo, exec_lo, s72
	s_and_saveexec_b32 s72, s16
	s_cbranch_execnz .LBB4_584
	s_branch .LBB4_585
.LBB4_1103:                             ;   in Loop: Header=BB4_137 Depth=3
	s_or_saveexec_b32 s72, s72
	v_mov_b32_e32 v1, 0x7f800001
	s_xor_b32 exec_lo, exec_lo, s72
	s_cbranch_execz .LBB4_597
.LBB4_1104:                             ;   in Loop: Header=BB4_137 Depth=3
	v_cmp_ne_u16_sdwa s73, v8, v2 src0_sel:BYTE_0 src1_sel:DWORD
	v_mov_b32_e32 v1, 0
	s_andn2_b32 s16, s16, exec_lo
	s_and_b32 s73, s73, exec_lo
	s_or_b32 s16, s16, s73
	s_or_b32 exec_lo, exec_lo, s72
	s_and_saveexec_b32 s72, s16
	s_cbranch_execnz .LBB4_598
	s_branch .LBB4_599
.LBB4_1105:                             ;   in Loop: Header=BB4_137 Depth=3
	s_or_saveexec_b32 s72, s72
	v_mov_b32_e32 v1, 0x7f800001
	s_xor_b32 exec_lo, exec_lo, s72
	s_cbranch_execz .LBB4_611
.LBB4_1106:                             ;   in Loop: Header=BB4_137 Depth=3
	v_cmp_ne_u16_sdwa s73, v8, v2 src0_sel:BYTE_1 src1_sel:DWORD
	v_mov_b32_e32 v1, 0
	s_andn2_b32 s16, s16, exec_lo
	s_and_b32 s73, s73, exec_lo
	s_or_b32 s16, s16, s73
	s_or_b32 exec_lo, exec_lo, s72
	s_and_saveexec_b32 s72, s16
	s_cbranch_execnz .LBB4_612
	s_branch .LBB4_613
.LBB4_1107:                             ;   in Loop: Header=BB4_137 Depth=3
	s_or_saveexec_b32 s72, s72
	v_mov_b32_e32 v1, 0x7f800001
	s_xor_b32 exec_lo, exec_lo, s72
	s_cbranch_execz .LBB4_625
.LBB4_1108:                             ;   in Loop: Header=BB4_137 Depth=3
	v_cmp_ne_u16_e32 vcc_lo, 0, v4
	v_mov_b32_e32 v1, 0
	s_andn2_b32 s16, s16, exec_lo
	s_and_b32 s73, vcc_lo, exec_lo
	s_or_b32 s16, s16, s73
	s_or_b32 exec_lo, exec_lo, s72
	s_and_saveexec_b32 s72, s16
	s_cbranch_execnz .LBB4_626
	s_branch .LBB4_627
.LBB4_1109:                             ;   in Loop: Header=BB4_137 Depth=3
	s_or_saveexec_b32 s72, s72
	v_mov_b32_e32 v1, 0x7f800001
	s_xor_b32 exec_lo, exec_lo, s72
	s_cbranch_execz .LBB4_639
.LBB4_1110:                             ;   in Loop: Header=BB4_137 Depth=3
	v_cmp_ne_u16_sdwa s73, v8, v2 src0_sel:BYTE_3 src1_sel:DWORD
	v_mov_b32_e32 v1, 0
	s_andn2_b32 s16, s16, exec_lo
	s_and_b32 s73, s73, exec_lo
	s_or_b32 s16, s16, s73
	s_or_b32 exec_lo, exec_lo, s72
	s_and_saveexec_b32 s72, s16
	s_cbranch_execnz .LBB4_640
	s_branch .LBB4_641
.LBB4_1111:                             ;   in Loop: Header=BB4_137 Depth=3
	s_or_saveexec_b32 s16, s16
	v_mov_b32_e32 v1, 0x7f800001
	s_xor_b32 exec_lo, exec_lo, s16
	s_cbranch_execz .LBB4_653
.LBB4_1112:                             ;   in Loop: Header=BB4_137 Depth=3
	v_cmp_ne_u16_sdwa s73, v9, v2 src0_sel:BYTE_0 src1_sel:DWORD
	v_mov_b32_e32 v1, 0
	s_andn2_b32 s72, s72, exec_lo
	s_and_b32 s73, s73, exec_lo
	s_or_b32 s72, s72, s73
	s_or_b32 exec_lo, exec_lo, s16
	s_and_saveexec_b32 s16, s72
	s_cbranch_execnz .LBB4_654
	s_branch .LBB4_655
.LBB4_1113:                             ;   in Loop: Header=BB4_137 Depth=3
	s_or_saveexec_b32 s72, s72
	v_mov_b32_e32 v1, 0x7f800001
	s_xor_b32 exec_lo, exec_lo, s72
	s_cbranch_execz .LBB4_667
.LBB4_1114:                             ;   in Loop: Header=BB4_137 Depth=3
	v_cmp_ne_u16_sdwa s73, v9, v2 src0_sel:BYTE_1 src1_sel:DWORD
	v_mov_b32_e32 v1, 0
	s_andn2_b32 s16, s16, exec_lo
	s_and_b32 s73, s73, exec_lo
	s_or_b32 s16, s16, s73
	s_or_b32 exec_lo, exec_lo, s72
	s_and_saveexec_b32 s72, s16
	s_cbranch_execnz .LBB4_668
	s_branch .LBB4_669
.LBB4_1115:                             ;   in Loop: Header=BB4_137 Depth=3
	s_or_saveexec_b32 s16, s16
	v_mov_b32_e32 v1, 0x7f800001
	s_xor_b32 exec_lo, exec_lo, s16
	s_cbranch_execz .LBB4_681
.LBB4_1116:                             ;   in Loop: Header=BB4_137 Depth=3
	v_cmp_ne_u16_e32 vcc_lo, 0, v4
	v_mov_b32_e32 v1, 0
	s_andn2_b32 s72, s72, exec_lo
	s_and_b32 s73, vcc_lo, exec_lo
	s_or_b32 s72, s72, s73
	s_or_b32 exec_lo, exec_lo, s16
	s_and_saveexec_b32 s16, s72
	s_cbranch_execnz .LBB4_682
	s_branch .LBB4_683
.LBB4_1117:                             ;   in Loop: Header=BB4_137 Depth=3
	s_or_saveexec_b32 s72, s72
	v_mov_b32_e32 v1, 0x7f800001
	s_xor_b32 exec_lo, exec_lo, s72
	s_cbranch_execz .LBB4_695
.LBB4_1118:                             ;   in Loop: Header=BB4_137 Depth=3
	v_cmp_ne_u16_sdwa s73, v9, v2 src0_sel:BYTE_3 src1_sel:DWORD
	v_mov_b32_e32 v1, 0
	s_andn2_b32 s16, s16, exec_lo
	s_and_b32 s73, s73, exec_lo
	s_or_b32 s16, s16, s73
	s_or_b32 exec_lo, exec_lo, s72
	s_and_saveexec_b32 s72, s16
	s_cbranch_execnz .LBB4_696
	s_branch .LBB4_697
.LBB4_1119:                             ;   in Loop: Header=BB4_137 Depth=3
	s_or_saveexec_b32 s16, s16
	v_mov_b32_e32 v1, 0x7f800001
	s_xor_b32 exec_lo, exec_lo, s16
	s_cbranch_execz .LBB4_709
.LBB4_1120:                             ;   in Loop: Header=BB4_137 Depth=3
	v_cmp_ne_u16_sdwa s73, v10, v2 src0_sel:BYTE_0 src1_sel:DWORD
	v_mov_b32_e32 v1, 0
	s_andn2_b32 s72, s72, exec_lo
	s_and_b32 s73, s73, exec_lo
	s_or_b32 s72, s72, s73
	s_or_b32 exec_lo, exec_lo, s16
	s_and_saveexec_b32 s16, s72
	s_cbranch_execnz .LBB4_710
	s_branch .LBB4_711
.LBB4_1121:                             ;   in Loop: Header=BB4_137 Depth=3
	s_or_saveexec_b32 s72, s72
	v_mov_b32_e32 v1, 0x7f800001
	s_xor_b32 exec_lo, exec_lo, s72
	s_cbranch_execz .LBB4_723
.LBB4_1122:                             ;   in Loop: Header=BB4_137 Depth=3
	v_cmp_ne_u16_sdwa s73, v10, v2 src0_sel:BYTE_1 src1_sel:DWORD
	v_mov_b32_e32 v1, 0
	s_andn2_b32 s16, s16, exec_lo
	s_and_b32 s73, s73, exec_lo
	s_or_b32 s16, s16, s73
	s_or_b32 exec_lo, exec_lo, s72
	s_and_saveexec_b32 s72, s16
	s_cbranch_execnz .LBB4_724
	s_branch .LBB4_725
.LBB4_1123:                             ;   in Loop: Header=BB4_137 Depth=3
	s_or_saveexec_b32 s16, s16
	v_mov_b32_e32 v1, 0x7f800001
	s_xor_b32 exec_lo, exec_lo, s16
	s_cbranch_execz .LBB4_737
.LBB4_1124:                             ;   in Loop: Header=BB4_137 Depth=3
	v_cmp_ne_u16_e32 vcc_lo, 0, v4
	v_mov_b32_e32 v1, 0
	s_andn2_b32 s72, s72, exec_lo
	s_and_b32 s73, vcc_lo, exec_lo
	s_or_b32 s72, s72, s73
	s_or_b32 exec_lo, exec_lo, s16
	s_and_saveexec_b32 s16, s72
	s_cbranch_execnz .LBB4_738
	s_branch .LBB4_739
.LBB4_1125:                             ;   in Loop: Header=BB4_137 Depth=3
	s_or_saveexec_b32 s72, s72
	v_mov_b32_e32 v1, 0x7f800001
	s_xor_b32 exec_lo, exec_lo, s72
	s_cbranch_execz .LBB4_751
.LBB4_1126:                             ;   in Loop: Header=BB4_137 Depth=3
	v_cmp_ne_u16_sdwa s73, v10, v2 src0_sel:BYTE_3 src1_sel:DWORD
	v_mov_b32_e32 v1, 0
	s_andn2_b32 s16, s16, exec_lo
	s_and_b32 s73, s73, exec_lo
	s_or_b32 s16, s16, s73
	s_or_b32 exec_lo, exec_lo, s72
	s_and_saveexec_b32 s72, s16
	s_cbranch_execnz .LBB4_752
	s_branch .LBB4_753
.LBB4_1127:                             ;   in Loop: Header=BB4_137 Depth=3
	s_or_saveexec_b32 s16, s16
	v_mov_b32_e32 v1, 0x7f800001
	s_xor_b32 exec_lo, exec_lo, s16
	s_cbranch_execz .LBB4_765
.LBB4_1128:                             ;   in Loop: Header=BB4_137 Depth=3
	v_cmp_ne_u16_sdwa s73, v11, v2 src0_sel:BYTE_0 src1_sel:DWORD
	v_mov_b32_e32 v1, 0
	s_andn2_b32 s72, s72, exec_lo
	s_and_b32 s73, s73, exec_lo
	s_or_b32 s72, s72, s73
	s_or_b32 exec_lo, exec_lo, s16
	s_and_saveexec_b32 s16, s72
	s_cbranch_execnz .LBB4_766
	s_branch .LBB4_767
.LBB4_1129:                             ;   in Loop: Header=BB4_137 Depth=3
	s_or_saveexec_b32 s72, s72
	v_mov_b32_e32 v1, 0x7f800001
	s_xor_b32 exec_lo, exec_lo, s72
	s_cbranch_execz .LBB4_779
.LBB4_1130:                             ;   in Loop: Header=BB4_137 Depth=3
	v_cmp_ne_u16_sdwa s73, v11, v2 src0_sel:BYTE_1 src1_sel:DWORD
	v_mov_b32_e32 v1, 0
	s_andn2_b32 s16, s16, exec_lo
	s_and_b32 s73, s73, exec_lo
	s_or_b32 s16, s16, s73
	s_or_b32 exec_lo, exec_lo, s72
	s_and_saveexec_b32 s72, s16
	s_cbranch_execnz .LBB4_780
	s_branch .LBB4_781
.LBB4_1131:                             ;   in Loop: Header=BB4_137 Depth=3
	s_or_saveexec_b32 s16, s16
	v_mov_b32_e32 v1, 0x7f800001
	s_xor_b32 exec_lo, exec_lo, s16
	s_cbranch_execz .LBB4_793
.LBB4_1132:                             ;   in Loop: Header=BB4_137 Depth=3
	v_cmp_ne_u16_e32 vcc_lo, 0, v4
	v_mov_b32_e32 v1, 0
	s_andn2_b32 s72, s72, exec_lo
	s_and_b32 s73, vcc_lo, exec_lo
	s_or_b32 s72, s72, s73
	s_or_b32 exec_lo, exec_lo, s16
	s_and_saveexec_b32 s16, s72
	s_cbranch_execnz .LBB4_794
	s_branch .LBB4_795
.LBB4_1133:                             ;   in Loop: Header=BB4_137 Depth=3
	s_or_saveexec_b32 s72, s72
	v_mov_b32_e32 v1, 0x7f800001
	s_xor_b32 exec_lo, exec_lo, s72
	s_cbranch_execz .LBB4_807
.LBB4_1134:                             ;   in Loop: Header=BB4_137 Depth=3
	v_cmp_ne_u16_sdwa s73, v11, v2 src0_sel:BYTE_3 src1_sel:DWORD
	v_mov_b32_e32 v1, 0
	s_andn2_b32 s16, s16, exec_lo
	s_and_b32 s73, s73, exec_lo
	s_or_b32 s16, s16, s73
	s_or_b32 exec_lo, exec_lo, s72
	s_and_saveexec_b32 s72, s16
	s_cbranch_execnz .LBB4_808
	s_branch .LBB4_809
.LBB4_1135:                             ;   in Loop: Header=BB4_137 Depth=3
	s_or_saveexec_b32 s16, s16
	v_mov_b32_e32 v1, 0x7f800001
	s_xor_b32 exec_lo, exec_lo, s16
	s_cbranch_execz .LBB4_821
.LBB4_1136:                             ;   in Loop: Header=BB4_137 Depth=3
	v_cmp_ne_u16_sdwa s73, v8, v2 src0_sel:BYTE_0 src1_sel:DWORD
	v_mov_b32_e32 v1, 0
	s_andn2_b32 s72, s72, exec_lo
	s_and_b32 s73, s73, exec_lo
	s_or_b32 s72, s72, s73
	s_or_b32 exec_lo, exec_lo, s16
	s_and_saveexec_b32 s16, s72
	s_cbranch_execnz .LBB4_822
	s_branch .LBB4_823
.LBB4_1137:                             ;   in Loop: Header=BB4_137 Depth=3
	s_or_saveexec_b32 s72, s72
	v_mov_b32_e32 v1, 0x7f800001
	s_xor_b32 exec_lo, exec_lo, s72
	s_cbranch_execz .LBB4_835
.LBB4_1138:                             ;   in Loop: Header=BB4_137 Depth=3
	v_cmp_ne_u16_sdwa s73, v8, v2 src0_sel:BYTE_1 src1_sel:DWORD
	v_mov_b32_e32 v1, 0
	s_andn2_b32 s16, s16, exec_lo
	s_and_b32 s73, s73, exec_lo
	s_or_b32 s16, s16, s73
	s_or_b32 exec_lo, exec_lo, s72
	s_and_saveexec_b32 s72, s16
	s_cbranch_execnz .LBB4_836
	s_branch .LBB4_837
.LBB4_1139:                             ;   in Loop: Header=BB4_137 Depth=3
	s_or_saveexec_b32 s16, s16
	v_mov_b32_e32 v1, 0x7f800001
	s_xor_b32 exec_lo, exec_lo, s16
	s_cbranch_execz .LBB4_849
.LBB4_1140:                             ;   in Loop: Header=BB4_137 Depth=3
	v_cmp_ne_u16_e32 vcc_lo, 0, v4
	v_mov_b32_e32 v1, 0
	s_andn2_b32 s72, s72, exec_lo
	s_and_b32 s73, vcc_lo, exec_lo
	s_or_b32 s72, s72, s73
	s_or_b32 exec_lo, exec_lo, s16
	s_and_saveexec_b32 s16, s72
	s_cbranch_execnz .LBB4_850
	s_branch .LBB4_851
.LBB4_1141:                             ;   in Loop: Header=BB4_137 Depth=3
	s_or_saveexec_b32 s72, s72
	v_mov_b32_e32 v1, 0x7f800001
	s_xor_b32 exec_lo, exec_lo, s72
	s_cbranch_execz .LBB4_863
.LBB4_1142:                             ;   in Loop: Header=BB4_137 Depth=3
	v_cmp_ne_u16_sdwa s73, v8, v2 src0_sel:BYTE_3 src1_sel:DWORD
	v_mov_b32_e32 v1, 0
	s_andn2_b32 s16, s16, exec_lo
	s_and_b32 s73, s73, exec_lo
	s_or_b32 s16, s16, s73
	s_or_b32 exec_lo, exec_lo, s72
	s_and_saveexec_b32 s72, s16
	s_cbranch_execnz .LBB4_864
	s_branch .LBB4_865
.LBB4_1143:                             ;   in Loop: Header=BB4_137 Depth=3
	s_or_saveexec_b32 s16, s16
	v_mov_b32_e32 v1, 0x7f800001
	s_xor_b32 exec_lo, exec_lo, s16
	s_cbranch_execz .LBB4_877
.LBB4_1144:                             ;   in Loop: Header=BB4_137 Depth=3
	v_cmp_ne_u16_sdwa s73, v9, v2 src0_sel:BYTE_0 src1_sel:DWORD
	v_mov_b32_e32 v1, 0
	s_andn2_b32 s72, s72, exec_lo
	s_and_b32 s73, s73, exec_lo
	s_or_b32 s72, s72, s73
	s_or_b32 exec_lo, exec_lo, s16
	s_and_saveexec_b32 s16, s72
	s_cbranch_execnz .LBB4_878
	s_branch .LBB4_879
.LBB4_1145:                             ;   in Loop: Header=BB4_137 Depth=3
	s_or_saveexec_b32 s72, s72
	v_mov_b32_e32 v1, 0x7f800001
	s_xor_b32 exec_lo, exec_lo, s72
	s_cbranch_execz .LBB4_891
.LBB4_1146:                             ;   in Loop: Header=BB4_137 Depth=3
	v_cmp_ne_u16_sdwa s73, v9, v2 src0_sel:BYTE_1 src1_sel:DWORD
	v_mov_b32_e32 v1, 0
	s_andn2_b32 s16, s16, exec_lo
	s_and_b32 s73, s73, exec_lo
	s_or_b32 s16, s16, s73
	s_or_b32 exec_lo, exec_lo, s72
	s_and_saveexec_b32 s72, s16
	s_cbranch_execnz .LBB4_892
	s_branch .LBB4_893
.LBB4_1147:                             ;   in Loop: Header=BB4_137 Depth=3
	s_or_saveexec_b32 s16, s16
	v_mov_b32_e32 v1, 0x7f800001
	s_xor_b32 exec_lo, exec_lo, s16
	s_cbranch_execz .LBB4_905
.LBB4_1148:                             ;   in Loop: Header=BB4_137 Depth=3
	v_cmp_ne_u16_e32 vcc_lo, 0, v14
	v_mov_b32_e32 v1, 0
	s_andn2_b32 s72, s72, exec_lo
	s_and_b32 s73, vcc_lo, exec_lo
	s_or_b32 s72, s72, s73
	s_or_b32 exec_lo, exec_lo, s16
	s_and_saveexec_b32 s16, s72
	s_cbranch_execnz .LBB4_906
	s_branch .LBB4_907
.LBB4_1149:                             ;   in Loop: Header=BB4_137 Depth=3
	s_or_saveexec_b32 s72, s72
	v_mov_b32_e32 v1, 0x7f800001
	s_xor_b32 exec_lo, exec_lo, s72
	s_cbranch_execz .LBB4_919
.LBB4_1150:                             ;   in Loop: Header=BB4_137 Depth=3
	v_cmp_ne_u16_sdwa s73, v9, v2 src0_sel:BYTE_3 src1_sel:DWORD
	v_mov_b32_e32 v1, 0
	s_andn2_b32 s16, s16, exec_lo
	s_and_b32 s73, s73, exec_lo
	s_or_b32 s16, s16, s73
	s_or_b32 exec_lo, exec_lo, s72
	s_and_saveexec_b32 s72, s16
	s_cbranch_execnz .LBB4_920
	s_branch .LBB4_921
.LBB4_1151:                             ;   in Loop: Header=BB4_137 Depth=3
	s_or_saveexec_b32 s16, s16
	v_mov_b32_e32 v1, 0x7f800001
	s_xor_b32 exec_lo, exec_lo, s16
	s_cbranch_execz .LBB4_933
.LBB4_1152:                             ;   in Loop: Header=BB4_137 Depth=3
	v_cmp_ne_u16_sdwa s73, v10, v2 src0_sel:BYTE_0 src1_sel:DWORD
	v_mov_b32_e32 v1, 0
	s_andn2_b32 s72, s72, exec_lo
	s_and_b32 s73, s73, exec_lo
	s_or_b32 s72, s72, s73
	s_or_b32 exec_lo, exec_lo, s16
	s_and_saveexec_b32 s16, s72
	s_cbranch_execnz .LBB4_934
	s_branch .LBB4_935
.LBB4_1153:                             ;   in Loop: Header=BB4_137 Depth=3
	s_or_saveexec_b32 s72, s72
	v_mov_b32_e32 v1, 0x7f800001
	s_xor_b32 exec_lo, exec_lo, s72
	s_cbranch_execz .LBB4_947
.LBB4_1154:                             ;   in Loop: Header=BB4_137 Depth=3
	v_cmp_ne_u16_sdwa s73, v10, v2 src0_sel:BYTE_1 src1_sel:DWORD
	v_mov_b32_e32 v1, 0
	s_andn2_b32 s16, s16, exec_lo
	s_and_b32 s73, s73, exec_lo
	s_or_b32 s16, s16, s73
	s_or_b32 exec_lo, exec_lo, s72
	s_and_saveexec_b32 s72, s16
	s_cbranch_execnz .LBB4_948
	s_branch .LBB4_949
.LBB4_1155:                             ;   in Loop: Header=BB4_137 Depth=3
	s_or_saveexec_b32 s16, s16
	v_mov_b32_e32 v1, 0x7f800001
	s_xor_b32 exec_lo, exec_lo, s16
	s_cbranch_execz .LBB4_961
.LBB4_1156:                             ;   in Loop: Header=BB4_137 Depth=3
	v_cmp_ne_u16_e32 vcc_lo, 0, v14
	v_mov_b32_e32 v1, 0
	s_andn2_b32 s72, s72, exec_lo
	s_and_b32 s73, vcc_lo, exec_lo
	s_or_b32 s72, s72, s73
	s_or_b32 exec_lo, exec_lo, s16
	s_and_saveexec_b32 s16, s72
	s_cbranch_execnz .LBB4_962
	s_branch .LBB4_963
.LBB4_1157:                             ;   in Loop: Header=BB4_137 Depth=3
	s_or_saveexec_b32 s72, s72
	v_mov_b32_e32 v14, 0x7f800001
	s_xor_b32 exec_lo, exec_lo, s72
	s_cbranch_execz .LBB4_975
.LBB4_1158:                             ;   in Loop: Header=BB4_137 Depth=3
	v_cmp_ne_u16_sdwa s73, v10, v2 src0_sel:BYTE_3 src1_sel:DWORD
	v_mov_b32_e32 v14, 0
	s_andn2_b32 s16, s16, exec_lo
	s_and_b32 s73, s73, exec_lo
	s_or_b32 s16, s16, s73
	s_or_b32 exec_lo, exec_lo, s72
	s_and_saveexec_b32 s72, s16
	s_cbranch_execnz .LBB4_976
	s_branch .LBB4_977
.LBB4_1159:                             ;   in Loop: Header=BB4_137 Depth=3
	s_or_saveexec_b32 s16, s16
	v_mov_b32_e32 v14, 0x7f800001
	s_xor_b32 exec_lo, exec_lo, s16
	s_cbranch_execz .LBB4_989
.LBB4_1160:                             ;   in Loop: Header=BB4_137 Depth=3
	v_cmp_ne_u16_sdwa s73, v11, v2 src0_sel:BYTE_0 src1_sel:DWORD
	v_mov_b32_e32 v14, 0
	s_andn2_b32 s72, s72, exec_lo
	s_and_b32 s73, s73, exec_lo
	s_or_b32 s72, s72, s73
	s_or_b32 exec_lo, exec_lo, s16
	s_and_saveexec_b32 s16, s72
	s_cbranch_execnz .LBB4_990
	s_branch .LBB4_991
.LBB4_1161:                             ;   in Loop: Header=BB4_137 Depth=3
	s_or_saveexec_b32 s72, s72
	v_mov_b32_e32 v14, 0x7f800001
	s_xor_b32 exec_lo, exec_lo, s72
	s_cbranch_execz .LBB4_1003
.LBB4_1162:                             ;   in Loop: Header=BB4_137 Depth=3
	v_cmp_ne_u16_sdwa s73, v11, v2 src0_sel:BYTE_1 src1_sel:DWORD
	v_mov_b32_e32 v14, 0
	s_andn2_b32 s16, s16, exec_lo
	s_and_b32 s73, s73, exec_lo
	s_or_b32 s16, s16, s73
	s_or_b32 exec_lo, exec_lo, s72
	s_and_saveexec_b32 s72, s16
	s_cbranch_execnz .LBB4_1004
	s_branch .LBB4_1005
.LBB4_1163:                             ;   in Loop: Header=BB4_137 Depth=3
	s_or_saveexec_b32 s16, s16
	v_mov_b32_e32 v14, 0x7f800001
	s_xor_b32 exec_lo, exec_lo, s16
	s_cbranch_execz .LBB4_1017
.LBB4_1164:                             ;   in Loop: Header=BB4_137 Depth=3
	v_cmp_ne_u16_e32 vcc_lo, 0, v15
	v_mov_b32_e32 v14, 0
	s_andn2_b32 s72, s72, exec_lo
	s_and_b32 s73, vcc_lo, exec_lo
	s_or_b32 s72, s72, s73
	s_or_b32 exec_lo, exec_lo, s16
	s_and_saveexec_b32 s16, s72
	s_cbranch_execnz .LBB4_1018
	s_branch .LBB4_1019
.LBB4_1165:                             ;   in Loop: Header=BB4_137 Depth=3
	s_or_saveexec_b32 s72, s72
	v_mov_b32_e32 v14, 0x7f800001
	s_xor_b32 exec_lo, exec_lo, s72
	s_cbranch_execz .LBB4_1031
.LBB4_1166:                             ;   in Loop: Header=BB4_137 Depth=3
	v_cmp_ne_u16_sdwa s73, v11, v2 src0_sel:BYTE_3 src1_sel:DWORD
	v_mov_b32_e32 v14, 0
	s_andn2_b32 s16, s16, exec_lo
	s_and_b32 s73, s73, exec_lo
	s_or_b32 s16, s16, s73
	s_or_b32 exec_lo, exec_lo, s72
	s_and_saveexec_b32 s72, s16
	s_cbranch_execnz .LBB4_1032
	s_branch .LBB4_1033
.LBB4_1167:                             ;   in Loop: Header=BB4_57 Depth=2
	s_or_b32 exec_lo, exec_lo, s23
	buffer_load_dword v4, off, s[0:3], s33 offset:208 ; 4-byte Folded Reload
.LBB4_1168:                             ;   in Loop: Header=BB4_57 Depth=2
	s_or_b32 exec_lo, exec_lo, s17
	s_waitcnt vmcnt(0)
	v_lshlrev_b32_e32 v5, 11, v4
	v_mov_b32_e32 v4, 0
	s_mov_b32 s16, 0
	s_mov_b32 s23, exec_lo
                                        ; implicit-def: $vgpr10
                                        ; implicit-def: $vgpr11
	v_cmpx_ne_u32_e64 v3, v5
	s_cbranch_execz .LBB4_1438
; %bb.1169:                             ;   in Loop: Header=BB4_57 Depth=2
	v_lshlrev_b32_e32 v1, 5, v13
	v_and_b32_e32 v4, 31, v0
	v_sub_nc_u32_e32 v8, v3, v5
	s_mov_b32 s61, exec_lo
	v_sub_nc_u32_e32 v1, v4, v1
	v_ashrrev_i32_e32 v9, 31, v8
	v_ashrrev_i32_e32 v4, 31, v1
	v_lshrrev_b32_e32 v4, 27, v4
	v_add_nc_u32_e32 v10, v1, v4
	v_lshrrev_b32_e32 v4, 23, v9
	v_and_b32_e32 v9, 0xffffffe0, v10
	v_add_nc_u32_e32 v11, v8, v4
	v_sub_nc_u32_e32 v13, v1, v9
	v_and_b32_e32 v4, 0xfffffe00, v11
	v_ashrrev_i32_e32 v9, 5, v10
	v_ashrrev_i32_e32 v10, 9, v11
	v_lshlrev_b32_e32 v1, 4, v13
	v_sub_nc_u32_e32 v16, v8, v4
	v_lshl_add_u32 v1, v9, 9, v1
	v_cmp_lt_i32_e64 s16, 15, v16
	v_sub_nc_u32_e32 v18, v8, v1
	v_add_co_ci_u32_e64 v10, null, 0, v10, s16
	v_sub_nc_u32_e32 v17, v10, v9
	v_cmpx_lt_i32_e32 15, v18
	s_cbranch_execz .LBB4_1437
; %bb.1170:                             ;   in Loop: Header=BB4_57 Depth=2
	s_trap 2
	ds_read_b64 v[8:9], v0
	v_add_nc_u32_e32 v19, v1, v5
	v_ashrrev_i32_e32 v20, 31, v19
	s_waitcnt lgkmcnt(0)
	v_readfirstlane_b32 s17, v8
	s_and_b32 s62, s17, 3
	s_bfe_u32 s73, s17, 0x50002
	s_flbit_i32_b32 s63, s62
	s_min_u32 s63, s63, 32
	s_sub_i32 s72, s63, 29
	s_sub_i32 s63, 30, s63
	s_lshl_b32 s72, s17, s72
	s_and_b32 s72, s72, 3
	s_cmp_eq_u32 s73, 0
	s_cselect_b32 s63, s63, s73
	s_cselect_b32 s62, s72, s62
	s_lshl_b32 s72, s17, 24
	s_lshl_b32 s63, s63, 23
	s_and_b32 s72, s72, 0x80000000
	s_add_i32 s63, s63, 0x37800000
	s_lshl_b32 s73, s62, 21
	s_or_b32 s63, s72, s63
	s_mov_b32 s62, 0
	s_or_b32 s63, s63, s73
	s_and_b32 s72, s17, 0xff
	s_branch .LBB4_1174
.LBB4_1171:                             ;   in Loop: Header=BB4_1174 Depth=3
	s_or_b32 exec_lo, exec_lo, s17
	v_lshrrev_b32_e32 v15, 21, v15
	v_min_i32_e32 v51, 31, v14
	v_cmp_gt_i32_e32 vcc_lo, 32, v14
	v_and_b32_sdwa v11, v11, v101 dst_sel:DWORD dst_unused:UNUSED_PAD src0_sel:BYTE_3 src1_sel:DWORD
	v_lshlrev_b32_e32 v51, 2, v51
	v_cndmask_b32_e32 v15, 3, v15, vcc_lo
	v_and_b32_e32 v51, 0xfc, v51
	v_and_b32_e32 v67, 3, v15
	v_or_b32_e32 v14, v14, v15
	v_or3_b32 v11, v11, v51, v67
	v_cmp_ne_u32_e32 vcc_lo, 0, v14
	v_lshlrev_b32_e32 v11, 8, v11
	v_cndmask_b32_e32 v14, 0, v11, vcc_lo
.LBB4_1172:                             ;   in Loop: Header=BB4_1174 Depth=3
	s_or_b32 exec_lo, exec_lo, s74
.LBB4_1173:                             ;   in Loop: Header=BB4_1174 Depth=3
	s_or_b32 exec_lo, exec_lo, s73
	v_sub_nc_u32_e32 v18, v18, v117
	v_or_b32_sdwa v9, v9, v31 dst_sel:WORD_1 dst_unused:UNUSED_PAD src0_sel:DWORD src1_sel:DWORD
	v_or_b32_sdwa v8, v8, v34 dst_sel:WORD_1 dst_unused:UNUSED_PAD src0_sel:DWORD src1_sel:DWORD
	;; [unrolled: 1-line block ×4, first 2 shown]
	v_add_co_u32 v67, vcc_lo, v54, v19
	v_add_co_ci_u32_e64 v68, null, v55, v20, vcc_lo
	v_cmp_gt_i32_e32 vcc_lo, 16, v18
	v_add_co_u32 v19, s17, v19, v117
	v_or3_b32 v9, v36, v35, v9
	v_or3_b32 v8, v30, v21, v8
	;; [unrolled: 1-line block ×4, first 2 shown]
	v_sub_nc_u32_e32 v17, v17, v87
	v_add_co_ci_u32_e64 v20, null, 0, v20, s17
	s_or_b32 s62, vcc_lo, s62
	global_store_dwordx4 v[67:68], v[8:11], off glc slc
	s_andn2_b32 exec_lo, exec_lo, s62
	s_cbranch_execz .LBB4_1436
.LBB4_1174:                             ;   Parent Loop BB4_47 Depth=1
                                        ;     Parent Loop BB4_57 Depth=2
                                        ; =>    This Inner Loop Header: Depth=3
	s_cmpk_lt_i32 s72, 0x80
	s_cbranch_scc1 .LBB4_1178
; %bb.1175:                             ;   in Loop: Header=BB4_1174 Depth=3
	s_and_b32 s17, 0xffff, s72
	s_cmpk_eq_i32 s17, 0x80
	s_mov_b32 s17, -1
	s_cbranch_scc0 .LBB4_1177
; %bb.1176:                             ;   in Loop: Header=BB4_1174 Depth=3
	s_mov_b32 s17, 0
.LBB4_1177:                             ;   in Loop: Header=BB4_1174 Depth=3
	s_mov_b32 s73, 0x7f800001
	s_branch .LBB4_1180
.LBB4_1178:                             ;   in Loop: Header=BB4_1174 Depth=3
	s_mov_b32 s17, 0
	s_mov_b32 s73, 0x7f800001
	s_cbranch_execz .LBB4_1180
; %bb.1179:                             ;   in Loop: Header=BB4_1174 Depth=3
	s_and_b32 s17, 0xffff, s72
	s_mov_b32 s73, 0
	s_cmp_lg_u32 s17, 0
	s_cselect_b32 s17, -1, 0
.LBB4_1180:                             ;   in Loop: Header=BB4_1174 Depth=3
	s_andn2_b32 vcc_lo, exec_lo, s17
	s_cbranch_vccnz .LBB4_1182
; %bb.1181:                             ;   in Loop: Header=BB4_1174 Depth=3
	s_mov_b32 s73, s63
.LBB4_1182:                             ;   in Loop: Header=BB4_1174 Depth=3
	v_add_co_u32 v8, vcc_lo, v52, v19
	v_add_co_ci_u32_e64 v9, null, v53, v20, vcc_lo
	s_mov_b32 s17, 0
	global_load_dwordx4 v[8:11], v[8:9], off slc
	s_waitcnt vmcnt(0)
	v_cmp_gt_i16_sdwa s74, v8, v100 src0_sel:BYTE_0 src1_sel:DWORD
	s_and_saveexec_b32 s75, s74
	s_xor_b32 s74, exec_lo, s75
	s_cbranch_execz .LBB4_1404
; %bb.1183:                             ;   in Loop: Header=BB4_1174 Depth=3
	v_cmp_eq_u16_sdwa s76, v8, v101 src0_sel:BYTE_0 src1_sel:DWORD
	s_mov_b32 s17, -1
	s_and_saveexec_b32 s75, s76
; %bb.1184:                             ;   in Loop: Header=BB4_1174 Depth=3
	s_xor_b32 s17, exec_lo, -1
; %bb.1185:                             ;   in Loop: Header=BB4_1174 Depth=3
	s_or_b32 exec_lo, exec_lo, s75
	s_and_b32 s17, s17, exec_lo
	s_or_saveexec_b32 s74, s74
	v_mov_b32_e32 v1, 0x7f800001
	s_xor_b32 exec_lo, exec_lo, s74
	s_cbranch_execnz .LBB4_1405
.LBB4_1186:                             ;   in Loop: Header=BB4_1174 Depth=3
	s_or_b32 exec_lo, exec_lo, s74
	s_and_saveexec_b32 s74, s17
	s_cbranch_execz .LBB4_1188
.LBB4_1187:                             ;   in Loop: Header=BB4_1174 Depth=3
	v_and_b32_e32 v1, 3, v8
	v_bfe_u32 v21, v8, 2, 5
	v_lshlrev_b32_e32 v30, 24, v8
	v_ffbh_u32_e32 v14, v1
	v_cmp_eq_u32_e32 vcc_lo, 0, v21
	v_min_u32_e32 v14, 32, v14
	v_subrev_nc_u32_e32 v15, 29, v14
	v_sub_nc_u32_e32 v14, 30, v14
	v_lshlrev_b32_e32 v15, v15, v8
	v_cndmask_b32_e32 v14, v21, v14, vcc_lo
	v_and_b32_e32 v15, 3, v15
	v_lshl_add_u32 v14, v14, 23, 0x37800000
	v_cndmask_b32_e32 v1, v1, v15, vcc_lo
	v_and_b32_e32 v15, 0x80000000, v30
	v_lshlrev_b32_e32 v1, 21, v1
	v_or3_b32 v1, v15, v14, v1
.LBB4_1188:                             ;   in Loop: Header=BB4_1174 Depth=3
	s_or_b32 exec_lo, exec_lo, s74
	v_mul_f32_e32 v1, s73, v1
	v_mov_b32_e32 v21, 0x80
	s_mov_b32 s74, exec_lo
	v_and_b32_e32 v14, 0x7f800000, v1
	v_cmpx_ne_u32_e32 0x7f800000, v14
	s_cbranch_execz .LBB4_1196
; %bb.1189:                             ;   in Loop: Header=BB4_1174 Depth=3
	v_mov_b32_e32 v21, 0
	s_mov_b32 s75, exec_lo
	v_cmpx_ne_u32_e32 0, v1
	s_cbranch_execz .LBB4_1195
; %bb.1190:                             ;   in Loop: Header=BB4_1174 Depth=3
	v_bfe_u32 v14, v1, 23, 8
	v_and_b32_e32 v15, 0x7fffff, v1
	v_sub_nc_u32_e32 v21, 0x70, v14
	v_cmp_gt_u32_e32 vcc_lo, 0x71, v14
	v_or_b32_e32 v30, 0x800000, v15
	v_cndmask_b32_e32 v21, 0, v21, vcc_lo
	v_cmp_eq_u32_e32 vcc_lo, 0, v14
	v_add_nc_u32_e32 v14, 0xffffff91, v14
	v_cndmask_b32_e64 v21, v21, 0x6f, vcc_lo
	v_cndmask_b32_e32 v15, v30, v15, vcc_lo
	v_cndmask_b32_e64 v14, v14, 0xffffff92, vcc_lo
	v_lshl_add_u32 v30, 0x200000, v21, -1
	v_lshrrev_b32_e32 v31, v21, v15
	v_lshlrev_b32_e64 v35, v21, 0x100000
	v_add_nc_u32_e32 v21, v21, v14
	v_and_b32_e32 v15, v30, v15
	v_bfe_u32 v34, v31, 21, 1
	v_cmp_eq_u32_e64 s17, v15, v35
	v_add_nc_u32_e32 v30, -1, v34
	v_cndmask_b32_e64 v15, 0, v30, s17
	v_lshrrev_b32_e32 v30, 23, v31
	s_mov_b32 s17, exec_lo
	v_add_nc_u32_e32 v15, v15, v31
	v_xor_b32_e32 v30, 1, v30
	v_and_b32_e32 v14, 0x1fffff, v15
	v_add_nc_u32_e32 v15, v14, v31
                                        ; implicit-def: $vgpr14
	v_cmpx_ne_u32_e64 v21, v30
	s_xor_b32 s17, exec_lo, s17
; %bb.1191:                             ;   in Loop: Header=BB4_1174 Depth=3
	v_cmp_lt_u32_e32 vcc_lo, 0xffffff, v15
	v_sub_nc_u32_e32 v14, v21, v30
	v_cndmask_b32_e64 v21, 0, 1, vcc_lo
	v_add_co_ci_u32_e64 v14, null, 0, v14, vcc_lo
	v_lshrrev_b32_e32 v15, v21, v15
; %bb.1192:                             ;   in Loop: Header=BB4_1174 Depth=3
	s_andn2_saveexec_b32 s17, s17
; %bb.1193:                             ;   in Loop: Header=BB4_1174 Depth=3
	v_bfe_u32 v14, v15, 23, 1
; %bb.1194:                             ;   in Loop: Header=BB4_1174 Depth=3
	s_or_b32 exec_lo, exec_lo, s17
	v_lshrrev_b32_e32 v15, 21, v15
	v_min_i32_e32 v21, 31, v14
	v_cmp_gt_i32_e32 vcc_lo, 32, v14
	v_and_b32_sdwa v1, v1, v101 dst_sel:DWORD dst_unused:UNUSED_PAD src0_sel:BYTE_3 src1_sel:DWORD
	v_lshlrev_b32_e32 v21, 2, v21
	v_cndmask_b32_e32 v15, 3, v15, vcc_lo
	v_and_b32_e32 v21, 0xfc, v21
	v_and_b32_e32 v30, 3, v15
	v_or_b32_e32 v14, v14, v15
	v_or3_b32 v1, v21, v1, v30
	v_cmp_ne_u32_e32 vcc_lo, 0, v14
	v_cndmask_b32_e32 v21, 0, v1, vcc_lo
.LBB4_1195:                             ;   in Loop: Header=BB4_1174 Depth=3
	s_or_b32 exec_lo, exec_lo, s75
.LBB4_1196:                             ;   in Loop: Header=BB4_1174 Depth=3
	s_or_b32 exec_lo, exec_lo, s74
	v_cmp_gt_i16_sdwa s74, v8, v100 src0_sel:BYTE_1 src1_sel:DWORD
	s_mov_b32 s17, 0
	s_and_saveexec_b32 s75, s74
	s_xor_b32 s74, exec_lo, s75
	s_cbranch_execz .LBB4_1406
; %bb.1197:                             ;   in Loop: Header=BB4_1174 Depth=3
	v_cmp_eq_u16_sdwa s76, v8, v101 src0_sel:BYTE_1 src1_sel:DWORD
	s_mov_b32 s17, -1
	s_and_saveexec_b32 s75, s76
; %bb.1198:                             ;   in Loop: Header=BB4_1174 Depth=3
	s_xor_b32 s17, exec_lo, -1
; %bb.1199:                             ;   in Loop: Header=BB4_1174 Depth=3
	s_or_b32 exec_lo, exec_lo, s75
	s_and_b32 s17, s17, exec_lo
	s_or_saveexec_b32 s74, s74
	v_mov_b32_e32 v1, 0x7f800001
	s_xor_b32 exec_lo, exec_lo, s74
	s_cbranch_execnz .LBB4_1407
.LBB4_1200:                             ;   in Loop: Header=BB4_1174 Depth=3
	s_or_b32 exec_lo, exec_lo, s74
	s_and_saveexec_b32 s74, s17
	s_cbranch_execz .LBB4_1202
.LBB4_1201:                             ;   in Loop: Header=BB4_1174 Depth=3
	v_and_b32_sdwa v1, v102, v8 dst_sel:DWORD dst_unused:UNUSED_PAD src0_sel:DWORD src1_sel:BYTE_1
	v_and_b32_e32 v14, 3, v1
	v_bfe_u32 v31, v1, 2, 5
	v_ffbh_u32_e32 v15, v14
	v_cmp_eq_u32_e32 vcc_lo, 0, v31
	v_min_u32_e32 v15, 32, v15
	v_subrev_nc_u32_e32 v30, 29, v15
	v_sub_nc_u32_e32 v15, 30, v15
	v_lshlrev_b32_e32 v1, v30, v1
	v_lshlrev_b32_sdwa v30, v103, v8 dst_sel:DWORD dst_unused:UNUSED_PAD src0_sel:DWORD src1_sel:BYTE_1
	v_cndmask_b32_e32 v15, v31, v15, vcc_lo
	v_and_b32_e32 v1, 3, v1
	v_lshl_add_u32 v15, v15, 23, 0x37800000
	v_cndmask_b32_e32 v1, v14, v1, vcc_lo
	v_and_b32_e32 v14, 0x80000000, v30
	v_lshlrev_b32_e32 v1, 21, v1
	v_or3_b32 v1, v14, v15, v1
.LBB4_1202:                             ;   in Loop: Header=BB4_1174 Depth=3
	s_or_b32 exec_lo, exec_lo, s74
	v_mul_f32_e32 v1, s73, v1
	v_mov_b32_e32 v30, 0x8000
	s_mov_b32 s74, exec_lo
	v_and_b32_e32 v14, 0x7f800000, v1
	v_cmpx_ne_u32_e32 0x7f800000, v14
	s_cbranch_execz .LBB4_1210
; %bb.1203:                             ;   in Loop: Header=BB4_1174 Depth=3
	v_mov_b32_e32 v30, 0
	s_mov_b32 s75, exec_lo
	v_cmpx_ne_u32_e32 0, v1
	s_cbranch_execz .LBB4_1209
; %bb.1204:                             ;   in Loop: Header=BB4_1174 Depth=3
	v_bfe_u32 v14, v1, 23, 8
	v_and_b32_e32 v15, 0x7fffff, v1
	v_sub_nc_u32_e32 v30, 0x70, v14
	v_cmp_gt_u32_e32 vcc_lo, 0x71, v14
	v_or_b32_e32 v31, 0x800000, v15
	v_cndmask_b32_e32 v30, 0, v30, vcc_lo
	v_cmp_eq_u32_e32 vcc_lo, 0, v14
	v_add_nc_u32_e32 v14, 0xffffff91, v14
	v_cndmask_b32_e64 v30, v30, 0x6f, vcc_lo
	v_cndmask_b32_e32 v15, v31, v15, vcc_lo
	v_cndmask_b32_e64 v14, v14, 0xffffff92, vcc_lo
	v_lshl_add_u32 v31, 0x200000, v30, -1
	v_lshrrev_b32_e32 v34, v30, v15
	v_lshlrev_b32_e64 v36, v30, 0x100000
	v_add_nc_u32_e32 v30, v30, v14
	v_and_b32_e32 v15, v31, v15
	v_bfe_u32 v35, v34, 21, 1
	v_cmp_eq_u32_e64 s17, v15, v36
	v_add_nc_u32_e32 v31, -1, v35
	v_cndmask_b32_e64 v15, 0, v31, s17
	v_lshrrev_b32_e32 v31, 23, v34
	s_mov_b32 s17, exec_lo
	v_add_nc_u32_e32 v15, v15, v34
	v_xor_b32_e32 v31, 1, v31
	v_and_b32_e32 v14, 0x1fffff, v15
	v_add_nc_u32_e32 v15, v14, v34
                                        ; implicit-def: $vgpr14
	v_cmpx_ne_u32_e64 v30, v31
	s_xor_b32 s17, exec_lo, s17
; %bb.1205:                             ;   in Loop: Header=BB4_1174 Depth=3
	v_cmp_lt_u32_e32 vcc_lo, 0xffffff, v15
	v_sub_nc_u32_e32 v14, v30, v31
	v_cndmask_b32_e64 v30, 0, 1, vcc_lo
	v_add_co_ci_u32_e64 v14, null, 0, v14, vcc_lo
	v_lshrrev_b32_e32 v15, v30, v15
; %bb.1206:                             ;   in Loop: Header=BB4_1174 Depth=3
	s_andn2_saveexec_b32 s17, s17
; %bb.1207:                             ;   in Loop: Header=BB4_1174 Depth=3
	v_bfe_u32 v14, v15, 23, 1
; %bb.1208:                             ;   in Loop: Header=BB4_1174 Depth=3
	s_or_b32 exec_lo, exec_lo, s17
	v_lshrrev_b32_e32 v15, 21, v15
	v_min_i32_e32 v30, 31, v14
	v_cmp_gt_i32_e32 vcc_lo, 32, v14
	v_and_b32_sdwa v1, v1, v101 dst_sel:DWORD dst_unused:UNUSED_PAD src0_sel:BYTE_3 src1_sel:DWORD
	v_lshlrev_b32_e32 v30, 2, v30
	v_cndmask_b32_e32 v15, 3, v15, vcc_lo
	v_and_b32_e32 v30, 0xfc, v30
	v_and_b32_e32 v31, 3, v15
	v_or_b32_e32 v14, v14, v15
	v_or3_b32 v1, v1, v30, v31
	v_cmp_ne_u32_e32 vcc_lo, 0, v14
	v_lshlrev_b32_e32 v1, 8, v1
	v_cndmask_b32_e32 v30, 0, v1, vcc_lo
.LBB4_1209:                             ;   in Loop: Header=BB4_1174 Depth=3
	s_or_b32 exec_lo, exec_lo, s75
.LBB4_1210:                             ;   in Loop: Header=BB4_1174 Depth=3
	s_or_b32 exec_lo, exec_lo, s74
	v_and_b32_sdwa v14, v8, v112 dst_sel:DWORD dst_unused:UNUSED_PAD src0_sel:WORD_1 src1_sel:DWORD
	s_mov_b32 s17, 0
	s_mov_b32 s74, exec_lo
	v_cmpx_lt_i16_e32 0x7f, v14
	s_xor_b32 s74, exec_lo, s74
	s_cbranch_execz .LBB4_1408
; %bb.1211:                             ;   in Loop: Header=BB4_1174 Depth=3
	s_mov_b32 s17, -1
	s_mov_b32 s75, exec_lo
	v_cmpx_eq_u16_e32 0x80, v14
; %bb.1212:                             ;   in Loop: Header=BB4_1174 Depth=3
	s_xor_b32 s17, exec_lo, -1
; %bb.1213:                             ;   in Loop: Header=BB4_1174 Depth=3
	s_or_b32 exec_lo, exec_lo, s75
	s_and_b32 s17, s17, exec_lo
                                        ; implicit-def: $vgpr14
	s_or_saveexec_b32 s74, s74
	v_mov_b32_e32 v1, 0x7f800001
	s_xor_b32 exec_lo, exec_lo, s74
	s_cbranch_execnz .LBB4_1409
.LBB4_1214:                             ;   in Loop: Header=BB4_1174 Depth=3
	s_or_b32 exec_lo, exec_lo, s74
	s_and_saveexec_b32 s74, s17
	s_cbranch_execz .LBB4_1216
.LBB4_1215:                             ;   in Loop: Header=BB4_1174 Depth=3
	v_bfe_u32 v1, v8, 16, 2
	v_bfe_u32 v31, v8, 18, 5
	v_lshlrev_b32_e32 v34, 8, v8
	v_ffbh_u32_e32 v14, v1
	v_cmp_eq_u32_e32 vcc_lo, 0, v31
	v_min_u32_e32 v14, 32, v14
	v_subrev_nc_u32_e32 v15, 29, v14
	v_sub_nc_u32_e32 v14, 30, v14
	v_lshlrev_b32_sdwa v15, v15, v8 dst_sel:DWORD dst_unused:UNUSED_PAD src0_sel:DWORD src1_sel:WORD_1
	v_cndmask_b32_e32 v14, v31, v14, vcc_lo
	v_and_b32_e32 v15, 3, v15
	v_lshl_add_u32 v14, v14, 23, 0x37800000
	v_cndmask_b32_e32 v1, v1, v15, vcc_lo
	v_and_b32_e32 v15, 0x80000000, v34
	v_lshlrev_b32_e32 v1, 21, v1
	v_or3_b32 v1, v15, v14, v1
.LBB4_1216:                             ;   in Loop: Header=BB4_1174 Depth=3
	s_or_b32 exec_lo, exec_lo, s74
	v_mul_f32_e32 v1, s73, v1
	v_mov_b32_e32 v34, 0x80
	s_mov_b32 s74, exec_lo
	v_and_b32_e32 v14, 0x7f800000, v1
	v_cmpx_ne_u32_e32 0x7f800000, v14
	s_cbranch_execz .LBB4_1224
; %bb.1217:                             ;   in Loop: Header=BB4_1174 Depth=3
	v_mov_b32_e32 v34, 0
	s_mov_b32 s75, exec_lo
	v_cmpx_ne_u32_e32 0, v1
	s_cbranch_execz .LBB4_1223
; %bb.1218:                             ;   in Loop: Header=BB4_1174 Depth=3
	v_bfe_u32 v14, v1, 23, 8
	v_and_b32_e32 v15, 0x7fffff, v1
	v_sub_nc_u32_e32 v31, 0x70, v14
	v_cmp_gt_u32_e32 vcc_lo, 0x71, v14
	v_or_b32_e32 v34, 0x800000, v15
	v_cndmask_b32_e32 v31, 0, v31, vcc_lo
	v_cmp_eq_u32_e32 vcc_lo, 0, v14
	v_add_nc_u32_e32 v14, 0xffffff91, v14
	v_cndmask_b32_e64 v31, v31, 0x6f, vcc_lo
	v_cndmask_b32_e32 v15, v34, v15, vcc_lo
	v_cndmask_b32_e64 v14, v14, 0xffffff92, vcc_lo
	v_lshl_add_u32 v34, 0x200000, v31, -1
	v_lshrrev_b32_e32 v35, v31, v15
	v_lshlrev_b32_e64 v37, v31, 0x100000
	v_add_nc_u32_e32 v31, v31, v14
	v_and_b32_e32 v15, v34, v15
	v_bfe_u32 v36, v35, 21, 1
	v_cmp_eq_u32_e64 s17, v15, v37
	v_add_nc_u32_e32 v34, -1, v36
	v_cndmask_b32_e64 v15, 0, v34, s17
	v_lshrrev_b32_e32 v34, 23, v35
	s_mov_b32 s17, exec_lo
	v_add_nc_u32_e32 v15, v15, v35
	v_xor_b32_e32 v34, 1, v34
	v_and_b32_e32 v14, 0x1fffff, v15
	v_add_nc_u32_e32 v15, v14, v35
                                        ; implicit-def: $vgpr14
	v_cmpx_ne_u32_e64 v31, v34
	s_xor_b32 s17, exec_lo, s17
; %bb.1219:                             ;   in Loop: Header=BB4_1174 Depth=3
	v_cmp_lt_u32_e32 vcc_lo, 0xffffff, v15
	v_sub_nc_u32_e32 v14, v31, v34
	v_cndmask_b32_e64 v31, 0, 1, vcc_lo
	v_add_co_ci_u32_e64 v14, null, 0, v14, vcc_lo
	v_lshrrev_b32_e32 v15, v31, v15
; %bb.1220:                             ;   in Loop: Header=BB4_1174 Depth=3
	s_andn2_saveexec_b32 s17, s17
; %bb.1221:                             ;   in Loop: Header=BB4_1174 Depth=3
	v_bfe_u32 v14, v15, 23, 1
; %bb.1222:                             ;   in Loop: Header=BB4_1174 Depth=3
	s_or_b32 exec_lo, exec_lo, s17
	v_lshrrev_b32_e32 v15, 21, v15
	v_min_i32_e32 v31, 31, v14
	v_cmp_gt_i32_e32 vcc_lo, 32, v14
	v_and_b32_sdwa v1, v1, v101 dst_sel:DWORD dst_unused:UNUSED_PAD src0_sel:BYTE_3 src1_sel:DWORD
	v_lshlrev_b32_e32 v31, 2, v31
	v_cndmask_b32_e32 v15, 3, v15, vcc_lo
	v_and_b32_e32 v31, 0xfc, v31
	v_and_b32_e32 v34, 3, v15
	v_or_b32_e32 v14, v14, v15
	v_or3_b32 v1, v31, v1, v34
	v_cmp_ne_u32_e32 vcc_lo, 0, v14
	v_cndmask_b32_e32 v34, 0, v1, vcc_lo
.LBB4_1223:                             ;   in Loop: Header=BB4_1174 Depth=3
	s_or_b32 exec_lo, exec_lo, s75
.LBB4_1224:                             ;   in Loop: Header=BB4_1174 Depth=3
	s_or_b32 exec_lo, exec_lo, s74
	v_cmp_gt_i16_sdwa s74, v8, v100 src0_sel:BYTE_3 src1_sel:DWORD
	s_mov_b32 s17, 0
	s_and_saveexec_b32 s75, s74
	s_xor_b32 s74, exec_lo, s75
	s_cbranch_execz .LBB4_1410
; %bb.1225:                             ;   in Loop: Header=BB4_1174 Depth=3
	v_cmp_eq_u16_sdwa s76, v8, v101 src0_sel:BYTE_3 src1_sel:DWORD
	s_mov_b32 s17, -1
	s_and_saveexec_b32 s75, s76
; %bb.1226:                             ;   in Loop: Header=BB4_1174 Depth=3
	s_xor_b32 s17, exec_lo, -1
; %bb.1227:                             ;   in Loop: Header=BB4_1174 Depth=3
	s_or_b32 exec_lo, exec_lo, s75
	s_and_b32 s17, s17, exec_lo
	s_or_saveexec_b32 s74, s74
	v_mov_b32_e32 v1, 0x7f800001
	s_xor_b32 exec_lo, exec_lo, s74
	s_cbranch_execnz .LBB4_1411
.LBB4_1228:                             ;   in Loop: Header=BB4_1174 Depth=3
	s_or_b32 exec_lo, exec_lo, s74
	s_and_saveexec_b32 s74, s17
	s_cbranch_execz .LBB4_1230
.LBB4_1229:                             ;   in Loop: Header=BB4_1174 Depth=3
	v_bfe_u32 v1, v8, 24, 2
	v_bfe_u32 v31, v8, 26, 5
	v_ffbh_u32_e32 v14, v1
	v_cmp_eq_u32_e32 vcc_lo, 0, v31
	v_min_u32_e32 v14, 32, v14
	v_subrev_nc_u32_e32 v15, 29, v14
	v_sub_nc_u32_e32 v14, 30, v14
	v_lshlrev_b32_sdwa v15, v15, v8 dst_sel:DWORD dst_unused:UNUSED_PAD src0_sel:DWORD src1_sel:BYTE_3
	v_cndmask_b32_e32 v14, v31, v14, vcc_lo
	v_and_b32_e32 v8, 0x80000000, v8
	v_and_b32_e32 v15, 3, v15
	v_lshl_add_u32 v14, v14, 23, 0x37800000
	v_cndmask_b32_e32 v1, v1, v15, vcc_lo
	v_lshlrev_b32_e32 v1, 21, v1
	v_or3_b32 v1, v8, v14, v1
.LBB4_1230:                             ;   in Loop: Header=BB4_1174 Depth=3
	s_or_b32 exec_lo, exec_lo, s74
	v_mul_f32_e32 v1, s73, v1
	v_and_b32_e32 v8, 0x7f800000, v1
	v_cmp_ne_u32_e32 vcc_lo, 0x7f800000, v8
	v_mov_b32_e32 v8, 0x8000
	s_and_saveexec_b32 s74, vcc_lo
	s_cbranch_execz .LBB4_1238
; %bb.1231:                             ;   in Loop: Header=BB4_1174 Depth=3
	v_mov_b32_e32 v8, 0
	s_mov_b32 s75, exec_lo
	v_cmpx_ne_u32_e32 0, v1
	s_cbranch_execz .LBB4_1237
; %bb.1232:                             ;   in Loop: Header=BB4_1174 Depth=3
	v_bfe_u32 v8, v1, 23, 8
	v_and_b32_e32 v14, 0x7fffff, v1
	v_sub_nc_u32_e32 v15, 0x70, v8
	v_cmp_gt_u32_e32 vcc_lo, 0x71, v8
	v_or_b32_e32 v31, 0x800000, v14
	v_cndmask_b32_e32 v15, 0, v15, vcc_lo
	v_cmp_eq_u32_e32 vcc_lo, 0, v8
	v_add_nc_u32_e32 v8, 0xffffff91, v8
	v_cndmask_b32_e64 v15, v15, 0x6f, vcc_lo
	v_cndmask_b32_e32 v14, v31, v14, vcc_lo
	v_cndmask_b32_e64 v8, v8, 0xffffff92, vcc_lo
	v_lshl_add_u32 v31, 0x200000, v15, -1
	v_lshrrev_b32_e32 v35, v15, v14
	v_lshlrev_b32_e64 v37, v15, 0x100000
	v_add_nc_u32_e32 v15, v15, v8
	v_and_b32_e32 v14, v31, v14
	v_bfe_u32 v36, v35, 21, 1
	v_cmp_eq_u32_e64 s17, v14, v37
	v_add_nc_u32_e32 v31, -1, v36
	v_cndmask_b32_e64 v14, 0, v31, s17
	v_lshrrev_b32_e32 v31, 23, v35
	s_mov_b32 s17, exec_lo
	v_add_nc_u32_e32 v14, v14, v35
	v_xor_b32_e32 v31, 1, v31
	v_and_b32_e32 v8, 0x1fffff, v14
	v_add_nc_u32_e32 v14, v8, v35
                                        ; implicit-def: $vgpr8
	v_cmpx_ne_u32_e64 v15, v31
	s_xor_b32 s17, exec_lo, s17
; %bb.1233:                             ;   in Loop: Header=BB4_1174 Depth=3
	v_cmp_lt_u32_e32 vcc_lo, 0xffffff, v14
	v_sub_nc_u32_e32 v8, v15, v31
	v_cndmask_b32_e64 v15, 0, 1, vcc_lo
	v_add_co_ci_u32_e64 v8, null, 0, v8, vcc_lo
	v_lshrrev_b32_e32 v14, v15, v14
; %bb.1234:                             ;   in Loop: Header=BB4_1174 Depth=3
	s_andn2_saveexec_b32 s17, s17
; %bb.1235:                             ;   in Loop: Header=BB4_1174 Depth=3
	v_bfe_u32 v8, v14, 23, 1
; %bb.1236:                             ;   in Loop: Header=BB4_1174 Depth=3
	s_or_b32 exec_lo, exec_lo, s17
	v_lshrrev_b32_e32 v14, 21, v14
	v_min_i32_e32 v15, 31, v8
	v_cmp_gt_i32_e32 vcc_lo, 32, v8
	v_and_b32_sdwa v1, v1, v101 dst_sel:DWORD dst_unused:UNUSED_PAD src0_sel:BYTE_3 src1_sel:DWORD
	v_lshlrev_b32_e32 v15, 2, v15
	v_cndmask_b32_e32 v14, 3, v14, vcc_lo
	v_and_b32_e32 v15, 0xfc, v15
	v_and_b32_e32 v31, 3, v14
	v_or_b32_e32 v8, v8, v14
	v_or3_b32 v1, v1, v15, v31
	v_cmp_ne_u32_e32 vcc_lo, 0, v8
	v_lshlrev_b32_e32 v1, 8, v1
	v_cndmask_b32_e32 v8, 0, v1, vcc_lo
.LBB4_1237:                             ;   in Loop: Header=BB4_1174 Depth=3
	s_or_b32 exec_lo, exec_lo, s75
.LBB4_1238:                             ;   in Loop: Header=BB4_1174 Depth=3
	s_or_b32 exec_lo, exec_lo, s74
	v_cmp_gt_i16_sdwa s74, v9, v100 src0_sel:BYTE_0 src1_sel:DWORD
	s_mov_b32 s17, 0
	s_and_saveexec_b32 s75, s74
	s_xor_b32 s74, exec_lo, s75
	s_cbranch_execz .LBB4_1412
; %bb.1239:                             ;   in Loop: Header=BB4_1174 Depth=3
	v_cmp_eq_u16_sdwa s76, v9, v101 src0_sel:BYTE_0 src1_sel:DWORD
	s_mov_b32 s17, -1
	s_and_saveexec_b32 s75, s76
; %bb.1240:                             ;   in Loop: Header=BB4_1174 Depth=3
	s_xor_b32 s17, exec_lo, -1
; %bb.1241:                             ;   in Loop: Header=BB4_1174 Depth=3
	s_or_b32 exec_lo, exec_lo, s75
	s_and_b32 s17, s17, exec_lo
	s_or_saveexec_b32 s74, s74
	v_mov_b32_e32 v1, 0x7f800001
	s_xor_b32 exec_lo, exec_lo, s74
	s_cbranch_execnz .LBB4_1413
.LBB4_1242:                             ;   in Loop: Header=BB4_1174 Depth=3
	s_or_b32 exec_lo, exec_lo, s74
	s_and_saveexec_b32 s74, s17
	s_cbranch_execz .LBB4_1244
.LBB4_1243:                             ;   in Loop: Header=BB4_1174 Depth=3
	v_and_b32_e32 v1, 3, v9
	v_bfe_u32 v31, v9, 2, 5
	v_lshlrev_b32_e32 v35, 24, v9
	v_ffbh_u32_e32 v14, v1
	v_cmp_eq_u32_e32 vcc_lo, 0, v31
	v_min_u32_e32 v14, 32, v14
	v_subrev_nc_u32_e32 v15, 29, v14
	v_sub_nc_u32_e32 v14, 30, v14
	v_lshlrev_b32_e32 v15, v15, v9
	v_cndmask_b32_e32 v14, v31, v14, vcc_lo
	v_and_b32_e32 v15, 3, v15
	v_lshl_add_u32 v14, v14, 23, 0x37800000
	v_cndmask_b32_e32 v1, v1, v15, vcc_lo
	v_and_b32_e32 v15, 0x80000000, v35
	v_lshlrev_b32_e32 v1, 21, v1
	v_or3_b32 v1, v15, v14, v1
.LBB4_1244:                             ;   in Loop: Header=BB4_1174 Depth=3
	s_or_b32 exec_lo, exec_lo, s74
	v_mul_f32_e32 v1, s73, v1
	v_mov_b32_e32 v35, 0x80
	s_mov_b32 s74, exec_lo
	v_and_b32_e32 v14, 0x7f800000, v1
	v_cmpx_ne_u32_e32 0x7f800000, v14
	s_cbranch_execz .LBB4_1252
; %bb.1245:                             ;   in Loop: Header=BB4_1174 Depth=3
	v_mov_b32_e32 v35, 0
	s_mov_b32 s75, exec_lo
	v_cmpx_ne_u32_e32 0, v1
	s_cbranch_execz .LBB4_1251
; %bb.1246:                             ;   in Loop: Header=BB4_1174 Depth=3
	v_bfe_u32 v14, v1, 23, 8
	v_and_b32_e32 v15, 0x7fffff, v1
	v_sub_nc_u32_e32 v31, 0x70, v14
	v_cmp_gt_u32_e32 vcc_lo, 0x71, v14
	v_or_b32_e32 v35, 0x800000, v15
	v_cndmask_b32_e32 v31, 0, v31, vcc_lo
	v_cmp_eq_u32_e32 vcc_lo, 0, v14
	v_add_nc_u32_e32 v14, 0xffffff91, v14
	v_cndmask_b32_e64 v31, v31, 0x6f, vcc_lo
	v_cndmask_b32_e32 v15, v35, v15, vcc_lo
	v_cndmask_b32_e64 v14, v14, 0xffffff92, vcc_lo
	v_lshl_add_u32 v35, 0x200000, v31, -1
	v_lshrrev_b32_e32 v36, v31, v15
	v_lshlrev_b32_e64 v50, v31, 0x100000
	v_add_nc_u32_e32 v31, v31, v14
	v_and_b32_e32 v15, v35, v15
	v_bfe_u32 v37, v36, 21, 1
	v_cmp_eq_u32_e64 s17, v15, v50
	v_add_nc_u32_e32 v35, -1, v37
	v_cndmask_b32_e64 v15, 0, v35, s17
	v_lshrrev_b32_e32 v35, 23, v36
	s_mov_b32 s17, exec_lo
	v_add_nc_u32_e32 v15, v15, v36
	v_xor_b32_e32 v35, 1, v35
	v_and_b32_e32 v14, 0x1fffff, v15
	v_add_nc_u32_e32 v15, v14, v36
                                        ; implicit-def: $vgpr14
	v_cmpx_ne_u32_e64 v31, v35
	s_xor_b32 s17, exec_lo, s17
; %bb.1247:                             ;   in Loop: Header=BB4_1174 Depth=3
	v_cmp_lt_u32_e32 vcc_lo, 0xffffff, v15
	v_sub_nc_u32_e32 v14, v31, v35
	v_cndmask_b32_e64 v31, 0, 1, vcc_lo
	v_add_co_ci_u32_e64 v14, null, 0, v14, vcc_lo
	v_lshrrev_b32_e32 v15, v31, v15
; %bb.1248:                             ;   in Loop: Header=BB4_1174 Depth=3
	s_andn2_saveexec_b32 s17, s17
; %bb.1249:                             ;   in Loop: Header=BB4_1174 Depth=3
	v_bfe_u32 v14, v15, 23, 1
; %bb.1250:                             ;   in Loop: Header=BB4_1174 Depth=3
	s_or_b32 exec_lo, exec_lo, s17
	v_lshrrev_b32_e32 v15, 21, v15
	v_min_i32_e32 v31, 31, v14
	v_cmp_gt_i32_e32 vcc_lo, 32, v14
	v_and_b32_sdwa v1, v1, v101 dst_sel:DWORD dst_unused:UNUSED_PAD src0_sel:BYTE_3 src1_sel:DWORD
	v_lshlrev_b32_e32 v31, 2, v31
	v_cndmask_b32_e32 v15, 3, v15, vcc_lo
	v_and_b32_e32 v31, 0xfc, v31
	v_and_b32_e32 v35, 3, v15
	v_or_b32_e32 v14, v14, v15
	v_or3_b32 v1, v31, v1, v35
	v_cmp_ne_u32_e32 vcc_lo, 0, v14
	v_cndmask_b32_e32 v35, 0, v1, vcc_lo
.LBB4_1251:                             ;   in Loop: Header=BB4_1174 Depth=3
	s_or_b32 exec_lo, exec_lo, s75
.LBB4_1252:                             ;   in Loop: Header=BB4_1174 Depth=3
	s_or_b32 exec_lo, exec_lo, s74
	v_cmp_gt_i16_sdwa s74, v9, v100 src0_sel:BYTE_1 src1_sel:DWORD
	s_mov_b32 s17, 0
	s_and_saveexec_b32 s75, s74
	s_xor_b32 s74, exec_lo, s75
	s_cbranch_execz .LBB4_1414
; %bb.1253:                             ;   in Loop: Header=BB4_1174 Depth=3
	v_cmp_eq_u16_sdwa s76, v9, v101 src0_sel:BYTE_1 src1_sel:DWORD
	s_mov_b32 s17, -1
	s_and_saveexec_b32 s75, s76
; %bb.1254:                             ;   in Loop: Header=BB4_1174 Depth=3
	s_xor_b32 s17, exec_lo, -1
; %bb.1255:                             ;   in Loop: Header=BB4_1174 Depth=3
	s_or_b32 exec_lo, exec_lo, s75
	s_and_b32 s17, s17, exec_lo
	s_or_saveexec_b32 s74, s74
	v_mov_b32_e32 v1, 0x7f800001
	s_xor_b32 exec_lo, exec_lo, s74
	s_cbranch_execnz .LBB4_1415
.LBB4_1256:                             ;   in Loop: Header=BB4_1174 Depth=3
	s_or_b32 exec_lo, exec_lo, s74
	s_and_saveexec_b32 s74, s17
	s_cbranch_execz .LBB4_1258
.LBB4_1257:                             ;   in Loop: Header=BB4_1174 Depth=3
	v_and_b32_sdwa v1, v102, v9 dst_sel:DWORD dst_unused:UNUSED_PAD src0_sel:DWORD src1_sel:BYTE_1
	v_and_b32_e32 v14, 3, v1
	v_bfe_u32 v36, v1, 2, 5
	v_ffbh_u32_e32 v15, v14
	v_cmp_eq_u32_e32 vcc_lo, 0, v36
	v_min_u32_e32 v15, 32, v15
	v_subrev_nc_u32_e32 v31, 29, v15
	v_sub_nc_u32_e32 v15, 30, v15
	v_lshlrev_b32_e32 v1, v31, v1
	v_lshlrev_b32_sdwa v31, v103, v9 dst_sel:DWORD dst_unused:UNUSED_PAD src0_sel:DWORD src1_sel:BYTE_1
	v_cndmask_b32_e32 v15, v36, v15, vcc_lo
	v_and_b32_e32 v1, 3, v1
	v_lshl_add_u32 v15, v15, 23, 0x37800000
	v_cndmask_b32_e32 v1, v14, v1, vcc_lo
	v_and_b32_e32 v14, 0x80000000, v31
	v_lshlrev_b32_e32 v1, 21, v1
	v_or3_b32 v1, v14, v15, v1
.LBB4_1258:                             ;   in Loop: Header=BB4_1174 Depth=3
	s_or_b32 exec_lo, exec_lo, s74
	v_mul_f32_e32 v1, s73, v1
	v_mov_b32_e32 v36, 0x8000
	s_mov_b32 s74, exec_lo
	v_and_b32_e32 v14, 0x7f800000, v1
	v_cmpx_ne_u32_e32 0x7f800000, v14
	s_cbranch_execz .LBB4_1266
; %bb.1259:                             ;   in Loop: Header=BB4_1174 Depth=3
	v_mov_b32_e32 v36, 0
	s_mov_b32 s75, exec_lo
	v_cmpx_ne_u32_e32 0, v1
	s_cbranch_execz .LBB4_1265
; %bb.1260:                             ;   in Loop: Header=BB4_1174 Depth=3
	v_bfe_u32 v14, v1, 23, 8
	v_and_b32_e32 v15, 0x7fffff, v1
	v_sub_nc_u32_e32 v31, 0x70, v14
	v_cmp_gt_u32_e32 vcc_lo, 0x71, v14
	v_or_b32_e32 v36, 0x800000, v15
	v_cndmask_b32_e32 v31, 0, v31, vcc_lo
	v_cmp_eq_u32_e32 vcc_lo, 0, v14
	v_add_nc_u32_e32 v14, 0xffffff91, v14
	v_cndmask_b32_e64 v31, v31, 0x6f, vcc_lo
	v_cndmask_b32_e32 v15, v36, v15, vcc_lo
	v_cndmask_b32_e64 v14, v14, 0xffffff92, vcc_lo
	v_lshl_add_u32 v36, 0x200000, v31, -1
	v_lshrrev_b32_e32 v37, v31, v15
	v_lshlrev_b32_e64 v51, v31, 0x100000
	v_add_nc_u32_e32 v31, v31, v14
	v_and_b32_e32 v15, v36, v15
	v_bfe_u32 v50, v37, 21, 1
	v_cmp_eq_u32_e64 s17, v15, v51
	v_add_nc_u32_e32 v36, -1, v50
	v_cndmask_b32_e64 v15, 0, v36, s17
	v_lshrrev_b32_e32 v36, 23, v37
	s_mov_b32 s17, exec_lo
	v_add_nc_u32_e32 v15, v15, v37
	v_xor_b32_e32 v36, 1, v36
	v_and_b32_e32 v14, 0x1fffff, v15
	v_add_nc_u32_e32 v15, v14, v37
                                        ; implicit-def: $vgpr14
	v_cmpx_ne_u32_e64 v31, v36
	s_xor_b32 s17, exec_lo, s17
; %bb.1261:                             ;   in Loop: Header=BB4_1174 Depth=3
	v_cmp_lt_u32_e32 vcc_lo, 0xffffff, v15
	v_sub_nc_u32_e32 v14, v31, v36
	v_cndmask_b32_e64 v31, 0, 1, vcc_lo
	v_add_co_ci_u32_e64 v14, null, 0, v14, vcc_lo
	v_lshrrev_b32_e32 v15, v31, v15
; %bb.1262:                             ;   in Loop: Header=BB4_1174 Depth=3
	s_andn2_saveexec_b32 s17, s17
; %bb.1263:                             ;   in Loop: Header=BB4_1174 Depth=3
	v_bfe_u32 v14, v15, 23, 1
; %bb.1264:                             ;   in Loop: Header=BB4_1174 Depth=3
	s_or_b32 exec_lo, exec_lo, s17
	v_lshrrev_b32_e32 v15, 21, v15
	v_min_i32_e32 v31, 31, v14
	v_cmp_gt_i32_e32 vcc_lo, 32, v14
	v_and_b32_sdwa v1, v1, v101 dst_sel:DWORD dst_unused:UNUSED_PAD src0_sel:BYTE_3 src1_sel:DWORD
	v_lshlrev_b32_e32 v31, 2, v31
	v_cndmask_b32_e32 v15, 3, v15, vcc_lo
	v_and_b32_e32 v31, 0xfc, v31
	v_and_b32_e32 v36, 3, v15
	v_or_b32_e32 v14, v14, v15
	v_or3_b32 v1, v1, v31, v36
	v_cmp_ne_u32_e32 vcc_lo, 0, v14
	v_lshlrev_b32_e32 v1, 8, v1
	v_cndmask_b32_e32 v36, 0, v1, vcc_lo
.LBB4_1265:                             ;   in Loop: Header=BB4_1174 Depth=3
	s_or_b32 exec_lo, exec_lo, s75
.LBB4_1266:                             ;   in Loop: Header=BB4_1174 Depth=3
	s_or_b32 exec_lo, exec_lo, s74
	v_and_b32_sdwa v14, v9, v112 dst_sel:DWORD dst_unused:UNUSED_PAD src0_sel:WORD_1 src1_sel:DWORD
	s_mov_b32 s17, 0
	s_mov_b32 s74, exec_lo
	v_cmpx_lt_i16_e32 0x7f, v14
	s_xor_b32 s74, exec_lo, s74
	s_cbranch_execz .LBB4_1416
; %bb.1267:                             ;   in Loop: Header=BB4_1174 Depth=3
	s_mov_b32 s17, -1
	s_mov_b32 s75, exec_lo
	v_cmpx_eq_u16_e32 0x80, v14
; %bb.1268:                             ;   in Loop: Header=BB4_1174 Depth=3
	s_xor_b32 s17, exec_lo, -1
; %bb.1269:                             ;   in Loop: Header=BB4_1174 Depth=3
	s_or_b32 exec_lo, exec_lo, s75
	s_and_b32 s17, s17, exec_lo
                                        ; implicit-def: $vgpr14
	s_or_saveexec_b32 s74, s74
	v_mov_b32_e32 v1, 0x7f800001
	s_xor_b32 exec_lo, exec_lo, s74
	s_cbranch_execnz .LBB4_1417
.LBB4_1270:                             ;   in Loop: Header=BB4_1174 Depth=3
	s_or_b32 exec_lo, exec_lo, s74
	s_and_saveexec_b32 s74, s17
	s_cbranch_execz .LBB4_1272
.LBB4_1271:                             ;   in Loop: Header=BB4_1174 Depth=3
	v_bfe_u32 v1, v9, 16, 2
	v_bfe_u32 v31, v9, 18, 5
	v_lshlrev_b32_e32 v37, 8, v9
	v_ffbh_u32_e32 v14, v1
	v_cmp_eq_u32_e32 vcc_lo, 0, v31
	v_min_u32_e32 v14, 32, v14
	v_subrev_nc_u32_e32 v15, 29, v14
	v_sub_nc_u32_e32 v14, 30, v14
	v_lshlrev_b32_sdwa v15, v15, v9 dst_sel:DWORD dst_unused:UNUSED_PAD src0_sel:DWORD src1_sel:WORD_1
	v_cndmask_b32_e32 v14, v31, v14, vcc_lo
	v_and_b32_e32 v15, 3, v15
	v_lshl_add_u32 v14, v14, 23, 0x37800000
	v_cndmask_b32_e32 v1, v1, v15, vcc_lo
	v_and_b32_e32 v15, 0x80000000, v37
	v_lshlrev_b32_e32 v1, 21, v1
	v_or3_b32 v1, v15, v14, v1
.LBB4_1272:                             ;   in Loop: Header=BB4_1174 Depth=3
	s_or_b32 exec_lo, exec_lo, s74
	v_mul_f32_e32 v1, s73, v1
	v_mov_b32_e32 v31, 0x80
	s_mov_b32 s74, exec_lo
	v_and_b32_e32 v14, 0x7f800000, v1
	v_cmpx_ne_u32_e32 0x7f800000, v14
	s_cbranch_execz .LBB4_1280
; %bb.1273:                             ;   in Loop: Header=BB4_1174 Depth=3
	v_mov_b32_e32 v31, 0
	s_mov_b32 s75, exec_lo
	v_cmpx_ne_u32_e32 0, v1
	s_cbranch_execz .LBB4_1279
; %bb.1274:                             ;   in Loop: Header=BB4_1174 Depth=3
	v_bfe_u32 v14, v1, 23, 8
	v_and_b32_e32 v15, 0x7fffff, v1
	v_sub_nc_u32_e32 v31, 0x70, v14
	v_cmp_gt_u32_e32 vcc_lo, 0x71, v14
	v_or_b32_e32 v37, 0x800000, v15
	v_cndmask_b32_e32 v31, 0, v31, vcc_lo
	v_cmp_eq_u32_e32 vcc_lo, 0, v14
	v_add_nc_u32_e32 v14, 0xffffff91, v14
	v_cndmask_b32_e64 v31, v31, 0x6f, vcc_lo
	v_cndmask_b32_e32 v15, v37, v15, vcc_lo
	v_cndmask_b32_e64 v14, v14, 0xffffff92, vcc_lo
	v_lshl_add_u32 v37, 0x200000, v31, -1
	v_lshrrev_b32_e32 v50, v31, v15
	v_lshlrev_b32_e64 v64, v31, 0x100000
	v_add_nc_u32_e32 v31, v31, v14
	v_and_b32_e32 v15, v37, v15
	v_bfe_u32 v51, v50, 21, 1
	v_cmp_eq_u32_e64 s17, v15, v64
	v_add_nc_u32_e32 v37, -1, v51
	v_cndmask_b32_e64 v15, 0, v37, s17
	v_lshrrev_b32_e32 v37, 23, v50
	s_mov_b32 s17, exec_lo
	v_add_nc_u32_e32 v15, v15, v50
	v_xor_b32_e32 v37, 1, v37
	v_and_b32_e32 v14, 0x1fffff, v15
	v_add_nc_u32_e32 v15, v14, v50
                                        ; implicit-def: $vgpr14
	v_cmpx_ne_u32_e64 v31, v37
	s_xor_b32 s17, exec_lo, s17
; %bb.1275:                             ;   in Loop: Header=BB4_1174 Depth=3
	v_cmp_lt_u32_e32 vcc_lo, 0xffffff, v15
	v_sub_nc_u32_e32 v14, v31, v37
	v_cndmask_b32_e64 v31, 0, 1, vcc_lo
	v_add_co_ci_u32_e64 v14, null, 0, v14, vcc_lo
	v_lshrrev_b32_e32 v15, v31, v15
; %bb.1276:                             ;   in Loop: Header=BB4_1174 Depth=3
	s_andn2_saveexec_b32 s17, s17
; %bb.1277:                             ;   in Loop: Header=BB4_1174 Depth=3
	v_bfe_u32 v14, v15, 23, 1
; %bb.1278:                             ;   in Loop: Header=BB4_1174 Depth=3
	s_or_b32 exec_lo, exec_lo, s17
	v_lshrrev_b32_e32 v15, 21, v15
	v_min_i32_e32 v31, 31, v14
	v_cmp_gt_i32_e32 vcc_lo, 32, v14
	v_and_b32_sdwa v1, v1, v101 dst_sel:DWORD dst_unused:UNUSED_PAD src0_sel:BYTE_3 src1_sel:DWORD
	v_lshlrev_b32_e32 v31, 2, v31
	v_cndmask_b32_e32 v15, 3, v15, vcc_lo
	v_and_b32_e32 v31, 0xfc, v31
	v_and_b32_e32 v37, 3, v15
	v_or_b32_e32 v14, v14, v15
	v_or3_b32 v1, v31, v1, v37
	v_cmp_ne_u32_e32 vcc_lo, 0, v14
	v_cndmask_b32_e32 v31, 0, v1, vcc_lo
.LBB4_1279:                             ;   in Loop: Header=BB4_1174 Depth=3
	s_or_b32 exec_lo, exec_lo, s75
.LBB4_1280:                             ;   in Loop: Header=BB4_1174 Depth=3
	s_or_b32 exec_lo, exec_lo, s74
	v_cmp_gt_i16_sdwa s74, v9, v100 src0_sel:BYTE_3 src1_sel:DWORD
	s_mov_b32 s17, 0
	s_and_saveexec_b32 s75, s74
	s_xor_b32 s74, exec_lo, s75
	s_cbranch_execz .LBB4_1418
; %bb.1281:                             ;   in Loop: Header=BB4_1174 Depth=3
	v_cmp_eq_u16_sdwa s76, v9, v101 src0_sel:BYTE_3 src1_sel:DWORD
	s_mov_b32 s17, -1
	s_and_saveexec_b32 s75, s76
; %bb.1282:                             ;   in Loop: Header=BB4_1174 Depth=3
	s_xor_b32 s17, exec_lo, -1
; %bb.1283:                             ;   in Loop: Header=BB4_1174 Depth=3
	s_or_b32 exec_lo, exec_lo, s75
	s_and_b32 s17, s17, exec_lo
	s_or_saveexec_b32 s74, s74
	v_mov_b32_e32 v1, 0x7f800001
	s_xor_b32 exec_lo, exec_lo, s74
	s_cbranch_execnz .LBB4_1419
.LBB4_1284:                             ;   in Loop: Header=BB4_1174 Depth=3
	s_or_b32 exec_lo, exec_lo, s74
	s_and_saveexec_b32 s74, s17
	s_cbranch_execz .LBB4_1286
.LBB4_1285:                             ;   in Loop: Header=BB4_1174 Depth=3
	v_bfe_u32 v1, v9, 24, 2
	v_bfe_u32 v37, v9, 26, 5
	v_ffbh_u32_e32 v14, v1
	v_cmp_eq_u32_e32 vcc_lo, 0, v37
	v_min_u32_e32 v14, 32, v14
	v_subrev_nc_u32_e32 v15, 29, v14
	v_sub_nc_u32_e32 v14, 30, v14
	v_lshlrev_b32_sdwa v15, v15, v9 dst_sel:DWORD dst_unused:UNUSED_PAD src0_sel:DWORD src1_sel:BYTE_3
	v_cndmask_b32_e32 v14, v37, v14, vcc_lo
	v_and_b32_e32 v9, 0x80000000, v9
	v_and_b32_e32 v15, 3, v15
	v_lshl_add_u32 v14, v14, 23, 0x37800000
	v_cndmask_b32_e32 v1, v1, v15, vcc_lo
	v_lshlrev_b32_e32 v1, 21, v1
	v_or3_b32 v1, v9, v14, v1
.LBB4_1286:                             ;   in Loop: Header=BB4_1174 Depth=3
	s_or_b32 exec_lo, exec_lo, s74
	v_mul_f32_e32 v1, s73, v1
	v_and_b32_e32 v9, 0x7f800000, v1
	v_cmp_ne_u32_e32 vcc_lo, 0x7f800000, v9
	v_mov_b32_e32 v9, 0x8000
	s_and_saveexec_b32 s74, vcc_lo
	s_cbranch_execz .LBB4_1294
; %bb.1287:                             ;   in Loop: Header=BB4_1174 Depth=3
	v_mov_b32_e32 v9, 0
	s_mov_b32 s75, exec_lo
	v_cmpx_ne_u32_e32 0, v1
	s_cbranch_execz .LBB4_1293
; %bb.1288:                             ;   in Loop: Header=BB4_1174 Depth=3
	v_bfe_u32 v9, v1, 23, 8
	v_and_b32_e32 v14, 0x7fffff, v1
	v_sub_nc_u32_e32 v15, 0x70, v9
	v_cmp_gt_u32_e32 vcc_lo, 0x71, v9
	v_or_b32_e32 v37, 0x800000, v14
	v_cndmask_b32_e32 v15, 0, v15, vcc_lo
	v_cmp_eq_u32_e32 vcc_lo, 0, v9
	v_add_nc_u32_e32 v9, 0xffffff91, v9
	v_cndmask_b32_e64 v15, v15, 0x6f, vcc_lo
	v_cndmask_b32_e32 v14, v37, v14, vcc_lo
	v_cndmask_b32_e64 v9, v9, 0xffffff92, vcc_lo
	v_lshl_add_u32 v37, 0x200000, v15, -1
	v_lshrrev_b32_e32 v50, v15, v14
	v_lshlrev_b32_e64 v64, v15, 0x100000
	v_add_nc_u32_e32 v15, v15, v9
	v_and_b32_e32 v14, v37, v14
	v_bfe_u32 v51, v50, 21, 1
	v_cmp_eq_u32_e64 s17, v14, v64
	v_add_nc_u32_e32 v37, -1, v51
	v_cndmask_b32_e64 v14, 0, v37, s17
	v_lshrrev_b32_e32 v37, 23, v50
	s_mov_b32 s17, exec_lo
	v_add_nc_u32_e32 v14, v14, v50
	v_xor_b32_e32 v37, 1, v37
	v_and_b32_e32 v9, 0x1fffff, v14
	v_add_nc_u32_e32 v14, v9, v50
                                        ; implicit-def: $vgpr9
	v_cmpx_ne_u32_e64 v15, v37
	s_xor_b32 s17, exec_lo, s17
; %bb.1289:                             ;   in Loop: Header=BB4_1174 Depth=3
	v_cmp_lt_u32_e32 vcc_lo, 0xffffff, v14
	v_sub_nc_u32_e32 v9, v15, v37
	v_cndmask_b32_e64 v15, 0, 1, vcc_lo
	v_add_co_ci_u32_e64 v9, null, 0, v9, vcc_lo
	v_lshrrev_b32_e32 v14, v15, v14
; %bb.1290:                             ;   in Loop: Header=BB4_1174 Depth=3
	s_andn2_saveexec_b32 s17, s17
; %bb.1291:                             ;   in Loop: Header=BB4_1174 Depth=3
	v_bfe_u32 v9, v14, 23, 1
; %bb.1292:                             ;   in Loop: Header=BB4_1174 Depth=3
	s_or_b32 exec_lo, exec_lo, s17
	v_lshrrev_b32_e32 v14, 21, v14
	v_min_i32_e32 v15, 31, v9
	v_cmp_gt_i32_e32 vcc_lo, 32, v9
	v_and_b32_sdwa v1, v1, v101 dst_sel:DWORD dst_unused:UNUSED_PAD src0_sel:BYTE_3 src1_sel:DWORD
	v_lshlrev_b32_e32 v15, 2, v15
	v_cndmask_b32_e32 v14, 3, v14, vcc_lo
	v_and_b32_e32 v15, 0xfc, v15
	v_and_b32_e32 v37, 3, v14
	v_or_b32_e32 v9, v9, v14
	v_or3_b32 v1, v1, v15, v37
	v_cmp_ne_u32_e32 vcc_lo, 0, v9
	v_lshlrev_b32_e32 v1, 8, v1
	v_cndmask_b32_e32 v9, 0, v1, vcc_lo
.LBB4_1293:                             ;   in Loop: Header=BB4_1174 Depth=3
	s_or_b32 exec_lo, exec_lo, s75
.LBB4_1294:                             ;   in Loop: Header=BB4_1174 Depth=3
	s_or_b32 exec_lo, exec_lo, s74
	v_cmp_gt_i16_sdwa s74, v10, v100 src0_sel:BYTE_0 src1_sel:DWORD
	s_mov_b32 s17, 0
	s_and_saveexec_b32 s75, s74
	s_xor_b32 s74, exec_lo, s75
	s_cbranch_execz .LBB4_1420
; %bb.1295:                             ;   in Loop: Header=BB4_1174 Depth=3
	v_cmp_eq_u16_sdwa s76, v10, v101 src0_sel:BYTE_0 src1_sel:DWORD
	s_mov_b32 s17, -1
	s_and_saveexec_b32 s75, s76
; %bb.1296:                             ;   in Loop: Header=BB4_1174 Depth=3
	s_xor_b32 s17, exec_lo, -1
; %bb.1297:                             ;   in Loop: Header=BB4_1174 Depth=3
	s_or_b32 exec_lo, exec_lo, s75
	s_and_b32 s17, s17, exec_lo
	s_or_saveexec_b32 s74, s74
	v_mov_b32_e32 v1, 0x7f800001
	s_xor_b32 exec_lo, exec_lo, s74
	s_cbranch_execnz .LBB4_1421
.LBB4_1298:                             ;   in Loop: Header=BB4_1174 Depth=3
	s_or_b32 exec_lo, exec_lo, s74
	s_and_saveexec_b32 s74, s17
	s_cbranch_execz .LBB4_1300
.LBB4_1299:                             ;   in Loop: Header=BB4_1174 Depth=3
	v_and_b32_e32 v1, 3, v10
	v_bfe_u32 v37, v10, 2, 5
	v_lshlrev_b32_e32 v50, 24, v10
	v_ffbh_u32_e32 v14, v1
	v_cmp_eq_u32_e32 vcc_lo, 0, v37
	v_min_u32_e32 v14, 32, v14
	v_subrev_nc_u32_e32 v15, 29, v14
	v_sub_nc_u32_e32 v14, 30, v14
	v_lshlrev_b32_e32 v15, v15, v10
	v_cndmask_b32_e32 v14, v37, v14, vcc_lo
	v_and_b32_e32 v15, 3, v15
	v_lshl_add_u32 v14, v14, 23, 0x37800000
	v_cndmask_b32_e32 v1, v1, v15, vcc_lo
	v_and_b32_e32 v15, 0x80000000, v50
	v_lshlrev_b32_e32 v1, 21, v1
	v_or3_b32 v1, v15, v14, v1
.LBB4_1300:                             ;   in Loop: Header=BB4_1174 Depth=3
	s_or_b32 exec_lo, exec_lo, s74
	v_mul_f32_e32 v37, s73, v1
	v_and_b32_e32 v1, 0x7f800000, v37
	v_cmp_ne_u32_e32 vcc_lo, 0x7f800000, v1
	v_mov_b32_e32 v1, 0x80
	s_and_saveexec_b32 s74, vcc_lo
	s_cbranch_execz .LBB4_1308
; %bb.1301:                             ;   in Loop: Header=BB4_1174 Depth=3
	v_mov_b32_e32 v1, 0
	s_mov_b32 s75, exec_lo
	v_cmpx_ne_u32_e32 0, v37
	s_cbranch_execz .LBB4_1307
; %bb.1302:                             ;   in Loop: Header=BB4_1174 Depth=3
	v_bfe_u32 v1, v37, 23, 8
	v_and_b32_e32 v14, 0x7fffff, v37
	v_sub_nc_u32_e32 v15, 0x70, v1
	v_cmp_gt_u32_e32 vcc_lo, 0x71, v1
	v_or_b32_e32 v50, 0x800000, v14
	v_cndmask_b32_e32 v15, 0, v15, vcc_lo
	v_cmp_eq_u32_e32 vcc_lo, 0, v1
	v_add_nc_u32_e32 v1, 0xffffff91, v1
	v_cndmask_b32_e64 v15, v15, 0x6f, vcc_lo
	v_cndmask_b32_e32 v14, v50, v14, vcc_lo
	v_cndmask_b32_e64 v1, v1, 0xffffff92, vcc_lo
	v_lshl_add_u32 v50, 0x200000, v15, -1
	v_lshrrev_b32_e32 v51, v15, v14
	v_lshlrev_b32_e64 v65, v15, 0x100000
	v_add_nc_u32_e32 v15, v15, v1
	v_and_b32_e32 v14, v50, v14
	v_bfe_u32 v64, v51, 21, 1
	v_cmp_eq_u32_e64 s17, v14, v65
	v_add_nc_u32_e32 v50, -1, v64
	v_cndmask_b32_e64 v14, 0, v50, s17
	v_lshrrev_b32_e32 v50, 23, v51
	s_mov_b32 s17, exec_lo
	v_add_nc_u32_e32 v14, v14, v51
	v_xor_b32_e32 v50, 1, v50
	v_and_b32_e32 v1, 0x1fffff, v14
	v_add_nc_u32_e32 v14, v1, v51
                                        ; implicit-def: $vgpr1
	v_cmpx_ne_u32_e64 v15, v50
	s_xor_b32 s17, exec_lo, s17
; %bb.1303:                             ;   in Loop: Header=BB4_1174 Depth=3
	v_cmp_lt_u32_e32 vcc_lo, 0xffffff, v14
	v_sub_nc_u32_e32 v1, v15, v50
	v_cndmask_b32_e64 v15, 0, 1, vcc_lo
	v_add_co_ci_u32_e64 v1, null, 0, v1, vcc_lo
	v_lshrrev_b32_e32 v14, v15, v14
; %bb.1304:                             ;   in Loop: Header=BB4_1174 Depth=3
	s_andn2_saveexec_b32 s17, s17
; %bb.1305:                             ;   in Loop: Header=BB4_1174 Depth=3
	v_bfe_u32 v1, v14, 23, 1
; %bb.1306:                             ;   in Loop: Header=BB4_1174 Depth=3
	s_or_b32 exec_lo, exec_lo, s17
	v_lshrrev_b32_e32 v14, 21, v14
	v_min_i32_e32 v15, 31, v1
	v_cmp_gt_i32_e32 vcc_lo, 32, v1
	v_and_b32_sdwa v37, v37, v101 dst_sel:DWORD dst_unused:UNUSED_PAD src0_sel:BYTE_3 src1_sel:DWORD
	v_lshlrev_b32_e32 v15, 2, v15
	v_cndmask_b32_e32 v14, 3, v14, vcc_lo
	v_and_b32_e32 v15, 0xfc, v15
	v_and_b32_e32 v50, 3, v14
	v_or_b32_e32 v1, v1, v14
	v_or3_b32 v14, v15, v37, v50
	v_cmp_ne_u32_e32 vcc_lo, 0, v1
	v_cndmask_b32_e32 v1, 0, v14, vcc_lo
.LBB4_1307:                             ;   in Loop: Header=BB4_1174 Depth=3
	s_or_b32 exec_lo, exec_lo, s75
.LBB4_1308:                             ;   in Loop: Header=BB4_1174 Depth=3
	s_or_b32 exec_lo, exec_lo, s74
	v_cmp_gt_i16_sdwa s74, v10, v100 src0_sel:BYTE_1 src1_sel:DWORD
	s_mov_b32 s17, 0
	s_and_saveexec_b32 s75, s74
	s_xor_b32 s74, exec_lo, s75
	s_cbranch_execz .LBB4_1422
; %bb.1309:                             ;   in Loop: Header=BB4_1174 Depth=3
	v_cmp_eq_u16_sdwa s76, v10, v101 src0_sel:BYTE_1 src1_sel:DWORD
	s_mov_b32 s17, -1
	s_and_saveexec_b32 s75, s76
; %bb.1310:                             ;   in Loop: Header=BB4_1174 Depth=3
	s_xor_b32 s17, exec_lo, -1
; %bb.1311:                             ;   in Loop: Header=BB4_1174 Depth=3
	s_or_b32 exec_lo, exec_lo, s75
	s_and_b32 s17, s17, exec_lo
	s_or_saveexec_b32 s74, s74
	v_mov_b32_e32 v14, 0x7f800001
	s_xor_b32 exec_lo, exec_lo, s74
	s_cbranch_execnz .LBB4_1423
.LBB4_1312:                             ;   in Loop: Header=BB4_1174 Depth=3
	s_or_b32 exec_lo, exec_lo, s74
	s_and_saveexec_b32 s74, s17
	s_cbranch_execz .LBB4_1314
.LBB4_1313:                             ;   in Loop: Header=BB4_1174 Depth=3
	v_and_b32_sdwa v14, v102, v10 dst_sel:DWORD dst_unused:UNUSED_PAD src0_sel:DWORD src1_sel:BYTE_1
	v_and_b32_e32 v15, 3, v14
	v_bfe_u32 v51, v14, 2, 5
	v_ffbh_u32_e32 v37, v15
	v_cmp_eq_u32_e32 vcc_lo, 0, v51
	v_min_u32_e32 v37, 32, v37
	v_subrev_nc_u32_e32 v50, 29, v37
	v_sub_nc_u32_e32 v37, 30, v37
	v_lshlrev_b32_e32 v14, v50, v14
	v_lshlrev_b32_sdwa v50, v103, v10 dst_sel:DWORD dst_unused:UNUSED_PAD src0_sel:DWORD src1_sel:BYTE_1
	v_cndmask_b32_e32 v37, v51, v37, vcc_lo
	v_and_b32_e32 v14, 3, v14
	v_lshl_add_u32 v37, v37, 23, 0x37800000
	v_cndmask_b32_e32 v14, v15, v14, vcc_lo
	v_and_b32_e32 v15, 0x80000000, v50
	v_lshlrev_b32_e32 v14, 21, v14
	v_or3_b32 v14, v15, v37, v14
.LBB4_1314:                             ;   in Loop: Header=BB4_1174 Depth=3
	s_or_b32 exec_lo, exec_lo, s74
	v_mul_f32_e32 v50, s73, v14
	v_mov_b32_e32 v37, 0x8000
	s_mov_b32 s74, exec_lo
	v_and_b32_e32 v14, 0x7f800000, v50
	v_cmpx_ne_u32_e32 0x7f800000, v14
	s_cbranch_execz .LBB4_1322
; %bb.1315:                             ;   in Loop: Header=BB4_1174 Depth=3
	v_mov_b32_e32 v37, 0
	s_mov_b32 s75, exec_lo
	v_cmpx_ne_u32_e32 0, v50
	s_cbranch_execz .LBB4_1321
; %bb.1316:                             ;   in Loop: Header=BB4_1174 Depth=3
	v_bfe_u32 v14, v50, 23, 8
	v_and_b32_e32 v15, 0x7fffff, v50
	v_sub_nc_u32_e32 v37, 0x70, v14
	v_cmp_gt_u32_e32 vcc_lo, 0x71, v14
	v_or_b32_e32 v51, 0x800000, v15
	v_cndmask_b32_e32 v37, 0, v37, vcc_lo
	v_cmp_eq_u32_e32 vcc_lo, 0, v14
	v_add_nc_u32_e32 v14, 0xffffff91, v14
	v_cndmask_b32_e64 v37, v37, 0x6f, vcc_lo
	v_cndmask_b32_e32 v15, v51, v15, vcc_lo
	v_cndmask_b32_e64 v14, v14, 0xffffff92, vcc_lo
	v_lshl_add_u32 v51, 0x200000, v37, -1
	v_lshrrev_b32_e32 v64, v37, v15
	v_lshlrev_b32_e64 v66, v37, 0x100000
	v_add_nc_u32_e32 v37, v37, v14
	v_and_b32_e32 v15, v51, v15
	v_bfe_u32 v65, v64, 21, 1
	v_cmp_eq_u32_e64 s17, v15, v66
	v_add_nc_u32_e32 v51, -1, v65
	v_cndmask_b32_e64 v15, 0, v51, s17
	v_lshrrev_b32_e32 v51, 23, v64
	s_mov_b32 s17, exec_lo
	v_add_nc_u32_e32 v15, v15, v64
	v_xor_b32_e32 v51, 1, v51
	v_and_b32_e32 v14, 0x1fffff, v15
	v_add_nc_u32_e32 v15, v14, v64
                                        ; implicit-def: $vgpr14
	v_cmpx_ne_u32_e64 v37, v51
	s_xor_b32 s17, exec_lo, s17
; %bb.1317:                             ;   in Loop: Header=BB4_1174 Depth=3
	v_cmp_lt_u32_e32 vcc_lo, 0xffffff, v15
	v_sub_nc_u32_e32 v14, v37, v51
	v_cndmask_b32_e64 v37, 0, 1, vcc_lo
	v_add_co_ci_u32_e64 v14, null, 0, v14, vcc_lo
	v_lshrrev_b32_e32 v15, v37, v15
; %bb.1318:                             ;   in Loop: Header=BB4_1174 Depth=3
	s_andn2_saveexec_b32 s17, s17
; %bb.1319:                             ;   in Loop: Header=BB4_1174 Depth=3
	v_bfe_u32 v14, v15, 23, 1
; %bb.1320:                             ;   in Loop: Header=BB4_1174 Depth=3
	s_or_b32 exec_lo, exec_lo, s17
	v_lshrrev_b32_e32 v15, 21, v15
	v_min_i32_e32 v37, 31, v14
	v_cmp_gt_i32_e32 vcc_lo, 32, v14
	v_and_b32_sdwa v50, v50, v101 dst_sel:DWORD dst_unused:UNUSED_PAD src0_sel:BYTE_3 src1_sel:DWORD
	v_lshlrev_b32_e32 v37, 2, v37
	v_cndmask_b32_e32 v15, 3, v15, vcc_lo
	v_and_b32_e32 v37, 0xfc, v37
	v_and_b32_e32 v51, 3, v15
	v_or_b32_e32 v14, v14, v15
	v_or3_b32 v37, v50, v37, v51
	v_cmp_ne_u32_e32 vcc_lo, 0, v14
	v_lshlrev_b32_e32 v15, 8, v37
	v_cndmask_b32_e32 v37, 0, v15, vcc_lo
.LBB4_1321:                             ;   in Loop: Header=BB4_1174 Depth=3
	s_or_b32 exec_lo, exec_lo, s75
.LBB4_1322:                             ;   in Loop: Header=BB4_1174 Depth=3
	s_or_b32 exec_lo, exec_lo, s74
	v_and_b32_sdwa v15, v10, v112 dst_sel:DWORD dst_unused:UNUSED_PAD src0_sel:WORD_1 src1_sel:DWORD
	s_mov_b32 s17, 0
	s_mov_b32 s74, exec_lo
	v_cmpx_lt_i16_e32 0x7f, v15
	s_xor_b32 s74, exec_lo, s74
	s_cbranch_execz .LBB4_1424
; %bb.1323:                             ;   in Loop: Header=BB4_1174 Depth=3
	s_mov_b32 s17, -1
	s_mov_b32 s75, exec_lo
	v_cmpx_eq_u16_e32 0x80, v15
; %bb.1324:                             ;   in Loop: Header=BB4_1174 Depth=3
	s_xor_b32 s17, exec_lo, -1
; %bb.1325:                             ;   in Loop: Header=BB4_1174 Depth=3
	s_or_b32 exec_lo, exec_lo, s75
	s_and_b32 s17, s17, exec_lo
                                        ; implicit-def: $vgpr15
	s_or_saveexec_b32 s74, s74
	v_mov_b32_e32 v14, 0x7f800001
	s_xor_b32 exec_lo, exec_lo, s74
	s_cbranch_execnz .LBB4_1425
.LBB4_1326:                             ;   in Loop: Header=BB4_1174 Depth=3
	s_or_b32 exec_lo, exec_lo, s74
	s_and_saveexec_b32 s74, s17
	s_cbranch_execz .LBB4_1328
.LBB4_1327:                             ;   in Loop: Header=BB4_1174 Depth=3
	v_bfe_u32 v14, v10, 16, 2
	v_bfe_u32 v51, v10, 18, 5
	v_lshlrev_b32_e32 v64, 8, v10
	v_ffbh_u32_e32 v15, v14
	v_cmp_eq_u32_e32 vcc_lo, 0, v51
	v_min_u32_e32 v15, 32, v15
	v_subrev_nc_u32_e32 v50, 29, v15
	v_sub_nc_u32_e32 v15, 30, v15
	v_lshlrev_b32_sdwa v50, v50, v10 dst_sel:DWORD dst_unused:UNUSED_PAD src0_sel:DWORD src1_sel:WORD_1
	v_cndmask_b32_e32 v15, v51, v15, vcc_lo
	v_and_b32_e32 v50, 3, v50
	v_lshl_add_u32 v15, v15, 23, 0x37800000
	v_cndmask_b32_e32 v14, v14, v50, vcc_lo
	v_and_b32_e32 v50, 0x80000000, v64
	v_lshlrev_b32_e32 v14, 21, v14
	v_or3_b32 v14, v50, v15, v14
.LBB4_1328:                             ;   in Loop: Header=BB4_1174 Depth=3
	s_or_b32 exec_lo, exec_lo, s74
	v_mul_f32_e32 v50, s73, v14
	v_mov_b32_e32 v64, 0x80
	s_mov_b32 s74, exec_lo
	v_and_b32_e32 v14, 0x7f800000, v50
	v_cmpx_ne_u32_e32 0x7f800000, v14
	s_cbranch_execz .LBB4_1336
; %bb.1329:                             ;   in Loop: Header=BB4_1174 Depth=3
	v_mov_b32_e32 v64, 0
	s_mov_b32 s75, exec_lo
	v_cmpx_ne_u32_e32 0, v50
	s_cbranch_execz .LBB4_1335
; %bb.1330:                             ;   in Loop: Header=BB4_1174 Depth=3
	v_bfe_u32 v14, v50, 23, 8
	v_and_b32_e32 v15, 0x7fffff, v50
	v_sub_nc_u32_e32 v51, 0x70, v14
	v_cmp_gt_u32_e32 vcc_lo, 0x71, v14
	v_or_b32_e32 v64, 0x800000, v15
	v_cndmask_b32_e32 v51, 0, v51, vcc_lo
	v_cmp_eq_u32_e32 vcc_lo, 0, v14
	v_add_nc_u32_e32 v14, 0xffffff91, v14
	v_cndmask_b32_e64 v51, v51, 0x6f, vcc_lo
	v_cndmask_b32_e32 v15, v64, v15, vcc_lo
	v_cndmask_b32_e64 v14, v14, 0xffffff92, vcc_lo
	v_lshl_add_u32 v64, 0x200000, v51, -1
	v_lshrrev_b32_e32 v65, v51, v15
	v_lshlrev_b32_e64 v67, v51, 0x100000
	v_add_nc_u32_e32 v51, v51, v14
	v_and_b32_e32 v15, v64, v15
	v_bfe_u32 v66, v65, 21, 1
	v_cmp_eq_u32_e64 s17, v15, v67
	v_add_nc_u32_e32 v64, -1, v66
	v_cndmask_b32_e64 v15, 0, v64, s17
	v_lshrrev_b32_e32 v64, 23, v65
	s_mov_b32 s17, exec_lo
	v_add_nc_u32_e32 v15, v15, v65
	v_xor_b32_e32 v64, 1, v64
	v_and_b32_e32 v14, 0x1fffff, v15
	v_add_nc_u32_e32 v15, v14, v65
                                        ; implicit-def: $vgpr14
	v_cmpx_ne_u32_e64 v51, v64
	s_xor_b32 s17, exec_lo, s17
; %bb.1331:                             ;   in Loop: Header=BB4_1174 Depth=3
	v_cmp_lt_u32_e32 vcc_lo, 0xffffff, v15
	v_sub_nc_u32_e32 v14, v51, v64
	v_cndmask_b32_e64 v51, 0, 1, vcc_lo
	v_add_co_ci_u32_e64 v14, null, 0, v14, vcc_lo
	v_lshrrev_b32_e32 v15, v51, v15
; %bb.1332:                             ;   in Loop: Header=BB4_1174 Depth=3
	s_andn2_saveexec_b32 s17, s17
; %bb.1333:                             ;   in Loop: Header=BB4_1174 Depth=3
	v_bfe_u32 v14, v15, 23, 1
; %bb.1334:                             ;   in Loop: Header=BB4_1174 Depth=3
	s_or_b32 exec_lo, exec_lo, s17
	v_lshrrev_b32_e32 v15, 21, v15
	v_min_i32_e32 v51, 31, v14
	v_cmp_gt_i32_e32 vcc_lo, 32, v14
	v_and_b32_sdwa v50, v50, v101 dst_sel:DWORD dst_unused:UNUSED_PAD src0_sel:BYTE_3 src1_sel:DWORD
	v_lshlrev_b32_e32 v51, 2, v51
	v_cndmask_b32_e32 v15, 3, v15, vcc_lo
	v_and_b32_e32 v51, 0xfc, v51
	v_and_b32_e32 v64, 3, v15
	v_or_b32_e32 v14, v14, v15
	v_or3_b32 v15, v51, v50, v64
	v_cmp_ne_u32_e32 vcc_lo, 0, v14
	v_cndmask_b32_e32 v64, 0, v15, vcc_lo
.LBB4_1335:                             ;   in Loop: Header=BB4_1174 Depth=3
	s_or_b32 exec_lo, exec_lo, s75
.LBB4_1336:                             ;   in Loop: Header=BB4_1174 Depth=3
	s_or_b32 exec_lo, exec_lo, s74
	v_cmp_gt_i16_sdwa s74, v10, v100 src0_sel:BYTE_3 src1_sel:DWORD
	s_mov_b32 s17, 0
	s_and_saveexec_b32 s75, s74
	s_xor_b32 s74, exec_lo, s75
	s_cbranch_execz .LBB4_1426
; %bb.1337:                             ;   in Loop: Header=BB4_1174 Depth=3
	v_cmp_eq_u16_sdwa s76, v10, v101 src0_sel:BYTE_3 src1_sel:DWORD
	s_mov_b32 s17, -1
	s_and_saveexec_b32 s75, s76
; %bb.1338:                             ;   in Loop: Header=BB4_1174 Depth=3
	s_xor_b32 s17, exec_lo, -1
; %bb.1339:                             ;   in Loop: Header=BB4_1174 Depth=3
	s_or_b32 exec_lo, exec_lo, s75
	s_and_b32 s17, s17, exec_lo
	s_or_saveexec_b32 s74, s74
	v_mov_b32_e32 v14, 0x7f800001
	s_xor_b32 exec_lo, exec_lo, s74
	s_cbranch_execnz .LBB4_1427
.LBB4_1340:                             ;   in Loop: Header=BB4_1174 Depth=3
	s_or_b32 exec_lo, exec_lo, s74
	s_and_saveexec_b32 s74, s17
	s_cbranch_execz .LBB4_1342
.LBB4_1341:                             ;   in Loop: Header=BB4_1174 Depth=3
	v_bfe_u32 v14, v10, 24, 2
	v_bfe_u32 v51, v10, 26, 5
	v_ffbh_u32_e32 v15, v14
	v_cmp_eq_u32_e32 vcc_lo, 0, v51
	v_min_u32_e32 v15, 32, v15
	v_subrev_nc_u32_e32 v50, 29, v15
	v_sub_nc_u32_e32 v15, 30, v15
	v_lshlrev_b32_sdwa v50, v50, v10 dst_sel:DWORD dst_unused:UNUSED_PAD src0_sel:DWORD src1_sel:BYTE_3
	v_cndmask_b32_e32 v15, v51, v15, vcc_lo
	v_and_b32_e32 v10, 0x80000000, v10
	v_and_b32_e32 v50, 3, v50
	v_lshl_add_u32 v15, v15, 23, 0x37800000
	v_cndmask_b32_e32 v14, v14, v50, vcc_lo
	v_lshlrev_b32_e32 v14, 21, v14
	v_or3_b32 v14, v10, v15, v14
.LBB4_1342:                             ;   in Loop: Header=BB4_1174 Depth=3
	s_or_b32 exec_lo, exec_lo, s74
	v_mul_f32_e32 v50, s73, v14
	v_and_b32_e32 v10, 0x7f800000, v50
	v_cmp_ne_u32_e32 vcc_lo, 0x7f800000, v10
	v_mov_b32_e32 v10, 0x8000
	s_and_saveexec_b32 s74, vcc_lo
	s_cbranch_execz .LBB4_1350
; %bb.1343:                             ;   in Loop: Header=BB4_1174 Depth=3
	v_mov_b32_e32 v10, 0
	s_mov_b32 s75, exec_lo
	v_cmpx_ne_u32_e32 0, v50
	s_cbranch_execz .LBB4_1349
; %bb.1344:                             ;   in Loop: Header=BB4_1174 Depth=3
	v_bfe_u32 v10, v50, 23, 8
	v_and_b32_e32 v14, 0x7fffff, v50
	v_sub_nc_u32_e32 v15, 0x70, v10
	v_cmp_gt_u32_e32 vcc_lo, 0x71, v10
	v_or_b32_e32 v51, 0x800000, v14
	v_cndmask_b32_e32 v15, 0, v15, vcc_lo
	v_cmp_eq_u32_e32 vcc_lo, 0, v10
	v_add_nc_u32_e32 v10, 0xffffff91, v10
	v_cndmask_b32_e64 v15, v15, 0x6f, vcc_lo
	v_cndmask_b32_e32 v14, v51, v14, vcc_lo
	v_cndmask_b32_e64 v10, v10, 0xffffff92, vcc_lo
	v_lshl_add_u32 v51, 0x200000, v15, -1
	v_lshrrev_b32_e32 v65, v15, v14
	v_lshlrev_b32_e64 v67, v15, 0x100000
	v_add_nc_u32_e32 v15, v15, v10
	v_and_b32_e32 v14, v51, v14
	v_bfe_u32 v66, v65, 21, 1
	v_cmp_eq_u32_e64 s17, v14, v67
	v_add_nc_u32_e32 v51, -1, v66
	v_cndmask_b32_e64 v14, 0, v51, s17
	v_lshrrev_b32_e32 v51, 23, v65
	s_mov_b32 s17, exec_lo
	v_add_nc_u32_e32 v14, v14, v65
	v_xor_b32_e32 v51, 1, v51
	v_and_b32_e32 v10, 0x1fffff, v14
	v_add_nc_u32_e32 v14, v10, v65
                                        ; implicit-def: $vgpr10
	v_cmpx_ne_u32_e64 v15, v51
	s_xor_b32 s17, exec_lo, s17
; %bb.1345:                             ;   in Loop: Header=BB4_1174 Depth=3
	v_cmp_lt_u32_e32 vcc_lo, 0xffffff, v14
	v_sub_nc_u32_e32 v10, v15, v51
	v_cndmask_b32_e64 v15, 0, 1, vcc_lo
	v_add_co_ci_u32_e64 v10, null, 0, v10, vcc_lo
	v_lshrrev_b32_e32 v14, v15, v14
; %bb.1346:                             ;   in Loop: Header=BB4_1174 Depth=3
	s_andn2_saveexec_b32 s17, s17
; %bb.1347:                             ;   in Loop: Header=BB4_1174 Depth=3
	v_bfe_u32 v10, v14, 23, 1
; %bb.1348:                             ;   in Loop: Header=BB4_1174 Depth=3
	s_or_b32 exec_lo, exec_lo, s17
	v_lshrrev_b32_e32 v14, 21, v14
	v_min_i32_e32 v15, 31, v10
	v_cmp_gt_i32_e32 vcc_lo, 32, v10
	v_and_b32_sdwa v50, v50, v101 dst_sel:DWORD dst_unused:UNUSED_PAD src0_sel:BYTE_3 src1_sel:DWORD
	v_lshlrev_b32_e32 v15, 2, v15
	v_cndmask_b32_e32 v14, 3, v14, vcc_lo
	v_and_b32_e32 v15, 0xfc, v15
	v_and_b32_e32 v51, 3, v14
	v_or_b32_e32 v10, v10, v14
	v_or3_b32 v15, v50, v15, v51
	v_cmp_ne_u32_e32 vcc_lo, 0, v10
	v_lshlrev_b32_e32 v14, 8, v15
	v_cndmask_b32_e32 v10, 0, v14, vcc_lo
.LBB4_1349:                             ;   in Loop: Header=BB4_1174 Depth=3
	s_or_b32 exec_lo, exec_lo, s75
.LBB4_1350:                             ;   in Loop: Header=BB4_1174 Depth=3
	s_or_b32 exec_lo, exec_lo, s74
	v_cmp_gt_i16_sdwa s74, v11, v100 src0_sel:BYTE_0 src1_sel:DWORD
	s_mov_b32 s17, 0
	s_and_saveexec_b32 s75, s74
	s_xor_b32 s74, exec_lo, s75
	s_cbranch_execz .LBB4_1428
; %bb.1351:                             ;   in Loop: Header=BB4_1174 Depth=3
	v_cmp_eq_u16_sdwa s76, v11, v101 src0_sel:BYTE_0 src1_sel:DWORD
	s_mov_b32 s17, -1
	s_and_saveexec_b32 s75, s76
; %bb.1352:                             ;   in Loop: Header=BB4_1174 Depth=3
	s_xor_b32 s17, exec_lo, -1
; %bb.1353:                             ;   in Loop: Header=BB4_1174 Depth=3
	s_or_b32 exec_lo, exec_lo, s75
	s_and_b32 s17, s17, exec_lo
	s_or_saveexec_b32 s74, s74
	v_mov_b32_e32 v14, 0x7f800001
	s_xor_b32 exec_lo, exec_lo, s74
	s_cbranch_execnz .LBB4_1429
.LBB4_1354:                             ;   in Loop: Header=BB4_1174 Depth=3
	s_or_b32 exec_lo, exec_lo, s74
	s_and_saveexec_b32 s74, s17
	s_cbranch_execz .LBB4_1356
.LBB4_1355:                             ;   in Loop: Header=BB4_1174 Depth=3
	v_and_b32_e32 v14, 3, v11
	v_bfe_u32 v51, v11, 2, 5
	v_lshlrev_b32_e32 v65, 24, v11
	v_ffbh_u32_e32 v15, v14
	v_cmp_eq_u32_e32 vcc_lo, 0, v51
	v_min_u32_e32 v15, 32, v15
	v_subrev_nc_u32_e32 v50, 29, v15
	v_sub_nc_u32_e32 v15, 30, v15
	v_lshlrev_b32_e32 v50, v50, v11
	v_cndmask_b32_e32 v15, v51, v15, vcc_lo
	v_and_b32_e32 v50, 3, v50
	v_lshl_add_u32 v15, v15, 23, 0x37800000
	v_cndmask_b32_e32 v14, v14, v50, vcc_lo
	v_and_b32_e32 v50, 0x80000000, v65
	v_lshlrev_b32_e32 v14, 21, v14
	v_or3_b32 v14, v50, v15, v14
.LBB4_1356:                             ;   in Loop: Header=BB4_1174 Depth=3
	s_or_b32 exec_lo, exec_lo, s74
	v_mul_f32_e32 v50, s73, v14
	v_mov_b32_e32 v65, 0x80
	s_mov_b32 s74, exec_lo
	v_and_b32_e32 v14, 0x7f800000, v50
	v_cmpx_ne_u32_e32 0x7f800000, v14
	s_cbranch_execz .LBB4_1364
; %bb.1357:                             ;   in Loop: Header=BB4_1174 Depth=3
	v_mov_b32_e32 v65, 0
	s_mov_b32 s75, exec_lo
	v_cmpx_ne_u32_e32 0, v50
	s_cbranch_execz .LBB4_1363
; %bb.1358:                             ;   in Loop: Header=BB4_1174 Depth=3
	v_bfe_u32 v14, v50, 23, 8
	v_and_b32_e32 v15, 0x7fffff, v50
	v_sub_nc_u32_e32 v51, 0x70, v14
	v_cmp_gt_u32_e32 vcc_lo, 0x71, v14
	v_or_b32_e32 v65, 0x800000, v15
	v_cndmask_b32_e32 v51, 0, v51, vcc_lo
	v_cmp_eq_u32_e32 vcc_lo, 0, v14
	v_add_nc_u32_e32 v14, 0xffffff91, v14
	v_cndmask_b32_e64 v51, v51, 0x6f, vcc_lo
	v_cndmask_b32_e32 v15, v65, v15, vcc_lo
	v_cndmask_b32_e64 v14, v14, 0xffffff92, vcc_lo
	v_lshl_add_u32 v65, 0x200000, v51, -1
	v_lshrrev_b32_e32 v66, v51, v15
	v_lshlrev_b32_e64 v68, v51, 0x100000
	v_add_nc_u32_e32 v51, v51, v14
	v_and_b32_e32 v15, v65, v15
	v_bfe_u32 v67, v66, 21, 1
	v_cmp_eq_u32_e64 s17, v15, v68
	v_add_nc_u32_e32 v65, -1, v67
	v_cndmask_b32_e64 v15, 0, v65, s17
	v_lshrrev_b32_e32 v65, 23, v66
	s_mov_b32 s17, exec_lo
	v_add_nc_u32_e32 v15, v15, v66
	v_xor_b32_e32 v65, 1, v65
	v_and_b32_e32 v14, 0x1fffff, v15
	v_add_nc_u32_e32 v15, v14, v66
                                        ; implicit-def: $vgpr14
	v_cmpx_ne_u32_e64 v51, v65
	s_xor_b32 s17, exec_lo, s17
; %bb.1359:                             ;   in Loop: Header=BB4_1174 Depth=3
	v_cmp_lt_u32_e32 vcc_lo, 0xffffff, v15
	v_sub_nc_u32_e32 v14, v51, v65
	v_cndmask_b32_e64 v51, 0, 1, vcc_lo
	v_add_co_ci_u32_e64 v14, null, 0, v14, vcc_lo
	v_lshrrev_b32_e32 v15, v51, v15
; %bb.1360:                             ;   in Loop: Header=BB4_1174 Depth=3
	s_andn2_saveexec_b32 s17, s17
; %bb.1361:                             ;   in Loop: Header=BB4_1174 Depth=3
	v_bfe_u32 v14, v15, 23, 1
; %bb.1362:                             ;   in Loop: Header=BB4_1174 Depth=3
	s_or_b32 exec_lo, exec_lo, s17
	v_lshrrev_b32_e32 v15, 21, v15
	v_min_i32_e32 v51, 31, v14
	v_cmp_gt_i32_e32 vcc_lo, 32, v14
	v_and_b32_sdwa v50, v50, v101 dst_sel:DWORD dst_unused:UNUSED_PAD src0_sel:BYTE_3 src1_sel:DWORD
	v_lshlrev_b32_e32 v51, 2, v51
	v_cndmask_b32_e32 v15, 3, v15, vcc_lo
	v_and_b32_e32 v51, 0xfc, v51
	v_and_b32_e32 v65, 3, v15
	v_or_b32_e32 v14, v14, v15
	v_or3_b32 v15, v51, v50, v65
	v_cmp_ne_u32_e32 vcc_lo, 0, v14
	v_cndmask_b32_e32 v65, 0, v15, vcc_lo
.LBB4_1363:                             ;   in Loop: Header=BB4_1174 Depth=3
	s_or_b32 exec_lo, exec_lo, s75
.LBB4_1364:                             ;   in Loop: Header=BB4_1174 Depth=3
	s_or_b32 exec_lo, exec_lo, s74
	v_cmp_gt_i16_sdwa s74, v11, v100 src0_sel:BYTE_1 src1_sel:DWORD
	s_mov_b32 s17, 0
	s_and_saveexec_b32 s75, s74
	s_xor_b32 s74, exec_lo, s75
	s_cbranch_execz .LBB4_1430
; %bb.1365:                             ;   in Loop: Header=BB4_1174 Depth=3
	v_cmp_eq_u16_sdwa s76, v11, v101 src0_sel:BYTE_1 src1_sel:DWORD
	s_mov_b32 s17, -1
	s_and_saveexec_b32 s75, s76
; %bb.1366:                             ;   in Loop: Header=BB4_1174 Depth=3
	s_xor_b32 s17, exec_lo, -1
; %bb.1367:                             ;   in Loop: Header=BB4_1174 Depth=3
	s_or_b32 exec_lo, exec_lo, s75
	s_and_b32 s17, s17, exec_lo
	s_or_saveexec_b32 s74, s74
	v_mov_b32_e32 v14, 0x7f800001
	s_xor_b32 exec_lo, exec_lo, s74
	s_cbranch_execnz .LBB4_1431
.LBB4_1368:                             ;   in Loop: Header=BB4_1174 Depth=3
	s_or_b32 exec_lo, exec_lo, s74
	s_and_saveexec_b32 s74, s17
	s_cbranch_execz .LBB4_1370
.LBB4_1369:                             ;   in Loop: Header=BB4_1174 Depth=3
	v_and_b32_sdwa v14, v102, v11 dst_sel:DWORD dst_unused:UNUSED_PAD src0_sel:DWORD src1_sel:BYTE_1
	v_and_b32_e32 v15, 3, v14
	v_bfe_u32 v66, v14, 2, 5
	v_ffbh_u32_e32 v50, v15
	v_cmp_eq_u32_e32 vcc_lo, 0, v66
	v_min_u32_e32 v50, 32, v50
	v_subrev_nc_u32_e32 v51, 29, v50
	v_sub_nc_u32_e32 v50, 30, v50
	v_lshlrev_b32_e32 v14, v51, v14
	v_lshlrev_b32_sdwa v51, v103, v11 dst_sel:DWORD dst_unused:UNUSED_PAD src0_sel:DWORD src1_sel:BYTE_1
	v_cndmask_b32_e32 v50, v66, v50, vcc_lo
	v_and_b32_e32 v14, 3, v14
	v_lshl_add_u32 v50, v50, 23, 0x37800000
	v_cndmask_b32_e32 v14, v15, v14, vcc_lo
	v_and_b32_e32 v15, 0x80000000, v51
	v_lshlrev_b32_e32 v14, 21, v14
	v_or3_b32 v14, v15, v50, v14
.LBB4_1370:                             ;   in Loop: Header=BB4_1174 Depth=3
	s_or_b32 exec_lo, exec_lo, s74
	v_mul_f32_e32 v50, s73, v14
	v_mov_b32_e32 v66, 0x8000
	s_mov_b32 s74, exec_lo
	v_and_b32_e32 v14, 0x7f800000, v50
	v_cmpx_ne_u32_e32 0x7f800000, v14
	s_cbranch_execz .LBB4_1378
; %bb.1371:                             ;   in Loop: Header=BB4_1174 Depth=3
	v_mov_b32_e32 v66, 0
	s_mov_b32 s75, exec_lo
	v_cmpx_ne_u32_e32 0, v50
	s_cbranch_execz .LBB4_1377
; %bb.1372:                             ;   in Loop: Header=BB4_1174 Depth=3
	v_bfe_u32 v14, v50, 23, 8
	v_and_b32_e32 v15, 0x7fffff, v50
	v_sub_nc_u32_e32 v51, 0x70, v14
	v_cmp_gt_u32_e32 vcc_lo, 0x71, v14
	v_or_b32_e32 v66, 0x800000, v15
	v_cndmask_b32_e32 v51, 0, v51, vcc_lo
	v_cmp_eq_u32_e32 vcc_lo, 0, v14
	v_add_nc_u32_e32 v14, 0xffffff91, v14
	v_cndmask_b32_e64 v51, v51, 0x6f, vcc_lo
	v_cndmask_b32_e32 v15, v66, v15, vcc_lo
	v_cndmask_b32_e64 v14, v14, 0xffffff92, vcc_lo
	v_lshl_add_u32 v66, 0x200000, v51, -1
	v_lshrrev_b32_e32 v67, v51, v15
	v_lshlrev_b32_e64 v69, v51, 0x100000
	v_add_nc_u32_e32 v51, v51, v14
	v_and_b32_e32 v15, v66, v15
	v_bfe_u32 v68, v67, 21, 1
	v_cmp_eq_u32_e64 s17, v15, v69
	v_add_nc_u32_e32 v66, -1, v68
	v_cndmask_b32_e64 v15, 0, v66, s17
	v_lshrrev_b32_e32 v66, 23, v67
	s_mov_b32 s17, exec_lo
	v_add_nc_u32_e32 v15, v15, v67
	v_xor_b32_e32 v66, 1, v66
	v_and_b32_e32 v14, 0x1fffff, v15
	v_add_nc_u32_e32 v15, v14, v67
                                        ; implicit-def: $vgpr14
	v_cmpx_ne_u32_e64 v51, v66
	s_xor_b32 s17, exec_lo, s17
; %bb.1373:                             ;   in Loop: Header=BB4_1174 Depth=3
	v_cmp_lt_u32_e32 vcc_lo, 0xffffff, v15
	v_sub_nc_u32_e32 v14, v51, v66
	v_cndmask_b32_e64 v51, 0, 1, vcc_lo
	v_add_co_ci_u32_e64 v14, null, 0, v14, vcc_lo
	v_lshrrev_b32_e32 v15, v51, v15
; %bb.1374:                             ;   in Loop: Header=BB4_1174 Depth=3
	s_andn2_saveexec_b32 s17, s17
; %bb.1375:                             ;   in Loop: Header=BB4_1174 Depth=3
	v_bfe_u32 v14, v15, 23, 1
; %bb.1376:                             ;   in Loop: Header=BB4_1174 Depth=3
	s_or_b32 exec_lo, exec_lo, s17
	v_lshrrev_b32_e32 v15, 21, v15
	v_min_i32_e32 v51, 31, v14
	v_cmp_gt_i32_e32 vcc_lo, 32, v14
	v_and_b32_sdwa v50, v50, v101 dst_sel:DWORD dst_unused:UNUSED_PAD src0_sel:BYTE_3 src1_sel:DWORD
	v_lshlrev_b32_e32 v51, 2, v51
	v_cndmask_b32_e32 v15, 3, v15, vcc_lo
	v_and_b32_e32 v51, 0xfc, v51
	v_and_b32_e32 v66, 3, v15
	v_or_b32_e32 v14, v14, v15
	v_or3_b32 v50, v50, v51, v66
	v_cmp_ne_u32_e32 vcc_lo, 0, v14
	v_lshlrev_b32_e32 v15, 8, v50
	v_cndmask_b32_e32 v66, 0, v15, vcc_lo
.LBB4_1377:                             ;   in Loop: Header=BB4_1174 Depth=3
	s_or_b32 exec_lo, exec_lo, s75
.LBB4_1378:                             ;   in Loop: Header=BB4_1174 Depth=3
	s_or_b32 exec_lo, exec_lo, s74
	v_and_b32_sdwa v15, v11, v112 dst_sel:DWORD dst_unused:UNUSED_PAD src0_sel:WORD_1 src1_sel:DWORD
	s_mov_b32 s17, 0
	s_mov_b32 s74, exec_lo
	v_cmpx_lt_i16_e32 0x7f, v15
	s_xor_b32 s74, exec_lo, s74
	s_cbranch_execz .LBB4_1432
; %bb.1379:                             ;   in Loop: Header=BB4_1174 Depth=3
	s_mov_b32 s17, -1
	s_mov_b32 s75, exec_lo
	v_cmpx_eq_u16_e32 0x80, v15
; %bb.1380:                             ;   in Loop: Header=BB4_1174 Depth=3
	s_xor_b32 s17, exec_lo, -1
; %bb.1381:                             ;   in Loop: Header=BB4_1174 Depth=3
	s_or_b32 exec_lo, exec_lo, s75
	s_and_b32 s17, s17, exec_lo
                                        ; implicit-def: $vgpr15
	s_or_saveexec_b32 s74, s74
	v_mov_b32_e32 v14, 0x7f800001
	s_xor_b32 exec_lo, exec_lo, s74
	s_cbranch_execnz .LBB4_1433
.LBB4_1382:                             ;   in Loop: Header=BB4_1174 Depth=3
	s_or_b32 exec_lo, exec_lo, s74
	s_and_saveexec_b32 s74, s17
	s_cbranch_execz .LBB4_1384
.LBB4_1383:                             ;   in Loop: Header=BB4_1174 Depth=3
	v_bfe_u32 v14, v11, 16, 2
	v_bfe_u32 v51, v11, 18, 5
	v_lshlrev_b32_e32 v67, 8, v11
	v_ffbh_u32_e32 v15, v14
	v_cmp_eq_u32_e32 vcc_lo, 0, v51
	v_min_u32_e32 v15, 32, v15
	v_subrev_nc_u32_e32 v50, 29, v15
	v_sub_nc_u32_e32 v15, 30, v15
	v_lshlrev_b32_sdwa v50, v50, v11 dst_sel:DWORD dst_unused:UNUSED_PAD src0_sel:DWORD src1_sel:WORD_1
	v_cndmask_b32_e32 v15, v51, v15, vcc_lo
	v_and_b32_e32 v50, 3, v50
	v_lshl_add_u32 v15, v15, 23, 0x37800000
	v_cndmask_b32_e32 v14, v14, v50, vcc_lo
	v_and_b32_e32 v50, 0x80000000, v67
	v_lshlrev_b32_e32 v14, 21, v14
	v_or3_b32 v14, v50, v15, v14
.LBB4_1384:                             ;   in Loop: Header=BB4_1174 Depth=3
	s_or_b32 exec_lo, exec_lo, s74
	v_mul_f32_e32 v51, s73, v14
	v_mov_b32_e32 v50, 0x80
	s_mov_b32 s74, exec_lo
	v_and_b32_e32 v14, 0x7f800000, v51
	v_cmpx_ne_u32_e32 0x7f800000, v14
	s_cbranch_execz .LBB4_1392
; %bb.1385:                             ;   in Loop: Header=BB4_1174 Depth=3
	v_mov_b32_e32 v50, 0
	s_mov_b32 s75, exec_lo
	v_cmpx_ne_u32_e32 0, v51
	s_cbranch_execz .LBB4_1391
; %bb.1386:                             ;   in Loop: Header=BB4_1174 Depth=3
	v_bfe_u32 v14, v51, 23, 8
	v_and_b32_e32 v15, 0x7fffff, v51
	v_sub_nc_u32_e32 v50, 0x70, v14
	v_cmp_gt_u32_e32 vcc_lo, 0x71, v14
	v_or_b32_e32 v67, 0x800000, v15
	v_cndmask_b32_e32 v50, 0, v50, vcc_lo
	v_cmp_eq_u32_e32 vcc_lo, 0, v14
	v_add_nc_u32_e32 v14, 0xffffff91, v14
	v_cndmask_b32_e64 v50, v50, 0x6f, vcc_lo
	v_cndmask_b32_e32 v15, v67, v15, vcc_lo
	v_cndmask_b32_e64 v14, v14, 0xffffff92, vcc_lo
	v_lshl_add_u32 v67, 0x200000, v50, -1
	v_lshrrev_b32_e32 v68, v50, v15
	v_lshlrev_b32_e64 v80, v50, 0x100000
	v_add_nc_u32_e32 v50, v50, v14
	v_and_b32_e32 v15, v67, v15
	v_bfe_u32 v69, v68, 21, 1
	v_cmp_eq_u32_e64 s17, v15, v80
	v_add_nc_u32_e32 v67, -1, v69
	v_cndmask_b32_e64 v15, 0, v67, s17
	v_lshrrev_b32_e32 v67, 23, v68
	s_mov_b32 s17, exec_lo
	v_add_nc_u32_e32 v15, v15, v68
	v_xor_b32_e32 v67, 1, v67
	v_and_b32_e32 v14, 0x1fffff, v15
	v_add_nc_u32_e32 v15, v14, v68
                                        ; implicit-def: $vgpr14
	v_cmpx_ne_u32_e64 v50, v67
	s_xor_b32 s17, exec_lo, s17
; %bb.1387:                             ;   in Loop: Header=BB4_1174 Depth=3
	v_cmp_lt_u32_e32 vcc_lo, 0xffffff, v15
	v_sub_nc_u32_e32 v14, v50, v67
	v_cndmask_b32_e64 v50, 0, 1, vcc_lo
	v_add_co_ci_u32_e64 v14, null, 0, v14, vcc_lo
	v_lshrrev_b32_e32 v15, v50, v15
; %bb.1388:                             ;   in Loop: Header=BB4_1174 Depth=3
	s_andn2_saveexec_b32 s17, s17
; %bb.1389:                             ;   in Loop: Header=BB4_1174 Depth=3
	v_bfe_u32 v14, v15, 23, 1
; %bb.1390:                             ;   in Loop: Header=BB4_1174 Depth=3
	s_or_b32 exec_lo, exec_lo, s17
	v_lshrrev_b32_e32 v15, 21, v15
	v_min_i32_e32 v50, 31, v14
	v_cmp_gt_i32_e32 vcc_lo, 32, v14
	v_and_b32_sdwa v51, v51, v101 dst_sel:DWORD dst_unused:UNUSED_PAD src0_sel:BYTE_3 src1_sel:DWORD
	v_lshlrev_b32_e32 v50, 2, v50
	v_cndmask_b32_e32 v15, 3, v15, vcc_lo
	v_and_b32_e32 v50, 0xfc, v50
	v_and_b32_e32 v67, 3, v15
	v_or_b32_e32 v14, v14, v15
	v_or3_b32 v15, v50, v51, v67
	v_cmp_ne_u32_e32 vcc_lo, 0, v14
	v_cndmask_b32_e32 v50, 0, v15, vcc_lo
.LBB4_1391:                             ;   in Loop: Header=BB4_1174 Depth=3
	s_or_b32 exec_lo, exec_lo, s75
.LBB4_1392:                             ;   in Loop: Header=BB4_1174 Depth=3
	s_or_b32 exec_lo, exec_lo, s74
	v_cmp_gt_i16_sdwa s74, v11, v100 src0_sel:BYTE_3 src1_sel:DWORD
	s_mov_b32 s17, 0
	s_and_saveexec_b32 s75, s74
	s_xor_b32 s74, exec_lo, s75
	s_cbranch_execz .LBB4_1434
; %bb.1393:                             ;   in Loop: Header=BB4_1174 Depth=3
	v_cmp_eq_u16_sdwa s76, v11, v101 src0_sel:BYTE_3 src1_sel:DWORD
	s_mov_b32 s17, -1
	s_and_saveexec_b32 s75, s76
; %bb.1394:                             ;   in Loop: Header=BB4_1174 Depth=3
	s_xor_b32 s17, exec_lo, -1
; %bb.1395:                             ;   in Loop: Header=BB4_1174 Depth=3
	s_or_b32 exec_lo, exec_lo, s75
	s_and_b32 s17, s17, exec_lo
	s_or_saveexec_b32 s74, s74
	v_mov_b32_e32 v14, 0x7f800001
	s_xor_b32 exec_lo, exec_lo, s74
	s_cbranch_execnz .LBB4_1435
.LBB4_1396:                             ;   in Loop: Header=BB4_1174 Depth=3
	s_or_b32 exec_lo, exec_lo, s74
	s_and_saveexec_b32 s74, s17
	s_cbranch_execz .LBB4_1398
.LBB4_1397:                             ;   in Loop: Header=BB4_1174 Depth=3
	v_bfe_u32 v14, v11, 24, 2
	v_bfe_u32 v67, v11, 26, 5
	v_ffbh_u32_e32 v15, v14
	v_cmp_eq_u32_e32 vcc_lo, 0, v67
	v_min_u32_e32 v15, 32, v15
	v_subrev_nc_u32_e32 v51, 29, v15
	v_sub_nc_u32_e32 v15, 30, v15
	v_lshlrev_b32_sdwa v51, v51, v11 dst_sel:DWORD dst_unused:UNUSED_PAD src0_sel:DWORD src1_sel:BYTE_3
	v_cndmask_b32_e32 v15, v67, v15, vcc_lo
	v_and_b32_e32 v11, 0x80000000, v11
	v_and_b32_e32 v51, 3, v51
	v_lshl_add_u32 v15, v15, 23, 0x37800000
	v_cndmask_b32_e32 v14, v14, v51, vcc_lo
	v_lshlrev_b32_e32 v14, 21, v14
	v_or3_b32 v14, v11, v15, v14
.LBB4_1398:                             ;   in Loop: Header=BB4_1174 Depth=3
	s_or_b32 exec_lo, exec_lo, s74
	v_mul_f32_e32 v11, s73, v14
	v_and_b32_e32 v14, 0x7f800000, v11
	v_cmp_ne_u32_e32 vcc_lo, 0x7f800000, v14
	v_mov_b32_e32 v14, 0x8000
	s_and_saveexec_b32 s73, vcc_lo
	s_cbranch_execz .LBB4_1173
; %bb.1399:                             ;   in Loop: Header=BB4_1174 Depth=3
	v_mov_b32_e32 v14, 0
	s_mov_b32 s74, exec_lo
	v_cmpx_ne_u32_e32 0, v11
	s_cbranch_execz .LBB4_1172
; %bb.1400:                             ;   in Loop: Header=BB4_1174 Depth=3
	v_bfe_u32 v14, v11, 23, 8
	v_and_b32_e32 v15, 0x7fffff, v11
	v_sub_nc_u32_e32 v51, 0x70, v14
	v_cmp_gt_u32_e32 vcc_lo, 0x71, v14
	v_or_b32_e32 v67, 0x800000, v15
	v_cndmask_b32_e32 v51, 0, v51, vcc_lo
	v_cmp_eq_u32_e32 vcc_lo, 0, v14
	v_add_nc_u32_e32 v14, 0xffffff91, v14
	v_cndmask_b32_e64 v51, v51, 0x6f, vcc_lo
	v_cndmask_b32_e32 v15, v67, v15, vcc_lo
	v_cndmask_b32_e64 v14, v14, 0xffffff92, vcc_lo
	v_lshl_add_u32 v67, 0x200000, v51, -1
	v_lshrrev_b32_e32 v68, v51, v15
	v_lshlrev_b32_e64 v80, v51, 0x100000
	v_add_nc_u32_e32 v51, v51, v14
	v_and_b32_e32 v15, v67, v15
	v_bfe_u32 v69, v68, 21, 1
	v_cmp_eq_u32_e64 s17, v15, v80
	v_add_nc_u32_e32 v67, -1, v69
	v_cndmask_b32_e64 v15, 0, v67, s17
	v_lshrrev_b32_e32 v67, 23, v68
	s_mov_b32 s17, exec_lo
	v_add_nc_u32_e32 v15, v15, v68
	v_xor_b32_e32 v67, 1, v67
	v_and_b32_e32 v14, 0x1fffff, v15
	v_add_nc_u32_e32 v15, v14, v68
                                        ; implicit-def: $vgpr14
	v_cmpx_ne_u32_e64 v51, v67
	s_xor_b32 s17, exec_lo, s17
; %bb.1401:                             ;   in Loop: Header=BB4_1174 Depth=3
	v_cmp_lt_u32_e32 vcc_lo, 0xffffff, v15
	v_sub_nc_u32_e32 v14, v51, v67
	v_cndmask_b32_e64 v51, 0, 1, vcc_lo
	v_add_co_ci_u32_e64 v14, null, 0, v14, vcc_lo
	v_lshrrev_b32_e32 v15, v51, v15
; %bb.1402:                             ;   in Loop: Header=BB4_1174 Depth=3
	s_andn2_saveexec_b32 s17, s17
	s_cbranch_execz .LBB4_1171
; %bb.1403:                             ;   in Loop: Header=BB4_1174 Depth=3
	v_bfe_u32 v14, v15, 23, 1
	s_branch .LBB4_1171
.LBB4_1404:                             ;   in Loop: Header=BB4_1174 Depth=3
	s_or_saveexec_b32 s74, s74
	v_mov_b32_e32 v1, 0x7f800001
	s_xor_b32 exec_lo, exec_lo, s74
	s_cbranch_execz .LBB4_1186
.LBB4_1405:                             ;   in Loop: Header=BB4_1174 Depth=3
	v_cmp_ne_u16_sdwa s75, v8, v2 src0_sel:BYTE_0 src1_sel:DWORD
	v_mov_b32_e32 v1, 0
	s_andn2_b32 s17, s17, exec_lo
	s_and_b32 s75, s75, exec_lo
	s_or_b32 s17, s17, s75
	s_or_b32 exec_lo, exec_lo, s74
	s_and_saveexec_b32 s74, s17
	s_cbranch_execnz .LBB4_1187
	s_branch .LBB4_1188
.LBB4_1406:                             ;   in Loop: Header=BB4_1174 Depth=3
	s_or_saveexec_b32 s74, s74
	v_mov_b32_e32 v1, 0x7f800001
	s_xor_b32 exec_lo, exec_lo, s74
	s_cbranch_execz .LBB4_1200
.LBB4_1407:                             ;   in Loop: Header=BB4_1174 Depth=3
	v_cmp_ne_u16_sdwa s75, v8, v2 src0_sel:BYTE_1 src1_sel:DWORD
	v_mov_b32_e32 v1, 0
	s_andn2_b32 s17, s17, exec_lo
	s_and_b32 s75, s75, exec_lo
	s_or_b32 s17, s17, s75
	s_or_b32 exec_lo, exec_lo, s74
	s_and_saveexec_b32 s74, s17
	s_cbranch_execnz .LBB4_1201
	s_branch .LBB4_1202
.LBB4_1408:                             ;   in Loop: Header=BB4_1174 Depth=3
	s_or_saveexec_b32 s74, s74
	v_mov_b32_e32 v1, 0x7f800001
	s_xor_b32 exec_lo, exec_lo, s74
	s_cbranch_execz .LBB4_1214
.LBB4_1409:                             ;   in Loop: Header=BB4_1174 Depth=3
	v_cmp_ne_u16_e32 vcc_lo, 0, v14
	v_mov_b32_e32 v1, 0
	s_andn2_b32 s17, s17, exec_lo
	s_and_b32 s75, vcc_lo, exec_lo
	s_or_b32 s17, s17, s75
	s_or_b32 exec_lo, exec_lo, s74
	s_and_saveexec_b32 s74, s17
	s_cbranch_execnz .LBB4_1215
	s_branch .LBB4_1216
.LBB4_1410:                             ;   in Loop: Header=BB4_1174 Depth=3
	s_or_saveexec_b32 s74, s74
	v_mov_b32_e32 v1, 0x7f800001
	s_xor_b32 exec_lo, exec_lo, s74
	s_cbranch_execz .LBB4_1228
.LBB4_1411:                             ;   in Loop: Header=BB4_1174 Depth=3
	v_cmp_ne_u16_sdwa s75, v8, v2 src0_sel:BYTE_3 src1_sel:DWORD
	v_mov_b32_e32 v1, 0
	s_andn2_b32 s17, s17, exec_lo
	s_and_b32 s75, s75, exec_lo
	s_or_b32 s17, s17, s75
	s_or_b32 exec_lo, exec_lo, s74
	s_and_saveexec_b32 s74, s17
	s_cbranch_execnz .LBB4_1229
	s_branch .LBB4_1230
.LBB4_1412:                             ;   in Loop: Header=BB4_1174 Depth=3
	s_or_saveexec_b32 s74, s74
	v_mov_b32_e32 v1, 0x7f800001
	s_xor_b32 exec_lo, exec_lo, s74
	s_cbranch_execz .LBB4_1242
.LBB4_1413:                             ;   in Loop: Header=BB4_1174 Depth=3
	v_cmp_ne_u16_sdwa s75, v9, v2 src0_sel:BYTE_0 src1_sel:DWORD
	v_mov_b32_e32 v1, 0
	s_andn2_b32 s17, s17, exec_lo
	s_and_b32 s75, s75, exec_lo
	s_or_b32 s17, s17, s75
	s_or_b32 exec_lo, exec_lo, s74
	s_and_saveexec_b32 s74, s17
	s_cbranch_execnz .LBB4_1243
	s_branch .LBB4_1244
.LBB4_1414:                             ;   in Loop: Header=BB4_1174 Depth=3
	s_or_saveexec_b32 s74, s74
	v_mov_b32_e32 v1, 0x7f800001
	s_xor_b32 exec_lo, exec_lo, s74
	s_cbranch_execz .LBB4_1256
.LBB4_1415:                             ;   in Loop: Header=BB4_1174 Depth=3
	v_cmp_ne_u16_sdwa s75, v9, v2 src0_sel:BYTE_1 src1_sel:DWORD
	v_mov_b32_e32 v1, 0
	s_andn2_b32 s17, s17, exec_lo
	s_and_b32 s75, s75, exec_lo
	s_or_b32 s17, s17, s75
	s_or_b32 exec_lo, exec_lo, s74
	s_and_saveexec_b32 s74, s17
	s_cbranch_execnz .LBB4_1257
	s_branch .LBB4_1258
.LBB4_1416:                             ;   in Loop: Header=BB4_1174 Depth=3
	s_or_saveexec_b32 s74, s74
	v_mov_b32_e32 v1, 0x7f800001
	s_xor_b32 exec_lo, exec_lo, s74
	s_cbranch_execz .LBB4_1270
.LBB4_1417:                             ;   in Loop: Header=BB4_1174 Depth=3
	v_cmp_ne_u16_e32 vcc_lo, 0, v14
	v_mov_b32_e32 v1, 0
	s_andn2_b32 s17, s17, exec_lo
	s_and_b32 s75, vcc_lo, exec_lo
	s_or_b32 s17, s17, s75
	s_or_b32 exec_lo, exec_lo, s74
	s_and_saveexec_b32 s74, s17
	s_cbranch_execnz .LBB4_1271
	s_branch .LBB4_1272
.LBB4_1418:                             ;   in Loop: Header=BB4_1174 Depth=3
	s_or_saveexec_b32 s74, s74
	v_mov_b32_e32 v1, 0x7f800001
	s_xor_b32 exec_lo, exec_lo, s74
	s_cbranch_execz .LBB4_1284
.LBB4_1419:                             ;   in Loop: Header=BB4_1174 Depth=3
	v_cmp_ne_u16_sdwa s75, v9, v2 src0_sel:BYTE_3 src1_sel:DWORD
	v_mov_b32_e32 v1, 0
	s_andn2_b32 s17, s17, exec_lo
	s_and_b32 s75, s75, exec_lo
	s_or_b32 s17, s17, s75
	s_or_b32 exec_lo, exec_lo, s74
	s_and_saveexec_b32 s74, s17
	s_cbranch_execnz .LBB4_1285
	s_branch .LBB4_1286
.LBB4_1420:                             ;   in Loop: Header=BB4_1174 Depth=3
	s_or_saveexec_b32 s74, s74
	v_mov_b32_e32 v1, 0x7f800001
	s_xor_b32 exec_lo, exec_lo, s74
	s_cbranch_execz .LBB4_1298
.LBB4_1421:                             ;   in Loop: Header=BB4_1174 Depth=3
	v_cmp_ne_u16_sdwa s75, v10, v2 src0_sel:BYTE_0 src1_sel:DWORD
	v_mov_b32_e32 v1, 0
	s_andn2_b32 s17, s17, exec_lo
	s_and_b32 s75, s75, exec_lo
	s_or_b32 s17, s17, s75
	s_or_b32 exec_lo, exec_lo, s74
	s_and_saveexec_b32 s74, s17
	s_cbranch_execnz .LBB4_1299
	s_branch .LBB4_1300
.LBB4_1422:                             ;   in Loop: Header=BB4_1174 Depth=3
	s_or_saveexec_b32 s74, s74
	v_mov_b32_e32 v14, 0x7f800001
	s_xor_b32 exec_lo, exec_lo, s74
	s_cbranch_execz .LBB4_1312
.LBB4_1423:                             ;   in Loop: Header=BB4_1174 Depth=3
	v_cmp_ne_u16_sdwa s75, v10, v2 src0_sel:BYTE_1 src1_sel:DWORD
	v_mov_b32_e32 v14, 0
	s_andn2_b32 s17, s17, exec_lo
	s_and_b32 s75, s75, exec_lo
	s_or_b32 s17, s17, s75
	s_or_b32 exec_lo, exec_lo, s74
	s_and_saveexec_b32 s74, s17
	s_cbranch_execnz .LBB4_1313
	s_branch .LBB4_1314
.LBB4_1424:                             ;   in Loop: Header=BB4_1174 Depth=3
	s_or_saveexec_b32 s74, s74
	v_mov_b32_e32 v14, 0x7f800001
	s_xor_b32 exec_lo, exec_lo, s74
	s_cbranch_execz .LBB4_1326
.LBB4_1425:                             ;   in Loop: Header=BB4_1174 Depth=3
	v_cmp_ne_u16_e32 vcc_lo, 0, v15
	v_mov_b32_e32 v14, 0
	s_andn2_b32 s17, s17, exec_lo
	s_and_b32 s75, vcc_lo, exec_lo
	s_or_b32 s17, s17, s75
	s_or_b32 exec_lo, exec_lo, s74
	s_and_saveexec_b32 s74, s17
	s_cbranch_execnz .LBB4_1327
	s_branch .LBB4_1328
.LBB4_1426:                             ;   in Loop: Header=BB4_1174 Depth=3
	s_or_saveexec_b32 s74, s74
	v_mov_b32_e32 v14, 0x7f800001
	s_xor_b32 exec_lo, exec_lo, s74
	s_cbranch_execz .LBB4_1340
.LBB4_1427:                             ;   in Loop: Header=BB4_1174 Depth=3
	v_cmp_ne_u16_sdwa s75, v10, v2 src0_sel:BYTE_3 src1_sel:DWORD
	v_mov_b32_e32 v14, 0
	s_andn2_b32 s17, s17, exec_lo
	s_and_b32 s75, s75, exec_lo
	s_or_b32 s17, s17, s75
	s_or_b32 exec_lo, exec_lo, s74
	s_and_saveexec_b32 s74, s17
	s_cbranch_execnz .LBB4_1341
	s_branch .LBB4_1342
.LBB4_1428:                             ;   in Loop: Header=BB4_1174 Depth=3
	s_or_saveexec_b32 s74, s74
	v_mov_b32_e32 v14, 0x7f800001
	s_xor_b32 exec_lo, exec_lo, s74
	s_cbranch_execz .LBB4_1354
.LBB4_1429:                             ;   in Loop: Header=BB4_1174 Depth=3
	v_cmp_ne_u16_sdwa s75, v11, v2 src0_sel:BYTE_0 src1_sel:DWORD
	v_mov_b32_e32 v14, 0
	s_andn2_b32 s17, s17, exec_lo
	s_and_b32 s75, s75, exec_lo
	s_or_b32 s17, s17, s75
	s_or_b32 exec_lo, exec_lo, s74
	s_and_saveexec_b32 s74, s17
	s_cbranch_execnz .LBB4_1355
	s_branch .LBB4_1356
.LBB4_1430:                             ;   in Loop: Header=BB4_1174 Depth=3
	s_or_saveexec_b32 s74, s74
	v_mov_b32_e32 v14, 0x7f800001
	s_xor_b32 exec_lo, exec_lo, s74
	s_cbranch_execz .LBB4_1368
.LBB4_1431:                             ;   in Loop: Header=BB4_1174 Depth=3
	v_cmp_ne_u16_sdwa s75, v11, v2 src0_sel:BYTE_1 src1_sel:DWORD
	v_mov_b32_e32 v14, 0
	s_andn2_b32 s17, s17, exec_lo
	s_and_b32 s75, s75, exec_lo
	s_or_b32 s17, s17, s75
	s_or_b32 exec_lo, exec_lo, s74
	s_and_saveexec_b32 s74, s17
	s_cbranch_execnz .LBB4_1369
	s_branch .LBB4_1370
.LBB4_1432:                             ;   in Loop: Header=BB4_1174 Depth=3
	s_or_saveexec_b32 s74, s74
	v_mov_b32_e32 v14, 0x7f800001
	s_xor_b32 exec_lo, exec_lo, s74
	s_cbranch_execz .LBB4_1382
.LBB4_1433:                             ;   in Loop: Header=BB4_1174 Depth=3
	v_cmp_ne_u16_e32 vcc_lo, 0, v15
	v_mov_b32_e32 v14, 0
	s_andn2_b32 s17, s17, exec_lo
	s_and_b32 s75, vcc_lo, exec_lo
	s_or_b32 s17, s17, s75
	s_or_b32 exec_lo, exec_lo, s74
	s_and_saveexec_b32 s74, s17
	s_cbranch_execnz .LBB4_1383
	s_branch .LBB4_1384
.LBB4_1434:                             ;   in Loop: Header=BB4_1174 Depth=3
	s_or_saveexec_b32 s74, s74
	v_mov_b32_e32 v14, 0x7f800001
	s_xor_b32 exec_lo, exec_lo, s74
	s_cbranch_execz .LBB4_1396
.LBB4_1435:                             ;   in Loop: Header=BB4_1174 Depth=3
	v_cmp_ne_u16_sdwa s75, v11, v2 src0_sel:BYTE_3 src1_sel:DWORD
	v_mov_b32_e32 v14, 0
	s_andn2_b32 s17, s17, exec_lo
	s_and_b32 s75, s75, exec_lo
	s_or_b32 s17, s17, s75
	s_or_b32 exec_lo, exec_lo, s74
	s_and_saveexec_b32 s74, s17
	s_cbranch_execnz .LBB4_1397
	s_branch .LBB4_1398
.LBB4_1436:                             ;   in Loop: Header=BB4_57 Depth=2
	s_or_b32 exec_lo, exec_lo, s62
.LBB4_1437:                             ;   in Loop: Header=BB4_57 Depth=2
	s_or_b32 exec_lo, exec_lo, s61
	v_and_b32_e32 v1, 15, v3
	v_cmp_lt_i32_e32 vcc_lo, 0, v17
	v_sub_nc_u32_e32 v8, v16, v1
	v_cndmask_b32_e32 v9, 0, v87, vcc_lo
	v_cndmask_b32_e64 v10, v16, v1, s16
	v_cndmask_b32_e64 v1, 0, v8, s16
	v_sub_nc_u32_e32 v8, v9, v17
	v_cmp_ne_u32_e32 vcc_lo, 0, v10
	v_add3_u32 v4, v4, v5, v1
	v_lshl_add_u32 v11, v8, 5, v13
	s_and_b32 s16, vcc_lo, exec_lo
.LBB4_1438:                             ;   in Loop: Header=BB4_57 Depth=2
	s_or_b32 exec_lo, exec_lo, s23
	s_and_saveexec_b32 s17, s16
	s_cbranch_execz .LBB4_1735
.LBB4_1439:                             ;   in Loop: Header=BB4_57 Depth=2
	v_ashrrev_i32_e32 v1, 31, v11
	v_ashrrev_i32_e32 v5, 31, v10
	s_mov_b32 s23, exec_lo
	v_lshrrev_b32_e32 v1, 27, v1
	v_lshrrev_b32_e32 v5, 23, v5
	v_add_nc_u32_e32 v1, v11, v1
	v_add_nc_u32_e32 v8, v10, v5
	v_ashrrev_i32_e32 v5, 5, v1
	v_ashrrev_i32_e32 v16, 9, v8
	v_sub_nc_u32_e32 v13, v16, v5
	v_cmpx_lt_i32_e32 0, v13
	s_cbranch_execz .LBB4_1707
; %bb.1440:                             ;   in Loop: Header=BB4_57 Depth=2
	v_and_b32_e32 v1, 0xffffffe0, v1
	v_lshlrev_b32_e32 v8, 9, v5
	s_mov_b32 s61, 0
	v_sub_nc_u32_e32 v1, v11, v1
	v_add3_u32 v17, v4, v1, v8
	v_ashrrev_i32_e32 v18, 31, v17
	s_branch .LBB4_1444
.LBB4_1441:                             ;   in Loop: Header=BB4_1444 Depth=3
	s_or_b32 exec_lo, exec_lo, s16
	v_lshrrev_b32_e32 v14, 21, v14
	v_cmp_gt_i32_e32 vcc_lo, 32, v9
	v_min_i32_e32 v15, 31, v9
	v_and_b32_sdwa v8, v8, v101 dst_sel:DWORD dst_unused:UNUSED_PAD src0_sel:BYTE_3 src1_sel:DWORD
	v_cndmask_b32_e32 v14, 3, v14, vcc_lo
	v_lshlrev_b32_e32 v15, 2, v15
	v_and_b32_e32 v19, 3, v14
	v_or_b32_e32 v9, v9, v14
	v_or3_b32 v8, v15, v8, v19
	v_cmp_ne_u32_e32 vcc_lo, 0, v9
	v_cndmask_b32_e32 v9, 0, v8, vcc_lo
.LBB4_1442:                             ;   in Loop: Header=BB4_1444 Depth=3
	s_or_b32 exec_lo, exec_lo, s63
.LBB4_1443:                             ;   in Loop: Header=BB4_1444 Depth=3
	s_or_b32 exec_lo, exec_lo, s62
	v_sub_nc_u32_e32 v13, v13, v87
	v_add_co_u32 v14, vcc_lo, v17, v54
	v_add_co_ci_u32_e64 v15, null, v18, v55, vcc_lo
	v_add_co_u32 v52, vcc_lo, v52, v117
	v_add_co_ci_u32_e64 v53, null, 0, v53, vcc_lo
	v_cmp_gt_i32_e32 vcc_lo, 1, v13
	v_add_co_u32 v54, s16, v54, v117
	v_add_co_ci_u32_e64 v55, null, 0, v55, s16
	s_or_b32 s61, vcc_lo, s61
	flat_store_byte v[14:15], v20 glc slc
	flat_store_byte v[14:15], v21 offset:32 glc slc
	flat_store_byte v[14:15], v30 offset:64 glc slc
	;; [unrolled: 1-line block ×15, first 2 shown]
	s_andn2_b32 exec_lo, exec_lo, s61
	s_cbranch_execz .LBB4_1706
.LBB4_1444:                             ;   Parent Loop BB4_47 Depth=1
                                        ;     Parent Loop BB4_57 Depth=2
                                        ; =>    This Inner Loop Header: Depth=3
	s_trap 2
	ds_read_b64 v[8:9], v0
	s_waitcnt lgkmcnt(0)
	v_readfirstlane_b32 s16, v8
	s_and_b32 s62, s16, 0xff
	s_cmpk_lt_i32 s62, 0x80
	s_cbranch_scc1 .LBB4_1448
; %bb.1445:                             ;   in Loop: Header=BB4_1444 Depth=3
	s_and_b32 s63, 0xffff, s62
	s_cmpk_eq_i32 s63, 0x80
	s_mov_b32 s63, -1
	s_cbranch_scc0 .LBB4_1447
; %bb.1446:                             ;   in Loop: Header=BB4_1444 Depth=3
	s_mov_b32 s63, 0
.LBB4_1447:                             ;   in Loop: Header=BB4_1444 Depth=3
	s_mov_b32 s72, 0x7f800001
	s_branch .LBB4_1450
.LBB4_1448:                             ;   in Loop: Header=BB4_1444 Depth=3
	s_mov_b32 s63, 0
	s_mov_b32 s72, 0x7f800001
	s_cbranch_execz .LBB4_1450
; %bb.1449:                             ;   in Loop: Header=BB4_1444 Depth=3
	s_and_b32 s62, 0xffff, s62
	s_mov_b32 s72, 0
	s_cmp_lg_u32 s62, 0
	s_cselect_b32 s63, -1, 0
.LBB4_1450:                             ;   in Loop: Header=BB4_1444 Depth=3
	v_mov_b32_e32 v19, s72
	s_andn2_b32 vcc_lo, exec_lo, s63
	s_cbranch_vccnz .LBB4_1452
; %bb.1451:                             ;   in Loop: Header=BB4_1444 Depth=3
	s_and_b32 s62, s16, 3
	s_bfe_u32 s72, s16, 0x50002
	s_flbit_i32_b32 s63, s62
	v_lshlrev_b32_e32 v1, 24, v8
	s_min_u32 s63, s63, 32
	s_sub_i32 s73, s63, 29
	s_sub_i32 s63, 30, s63
	s_lshl_b32 s16, s16, s73
	v_and_b32_e32 v1, 0x80000000, v1
	s_and_b32 s16, s16, 3
	s_cmp_eq_u32 s72, 0
	s_cselect_b32 s63, s63, s72
	s_cselect_b32 s16, s16, s62
	s_lshl_b32 s62, s63, 23
	s_lshl_b32 s16, s16, 21
	s_add_i32 s62, s62, 0x37800000
	v_or_b32_e32 v1, s62, v1
	v_or_b32_e32 v19, s16, v1
.LBB4_1452:                             ;   in Loop: Header=BB4_1444 Depth=3
	v_add_co_u32 v8, vcc_lo, v17, v52
	v_add_co_ci_u32_e64 v9, null, v18, v53, vcc_lo
	s_mov_b32 s16, 0
	s_mov_b32 s62, exec_lo
	flat_load_ubyte v1, v[8:9] slc
	s_waitcnt vmcnt(0) lgkmcnt(0)
	v_cmpx_lt_i16_e32 0x7f, v1
	s_xor_b32 s62, exec_lo, s62
	s_cbranch_execz .LBB4_1674
; %bb.1453:                             ;   in Loop: Header=BB4_1444 Depth=3
	s_mov_b32 s16, -1
	s_mov_b32 s63, exec_lo
	v_cmpx_eq_u16_e32 0x80, v1
; %bb.1454:                             ;   in Loop: Header=BB4_1444 Depth=3
	s_xor_b32 s16, exec_lo, -1
; %bb.1455:                             ;   in Loop: Header=BB4_1444 Depth=3
	s_or_b32 exec_lo, exec_lo, s63
	s_and_b32 s16, s16, exec_lo
	s_or_saveexec_b32 s62, s62
	v_mov_b32_e32 v14, 0x7f800001
	s_xor_b32 exec_lo, exec_lo, s62
	s_cbranch_execnz .LBB4_1675
.LBB4_1456:                             ;   in Loop: Header=BB4_1444 Depth=3
	s_or_b32 exec_lo, exec_lo, s62
	s_and_saveexec_b32 s62, s16
	s_cbranch_execz .LBB4_1458
.LBB4_1457:                             ;   in Loop: Header=BB4_1444 Depth=3
	v_and_b32_e32 v14, 0xffff, v1
	v_lshlrev_b32_e32 v1, 24, v1
	v_and_b32_e32 v15, 3, v14
	v_bfe_u32 v30, v14, 2, 5
	v_and_b32_e32 v1, 0x80000000, v1
	v_ffbh_u32_e32 v20, v15
	v_cmp_eq_u32_e32 vcc_lo, 0, v30
	v_min_u32_e32 v20, 32, v20
	v_subrev_nc_u32_e32 v21, 29, v20
	v_sub_nc_u32_e32 v20, 30, v20
	v_lshlrev_b32_e32 v14, v21, v14
	v_cndmask_b32_e32 v20, v30, v20, vcc_lo
	v_and_b32_e32 v14, 3, v14
	v_cndmask_b32_e32 v14, v15, v14, vcc_lo
	v_lshl_add_u32 v15, v20, 23, 0x37800000
	v_lshlrev_b32_e32 v14, 21, v14
	v_or3_b32 v14, v1, v15, v14
.LBB4_1458:                             ;   in Loop: Header=BB4_1444 Depth=3
	s_or_b32 exec_lo, exec_lo, s62
	v_mul_f32_e32 v1, v19, v14
	v_mov_b32_e32 v20, 0x80
	s_mov_b32 s62, exec_lo
	v_and_b32_e32 v14, 0x7f800000, v1
	v_cmpx_ne_u32_e32 0x7f800000, v14
	s_cbranch_execz .LBB4_1466
; %bb.1459:                             ;   in Loop: Header=BB4_1444 Depth=3
	v_mov_b32_e32 v20, 0
	s_mov_b32 s63, exec_lo
	v_cmpx_ne_u32_e32 0, v1
	s_cbranch_execz .LBB4_1465
; %bb.1460:                             ;   in Loop: Header=BB4_1444 Depth=3
	v_bfe_u32 v14, v1, 23, 8
	v_and_b32_e32 v15, 0x7fffff, v1
	v_sub_nc_u32_e32 v20, 0x70, v14
	v_cmp_gt_u32_e32 vcc_lo, 0x71, v14
	v_or_b32_e32 v21, 0x800000, v15
	v_cndmask_b32_e32 v20, 0, v20, vcc_lo
	v_cmp_eq_u32_e32 vcc_lo, 0, v14
	v_add_nc_u32_e32 v14, 0xffffff91, v14
	v_cndmask_b32_e64 v20, v20, 0x6f, vcc_lo
	v_cndmask_b32_e32 v15, v21, v15, vcc_lo
	v_cndmask_b32_e64 v14, v14, 0xffffff92, vcc_lo
	v_lshl_add_u32 v21, 0x200000, v20, -1
	v_lshrrev_b32_e32 v30, v20, v15
	v_lshlrev_b32_e64 v34, v20, 0x100000
	v_add_nc_u32_e32 v20, v20, v14
	v_and_b32_e32 v15, v21, v15
	v_bfe_u32 v31, v30, 21, 1
	v_cmp_eq_u32_e64 s16, v15, v34
	v_add_nc_u32_e32 v21, -1, v31
	v_cndmask_b32_e64 v15, 0, v21, s16
	v_lshrrev_b32_e32 v21, 23, v30
	s_mov_b32 s16, exec_lo
	v_add_nc_u32_e32 v15, v15, v30
	v_xor_b32_e32 v21, 1, v21
	v_and_b32_e32 v14, 0x1fffff, v15
	v_add_nc_u32_e32 v15, v14, v30
                                        ; implicit-def: $vgpr14
	v_cmpx_ne_u32_e64 v20, v21
	s_xor_b32 s16, exec_lo, s16
; %bb.1461:                             ;   in Loop: Header=BB4_1444 Depth=3
	v_cmp_lt_u32_e32 vcc_lo, 0xffffff, v15
	v_sub_nc_u32_e32 v14, v20, v21
	v_cndmask_b32_e64 v20, 0, 1, vcc_lo
	v_add_co_ci_u32_e64 v14, null, 0, v14, vcc_lo
	v_lshrrev_b32_e32 v15, v20, v15
; %bb.1462:                             ;   in Loop: Header=BB4_1444 Depth=3
	s_andn2_saveexec_b32 s16, s16
; %bb.1463:                             ;   in Loop: Header=BB4_1444 Depth=3
	v_bfe_u32 v14, v15, 23, 1
; %bb.1464:                             ;   in Loop: Header=BB4_1444 Depth=3
	s_or_b32 exec_lo, exec_lo, s16
	v_lshrrev_b32_e32 v15, 21, v15
	v_cmp_gt_i32_e32 vcc_lo, 32, v14
	v_min_i32_e32 v20, 31, v14
	v_and_b32_sdwa v1, v1, v101 dst_sel:DWORD dst_unused:UNUSED_PAD src0_sel:BYTE_3 src1_sel:DWORD
	v_cndmask_b32_e32 v15, 3, v15, vcc_lo
	v_lshlrev_b32_e32 v20, 2, v20
	v_and_b32_e32 v21, 3, v15
	v_or_b32_e32 v14, v14, v15
	v_or3_b32 v1, v20, v1, v21
	v_cmp_ne_u32_e32 vcc_lo, 0, v14
	v_cndmask_b32_e32 v20, 0, v1, vcc_lo
.LBB4_1465:                             ;   in Loop: Header=BB4_1444 Depth=3
	s_or_b32 exec_lo, exec_lo, s63
.LBB4_1466:                             ;   in Loop: Header=BB4_1444 Depth=3
	s_or_b32 exec_lo, exec_lo, s62
	flat_load_ubyte v1, v[8:9] offset:32 slc
	s_mov_b32 s16, 0
	s_mov_b32 s62, exec_lo
	s_waitcnt vmcnt(0) lgkmcnt(0)
	v_cmpx_lt_i16_e32 0x7f, v1
	s_xor_b32 s62, exec_lo, s62
	s_cbranch_execz .LBB4_1676
; %bb.1467:                             ;   in Loop: Header=BB4_1444 Depth=3
	s_mov_b32 s16, -1
	s_mov_b32 s63, exec_lo
	v_cmpx_eq_u16_e32 0x80, v1
; %bb.1468:                             ;   in Loop: Header=BB4_1444 Depth=3
	s_xor_b32 s16, exec_lo, -1
; %bb.1469:                             ;   in Loop: Header=BB4_1444 Depth=3
	s_or_b32 exec_lo, exec_lo, s63
	s_and_b32 s16, s16, exec_lo
	s_or_saveexec_b32 s62, s62
	v_mov_b32_e32 v14, 0x7f800001
	s_xor_b32 exec_lo, exec_lo, s62
	s_cbranch_execnz .LBB4_1677
.LBB4_1470:                             ;   in Loop: Header=BB4_1444 Depth=3
	s_or_b32 exec_lo, exec_lo, s62
	s_and_saveexec_b32 s62, s16
	s_cbranch_execz .LBB4_1472
.LBB4_1471:                             ;   in Loop: Header=BB4_1444 Depth=3
	v_and_b32_e32 v14, 0xffff, v1
	v_lshlrev_b32_e32 v1, 24, v1
	v_and_b32_e32 v15, 3, v14
	v_bfe_u32 v31, v14, 2, 5
	v_and_b32_e32 v1, 0x80000000, v1
	v_ffbh_u32_e32 v21, v15
	v_cmp_eq_u32_e32 vcc_lo, 0, v31
	v_min_u32_e32 v21, 32, v21
	v_subrev_nc_u32_e32 v30, 29, v21
	v_sub_nc_u32_e32 v21, 30, v21
	v_lshlrev_b32_e32 v14, v30, v14
	v_cndmask_b32_e32 v21, v31, v21, vcc_lo
	v_and_b32_e32 v14, 3, v14
	v_cndmask_b32_e32 v14, v15, v14, vcc_lo
	v_lshl_add_u32 v15, v21, 23, 0x37800000
	v_lshlrev_b32_e32 v14, 21, v14
	v_or3_b32 v14, v1, v15, v14
.LBB4_1472:                             ;   in Loop: Header=BB4_1444 Depth=3
	s_or_b32 exec_lo, exec_lo, s62
	v_mul_f32_e32 v1, v19, v14
	v_mov_b32_e32 v21, 0x80
	s_mov_b32 s62, exec_lo
	v_and_b32_e32 v14, 0x7f800000, v1
	v_cmpx_ne_u32_e32 0x7f800000, v14
	s_cbranch_execz .LBB4_1480
; %bb.1473:                             ;   in Loop: Header=BB4_1444 Depth=3
	v_mov_b32_e32 v21, 0
	s_mov_b32 s63, exec_lo
	v_cmpx_ne_u32_e32 0, v1
	s_cbranch_execz .LBB4_1479
; %bb.1474:                             ;   in Loop: Header=BB4_1444 Depth=3
	v_bfe_u32 v14, v1, 23, 8
	v_and_b32_e32 v15, 0x7fffff, v1
	v_sub_nc_u32_e32 v21, 0x70, v14
	v_cmp_gt_u32_e32 vcc_lo, 0x71, v14
	v_or_b32_e32 v30, 0x800000, v15
	v_cndmask_b32_e32 v21, 0, v21, vcc_lo
	v_cmp_eq_u32_e32 vcc_lo, 0, v14
	v_add_nc_u32_e32 v14, 0xffffff91, v14
	v_cndmask_b32_e64 v21, v21, 0x6f, vcc_lo
	v_cndmask_b32_e32 v15, v30, v15, vcc_lo
	v_cndmask_b32_e64 v14, v14, 0xffffff92, vcc_lo
	v_lshl_add_u32 v30, 0x200000, v21, -1
	v_lshrrev_b32_e32 v31, v21, v15
	v_lshlrev_b32_e64 v35, v21, 0x100000
	v_add_nc_u32_e32 v21, v21, v14
	v_and_b32_e32 v15, v30, v15
	v_bfe_u32 v34, v31, 21, 1
	v_cmp_eq_u32_e64 s16, v15, v35
	v_add_nc_u32_e32 v30, -1, v34
	v_cndmask_b32_e64 v15, 0, v30, s16
	v_lshrrev_b32_e32 v30, 23, v31
	s_mov_b32 s16, exec_lo
	v_add_nc_u32_e32 v15, v15, v31
	v_xor_b32_e32 v30, 1, v30
	v_and_b32_e32 v14, 0x1fffff, v15
	v_add_nc_u32_e32 v15, v14, v31
                                        ; implicit-def: $vgpr14
	v_cmpx_ne_u32_e64 v21, v30
	s_xor_b32 s16, exec_lo, s16
; %bb.1475:                             ;   in Loop: Header=BB4_1444 Depth=3
	v_cmp_lt_u32_e32 vcc_lo, 0xffffff, v15
	v_sub_nc_u32_e32 v14, v21, v30
	v_cndmask_b32_e64 v21, 0, 1, vcc_lo
	v_add_co_ci_u32_e64 v14, null, 0, v14, vcc_lo
	v_lshrrev_b32_e32 v15, v21, v15
; %bb.1476:                             ;   in Loop: Header=BB4_1444 Depth=3
	s_andn2_saveexec_b32 s16, s16
; %bb.1477:                             ;   in Loop: Header=BB4_1444 Depth=3
	v_bfe_u32 v14, v15, 23, 1
; %bb.1478:                             ;   in Loop: Header=BB4_1444 Depth=3
	s_or_b32 exec_lo, exec_lo, s16
	v_lshrrev_b32_e32 v15, 21, v15
	v_cmp_gt_i32_e32 vcc_lo, 32, v14
	v_min_i32_e32 v21, 31, v14
	v_and_b32_sdwa v1, v1, v101 dst_sel:DWORD dst_unused:UNUSED_PAD src0_sel:BYTE_3 src1_sel:DWORD
	v_cndmask_b32_e32 v15, 3, v15, vcc_lo
	v_lshlrev_b32_e32 v21, 2, v21
	v_and_b32_e32 v30, 3, v15
	v_or_b32_e32 v14, v14, v15
	v_or3_b32 v1, v21, v1, v30
	v_cmp_ne_u32_e32 vcc_lo, 0, v14
	v_cndmask_b32_e32 v21, 0, v1, vcc_lo
.LBB4_1479:                             ;   in Loop: Header=BB4_1444 Depth=3
	s_or_b32 exec_lo, exec_lo, s63
.LBB4_1480:                             ;   in Loop: Header=BB4_1444 Depth=3
	s_or_b32 exec_lo, exec_lo, s62
	flat_load_ubyte v1, v[8:9] offset:64 slc
	s_mov_b32 s16, 0
	s_mov_b32 s62, exec_lo
	s_waitcnt vmcnt(0) lgkmcnt(0)
	v_cmpx_lt_i16_e32 0x7f, v1
	s_xor_b32 s62, exec_lo, s62
	s_cbranch_execz .LBB4_1678
; %bb.1481:                             ;   in Loop: Header=BB4_1444 Depth=3
	s_mov_b32 s16, -1
	s_mov_b32 s63, exec_lo
	v_cmpx_eq_u16_e32 0x80, v1
; %bb.1482:                             ;   in Loop: Header=BB4_1444 Depth=3
	s_xor_b32 s16, exec_lo, -1
; %bb.1483:                             ;   in Loop: Header=BB4_1444 Depth=3
	s_or_b32 exec_lo, exec_lo, s63
	s_and_b32 s16, s16, exec_lo
	s_or_saveexec_b32 s62, s62
	v_mov_b32_e32 v14, 0x7f800001
	s_xor_b32 exec_lo, exec_lo, s62
	s_cbranch_execnz .LBB4_1679
.LBB4_1484:                             ;   in Loop: Header=BB4_1444 Depth=3
	s_or_b32 exec_lo, exec_lo, s62
	s_and_saveexec_b32 s62, s16
	s_cbranch_execz .LBB4_1486
.LBB4_1485:                             ;   in Loop: Header=BB4_1444 Depth=3
	v_and_b32_e32 v14, 0xffff, v1
	v_lshlrev_b32_e32 v1, 24, v1
	v_and_b32_e32 v15, 3, v14
	v_bfe_u32 v34, v14, 2, 5
	v_and_b32_e32 v1, 0x80000000, v1
	v_ffbh_u32_e32 v30, v15
	v_cmp_eq_u32_e32 vcc_lo, 0, v34
	v_min_u32_e32 v30, 32, v30
	v_subrev_nc_u32_e32 v31, 29, v30
	v_sub_nc_u32_e32 v30, 30, v30
	v_lshlrev_b32_e32 v14, v31, v14
	v_cndmask_b32_e32 v30, v34, v30, vcc_lo
	v_and_b32_e32 v14, 3, v14
	v_cndmask_b32_e32 v14, v15, v14, vcc_lo
	v_lshl_add_u32 v15, v30, 23, 0x37800000
	v_lshlrev_b32_e32 v14, 21, v14
	v_or3_b32 v14, v1, v15, v14
.LBB4_1486:                             ;   in Loop: Header=BB4_1444 Depth=3
	s_or_b32 exec_lo, exec_lo, s62
	v_mul_f32_e32 v1, v19, v14
	v_mov_b32_e32 v30, 0x80
	s_mov_b32 s62, exec_lo
	v_and_b32_e32 v14, 0x7f800000, v1
	v_cmpx_ne_u32_e32 0x7f800000, v14
	s_cbranch_execz .LBB4_1494
; %bb.1487:                             ;   in Loop: Header=BB4_1444 Depth=3
	v_mov_b32_e32 v30, 0
	s_mov_b32 s63, exec_lo
	v_cmpx_ne_u32_e32 0, v1
	s_cbranch_execz .LBB4_1493
; %bb.1488:                             ;   in Loop: Header=BB4_1444 Depth=3
	v_bfe_u32 v14, v1, 23, 8
	v_and_b32_e32 v15, 0x7fffff, v1
	v_sub_nc_u32_e32 v30, 0x70, v14
	v_cmp_gt_u32_e32 vcc_lo, 0x71, v14
	v_or_b32_e32 v31, 0x800000, v15
	v_cndmask_b32_e32 v30, 0, v30, vcc_lo
	v_cmp_eq_u32_e32 vcc_lo, 0, v14
	v_add_nc_u32_e32 v14, 0xffffff91, v14
	v_cndmask_b32_e64 v30, v30, 0x6f, vcc_lo
	v_cndmask_b32_e32 v15, v31, v15, vcc_lo
	v_cndmask_b32_e64 v14, v14, 0xffffff92, vcc_lo
	v_lshl_add_u32 v31, 0x200000, v30, -1
	v_lshrrev_b32_e32 v34, v30, v15
	v_lshlrev_b32_e64 v36, v30, 0x100000
	v_add_nc_u32_e32 v30, v30, v14
	v_and_b32_e32 v15, v31, v15
	v_bfe_u32 v35, v34, 21, 1
	v_cmp_eq_u32_e64 s16, v15, v36
	v_add_nc_u32_e32 v31, -1, v35
	v_cndmask_b32_e64 v15, 0, v31, s16
	v_lshrrev_b32_e32 v31, 23, v34
	s_mov_b32 s16, exec_lo
	v_add_nc_u32_e32 v15, v15, v34
	v_xor_b32_e32 v31, 1, v31
	v_and_b32_e32 v14, 0x1fffff, v15
	v_add_nc_u32_e32 v15, v14, v34
                                        ; implicit-def: $vgpr14
	v_cmpx_ne_u32_e64 v30, v31
	s_xor_b32 s16, exec_lo, s16
; %bb.1489:                             ;   in Loop: Header=BB4_1444 Depth=3
	v_cmp_lt_u32_e32 vcc_lo, 0xffffff, v15
	v_sub_nc_u32_e32 v14, v30, v31
	v_cndmask_b32_e64 v30, 0, 1, vcc_lo
	v_add_co_ci_u32_e64 v14, null, 0, v14, vcc_lo
	v_lshrrev_b32_e32 v15, v30, v15
; %bb.1490:                             ;   in Loop: Header=BB4_1444 Depth=3
	s_andn2_saveexec_b32 s16, s16
; %bb.1491:                             ;   in Loop: Header=BB4_1444 Depth=3
	v_bfe_u32 v14, v15, 23, 1
; %bb.1492:                             ;   in Loop: Header=BB4_1444 Depth=3
	s_or_b32 exec_lo, exec_lo, s16
	v_lshrrev_b32_e32 v15, 21, v15
	v_cmp_gt_i32_e32 vcc_lo, 32, v14
	v_min_i32_e32 v30, 31, v14
	v_and_b32_sdwa v1, v1, v101 dst_sel:DWORD dst_unused:UNUSED_PAD src0_sel:BYTE_3 src1_sel:DWORD
	v_cndmask_b32_e32 v15, 3, v15, vcc_lo
	v_lshlrev_b32_e32 v30, 2, v30
	v_and_b32_e32 v31, 3, v15
	v_or_b32_e32 v14, v14, v15
	v_or3_b32 v1, v30, v1, v31
	v_cmp_ne_u32_e32 vcc_lo, 0, v14
	v_cndmask_b32_e32 v30, 0, v1, vcc_lo
.LBB4_1493:                             ;   in Loop: Header=BB4_1444 Depth=3
	s_or_b32 exec_lo, exec_lo, s63
.LBB4_1494:                             ;   in Loop: Header=BB4_1444 Depth=3
	s_or_b32 exec_lo, exec_lo, s62
	flat_load_ubyte v1, v[8:9] offset:96 slc
	s_mov_b32 s16, 0
	s_mov_b32 s62, exec_lo
	s_waitcnt vmcnt(0) lgkmcnt(0)
	v_cmpx_lt_i16_e32 0x7f, v1
	s_xor_b32 s62, exec_lo, s62
	s_cbranch_execz .LBB4_1680
; %bb.1495:                             ;   in Loop: Header=BB4_1444 Depth=3
	s_mov_b32 s16, -1
	s_mov_b32 s63, exec_lo
	v_cmpx_eq_u16_e32 0x80, v1
; %bb.1496:                             ;   in Loop: Header=BB4_1444 Depth=3
	s_xor_b32 s16, exec_lo, -1
; %bb.1497:                             ;   in Loop: Header=BB4_1444 Depth=3
	s_or_b32 exec_lo, exec_lo, s63
	s_and_b32 s16, s16, exec_lo
	s_or_saveexec_b32 s62, s62
	v_mov_b32_e32 v14, 0x7f800001
	s_xor_b32 exec_lo, exec_lo, s62
	s_cbranch_execnz .LBB4_1681
.LBB4_1498:                             ;   in Loop: Header=BB4_1444 Depth=3
	s_or_b32 exec_lo, exec_lo, s62
	s_and_saveexec_b32 s62, s16
	s_cbranch_execz .LBB4_1500
.LBB4_1499:                             ;   in Loop: Header=BB4_1444 Depth=3
	v_and_b32_e32 v14, 0xffff, v1
	v_lshlrev_b32_e32 v1, 24, v1
	v_and_b32_e32 v15, 3, v14
	v_bfe_u32 v35, v14, 2, 5
	v_and_b32_e32 v1, 0x80000000, v1
	v_ffbh_u32_e32 v31, v15
	v_cmp_eq_u32_e32 vcc_lo, 0, v35
	v_min_u32_e32 v31, 32, v31
	v_subrev_nc_u32_e32 v34, 29, v31
	v_sub_nc_u32_e32 v31, 30, v31
	v_lshlrev_b32_e32 v14, v34, v14
	v_cndmask_b32_e32 v31, v35, v31, vcc_lo
	v_and_b32_e32 v14, 3, v14
	v_cndmask_b32_e32 v14, v15, v14, vcc_lo
	v_lshl_add_u32 v15, v31, 23, 0x37800000
	v_lshlrev_b32_e32 v14, 21, v14
	v_or3_b32 v14, v1, v15, v14
.LBB4_1500:                             ;   in Loop: Header=BB4_1444 Depth=3
	s_or_b32 exec_lo, exec_lo, s62
	v_mul_f32_e32 v1, v19, v14
	v_mov_b32_e32 v34, 0x80
	s_mov_b32 s62, exec_lo
	v_and_b32_e32 v14, 0x7f800000, v1
	v_cmpx_ne_u32_e32 0x7f800000, v14
	s_cbranch_execz .LBB4_1508
; %bb.1501:                             ;   in Loop: Header=BB4_1444 Depth=3
	v_mov_b32_e32 v34, 0
	s_mov_b32 s63, exec_lo
	v_cmpx_ne_u32_e32 0, v1
	s_cbranch_execz .LBB4_1507
; %bb.1502:                             ;   in Loop: Header=BB4_1444 Depth=3
	v_bfe_u32 v14, v1, 23, 8
	v_and_b32_e32 v15, 0x7fffff, v1
	v_sub_nc_u32_e32 v31, 0x70, v14
	v_cmp_gt_u32_e32 vcc_lo, 0x71, v14
	v_or_b32_e32 v34, 0x800000, v15
	v_cndmask_b32_e32 v31, 0, v31, vcc_lo
	v_cmp_eq_u32_e32 vcc_lo, 0, v14
	v_add_nc_u32_e32 v14, 0xffffff91, v14
	v_cndmask_b32_e64 v31, v31, 0x6f, vcc_lo
	v_cndmask_b32_e32 v15, v34, v15, vcc_lo
	v_cndmask_b32_e64 v14, v14, 0xffffff92, vcc_lo
	v_lshl_add_u32 v34, 0x200000, v31, -1
	v_lshrrev_b32_e32 v35, v31, v15
	v_lshlrev_b32_e64 v37, v31, 0x100000
	v_add_nc_u32_e32 v31, v31, v14
	v_and_b32_e32 v15, v34, v15
	v_bfe_u32 v36, v35, 21, 1
	v_cmp_eq_u32_e64 s16, v15, v37
	v_add_nc_u32_e32 v34, -1, v36
	v_cndmask_b32_e64 v15, 0, v34, s16
	v_lshrrev_b32_e32 v34, 23, v35
	s_mov_b32 s16, exec_lo
	v_add_nc_u32_e32 v15, v15, v35
	v_xor_b32_e32 v34, 1, v34
	v_and_b32_e32 v14, 0x1fffff, v15
	v_add_nc_u32_e32 v15, v14, v35
                                        ; implicit-def: $vgpr14
	v_cmpx_ne_u32_e64 v31, v34
	s_xor_b32 s16, exec_lo, s16
; %bb.1503:                             ;   in Loop: Header=BB4_1444 Depth=3
	v_cmp_lt_u32_e32 vcc_lo, 0xffffff, v15
	v_sub_nc_u32_e32 v14, v31, v34
	v_cndmask_b32_e64 v31, 0, 1, vcc_lo
	v_add_co_ci_u32_e64 v14, null, 0, v14, vcc_lo
	v_lshrrev_b32_e32 v15, v31, v15
; %bb.1504:                             ;   in Loop: Header=BB4_1444 Depth=3
	s_andn2_saveexec_b32 s16, s16
; %bb.1505:                             ;   in Loop: Header=BB4_1444 Depth=3
	v_bfe_u32 v14, v15, 23, 1
; %bb.1506:                             ;   in Loop: Header=BB4_1444 Depth=3
	s_or_b32 exec_lo, exec_lo, s16
	v_lshrrev_b32_e32 v15, 21, v15
	v_cmp_gt_i32_e32 vcc_lo, 32, v14
	v_min_i32_e32 v31, 31, v14
	v_and_b32_sdwa v1, v1, v101 dst_sel:DWORD dst_unused:UNUSED_PAD src0_sel:BYTE_3 src1_sel:DWORD
	v_cndmask_b32_e32 v15, 3, v15, vcc_lo
	v_lshlrev_b32_e32 v31, 2, v31
	v_and_b32_e32 v34, 3, v15
	v_or_b32_e32 v14, v14, v15
	v_or3_b32 v1, v31, v1, v34
	v_cmp_ne_u32_e32 vcc_lo, 0, v14
	v_cndmask_b32_e32 v34, 0, v1, vcc_lo
.LBB4_1507:                             ;   in Loop: Header=BB4_1444 Depth=3
	s_or_b32 exec_lo, exec_lo, s63
.LBB4_1508:                             ;   in Loop: Header=BB4_1444 Depth=3
	s_or_b32 exec_lo, exec_lo, s62
	flat_load_ubyte v1, v[8:9] offset:128 slc
	s_mov_b32 s16, 0
	s_mov_b32 s62, exec_lo
	s_waitcnt vmcnt(0) lgkmcnt(0)
	v_cmpx_lt_i16_e32 0x7f, v1
	s_xor_b32 s62, exec_lo, s62
	s_cbranch_execz .LBB4_1682
; %bb.1509:                             ;   in Loop: Header=BB4_1444 Depth=3
	s_mov_b32 s16, -1
	s_mov_b32 s63, exec_lo
	v_cmpx_eq_u16_e32 0x80, v1
; %bb.1510:                             ;   in Loop: Header=BB4_1444 Depth=3
	s_xor_b32 s16, exec_lo, -1
; %bb.1511:                             ;   in Loop: Header=BB4_1444 Depth=3
	s_or_b32 exec_lo, exec_lo, s63
	s_and_b32 s16, s16, exec_lo
	s_or_saveexec_b32 s62, s62
	v_mov_b32_e32 v14, 0x7f800001
	s_xor_b32 exec_lo, exec_lo, s62
	s_cbranch_execnz .LBB4_1683
.LBB4_1512:                             ;   in Loop: Header=BB4_1444 Depth=3
	s_or_b32 exec_lo, exec_lo, s62
	s_and_saveexec_b32 s62, s16
	s_cbranch_execz .LBB4_1514
.LBB4_1513:                             ;   in Loop: Header=BB4_1444 Depth=3
	v_and_b32_e32 v14, 0xffff, v1
	v_lshlrev_b32_e32 v1, 24, v1
	v_and_b32_e32 v15, 3, v14
	v_bfe_u32 v36, v14, 2, 5
	v_and_b32_e32 v1, 0x80000000, v1
	v_ffbh_u32_e32 v31, v15
	v_cmp_eq_u32_e32 vcc_lo, 0, v36
	v_min_u32_e32 v31, 32, v31
	v_subrev_nc_u32_e32 v35, 29, v31
	v_sub_nc_u32_e32 v31, 30, v31
	v_lshlrev_b32_e32 v14, v35, v14
	v_cndmask_b32_e32 v31, v36, v31, vcc_lo
	v_and_b32_e32 v14, 3, v14
	v_cndmask_b32_e32 v14, v15, v14, vcc_lo
	v_lshl_add_u32 v15, v31, 23, 0x37800000
	v_lshlrev_b32_e32 v14, 21, v14
	v_or3_b32 v14, v1, v15, v14
.LBB4_1514:                             ;   in Loop: Header=BB4_1444 Depth=3
	s_or_b32 exec_lo, exec_lo, s62
	v_mul_f32_e32 v1, v19, v14
	v_mov_b32_e32 v35, 0x80
	s_mov_b32 s62, exec_lo
	v_and_b32_e32 v14, 0x7f800000, v1
	v_cmpx_ne_u32_e32 0x7f800000, v14
	s_cbranch_execz .LBB4_1522
; %bb.1515:                             ;   in Loop: Header=BB4_1444 Depth=3
	v_mov_b32_e32 v35, 0
	s_mov_b32 s63, exec_lo
	v_cmpx_ne_u32_e32 0, v1
	s_cbranch_execz .LBB4_1521
; %bb.1516:                             ;   in Loop: Header=BB4_1444 Depth=3
	v_bfe_u32 v14, v1, 23, 8
	v_and_b32_e32 v15, 0x7fffff, v1
	v_sub_nc_u32_e32 v31, 0x70, v14
	v_cmp_gt_u32_e32 vcc_lo, 0x71, v14
	v_or_b32_e32 v35, 0x800000, v15
	v_cndmask_b32_e32 v31, 0, v31, vcc_lo
	v_cmp_eq_u32_e32 vcc_lo, 0, v14
	v_add_nc_u32_e32 v14, 0xffffff91, v14
	v_cndmask_b32_e64 v31, v31, 0x6f, vcc_lo
	v_cndmask_b32_e32 v15, v35, v15, vcc_lo
	v_cndmask_b32_e64 v14, v14, 0xffffff92, vcc_lo
	v_lshl_add_u32 v35, 0x200000, v31, -1
	v_lshrrev_b32_e32 v36, v31, v15
	v_lshlrev_b32_e64 v50, v31, 0x100000
	v_add_nc_u32_e32 v31, v31, v14
	v_and_b32_e32 v15, v35, v15
	v_bfe_u32 v37, v36, 21, 1
	v_cmp_eq_u32_e64 s16, v15, v50
	v_add_nc_u32_e32 v35, -1, v37
	v_cndmask_b32_e64 v15, 0, v35, s16
	v_lshrrev_b32_e32 v35, 23, v36
	s_mov_b32 s16, exec_lo
	v_add_nc_u32_e32 v15, v15, v36
	v_xor_b32_e32 v35, 1, v35
	v_and_b32_e32 v14, 0x1fffff, v15
	v_add_nc_u32_e32 v15, v14, v36
                                        ; implicit-def: $vgpr14
	v_cmpx_ne_u32_e64 v31, v35
	s_xor_b32 s16, exec_lo, s16
; %bb.1517:                             ;   in Loop: Header=BB4_1444 Depth=3
	v_cmp_lt_u32_e32 vcc_lo, 0xffffff, v15
	v_sub_nc_u32_e32 v14, v31, v35
	v_cndmask_b32_e64 v31, 0, 1, vcc_lo
	v_add_co_ci_u32_e64 v14, null, 0, v14, vcc_lo
	v_lshrrev_b32_e32 v15, v31, v15
; %bb.1518:                             ;   in Loop: Header=BB4_1444 Depth=3
	s_andn2_saveexec_b32 s16, s16
; %bb.1519:                             ;   in Loop: Header=BB4_1444 Depth=3
	v_bfe_u32 v14, v15, 23, 1
; %bb.1520:                             ;   in Loop: Header=BB4_1444 Depth=3
	s_or_b32 exec_lo, exec_lo, s16
	v_lshrrev_b32_e32 v15, 21, v15
	v_cmp_gt_i32_e32 vcc_lo, 32, v14
	v_min_i32_e32 v31, 31, v14
	v_and_b32_sdwa v1, v1, v101 dst_sel:DWORD dst_unused:UNUSED_PAD src0_sel:BYTE_3 src1_sel:DWORD
	v_cndmask_b32_e32 v15, 3, v15, vcc_lo
	v_lshlrev_b32_e32 v31, 2, v31
	v_and_b32_e32 v35, 3, v15
	v_or_b32_e32 v14, v14, v15
	v_or3_b32 v1, v31, v1, v35
	v_cmp_ne_u32_e32 vcc_lo, 0, v14
	v_cndmask_b32_e32 v35, 0, v1, vcc_lo
.LBB4_1521:                             ;   in Loop: Header=BB4_1444 Depth=3
	s_or_b32 exec_lo, exec_lo, s63
.LBB4_1522:                             ;   in Loop: Header=BB4_1444 Depth=3
	s_or_b32 exec_lo, exec_lo, s62
	flat_load_ubyte v1, v[8:9] offset:160 slc
	s_mov_b32 s16, 0
	s_mov_b32 s62, exec_lo
	s_waitcnt vmcnt(0) lgkmcnt(0)
	v_cmpx_lt_i16_e32 0x7f, v1
	s_xor_b32 s62, exec_lo, s62
	s_cbranch_execz .LBB4_1684
; %bb.1523:                             ;   in Loop: Header=BB4_1444 Depth=3
	s_mov_b32 s16, -1
	s_mov_b32 s63, exec_lo
	v_cmpx_eq_u16_e32 0x80, v1
; %bb.1524:                             ;   in Loop: Header=BB4_1444 Depth=3
	s_xor_b32 s16, exec_lo, -1
; %bb.1525:                             ;   in Loop: Header=BB4_1444 Depth=3
	s_or_b32 exec_lo, exec_lo, s63
	s_and_b32 s16, s16, exec_lo
	s_or_saveexec_b32 s62, s62
	v_mov_b32_e32 v14, 0x7f800001
	s_xor_b32 exec_lo, exec_lo, s62
	s_cbranch_execnz .LBB4_1685
.LBB4_1526:                             ;   in Loop: Header=BB4_1444 Depth=3
	s_or_b32 exec_lo, exec_lo, s62
	s_and_saveexec_b32 s62, s16
	s_cbranch_execz .LBB4_1528
.LBB4_1527:                             ;   in Loop: Header=BB4_1444 Depth=3
	v_and_b32_e32 v14, 0xffff, v1
	v_lshlrev_b32_e32 v1, 24, v1
	v_and_b32_e32 v15, 3, v14
	v_bfe_u32 v37, v14, 2, 5
	v_and_b32_e32 v1, 0x80000000, v1
	v_ffbh_u32_e32 v31, v15
	v_cmp_eq_u32_e32 vcc_lo, 0, v37
	v_min_u32_e32 v31, 32, v31
	v_subrev_nc_u32_e32 v36, 29, v31
	v_sub_nc_u32_e32 v31, 30, v31
	v_lshlrev_b32_e32 v14, v36, v14
	v_cndmask_b32_e32 v31, v37, v31, vcc_lo
	v_and_b32_e32 v14, 3, v14
	v_cndmask_b32_e32 v14, v15, v14, vcc_lo
	v_lshl_add_u32 v15, v31, 23, 0x37800000
	v_lshlrev_b32_e32 v14, 21, v14
	v_or3_b32 v14, v1, v15, v14
.LBB4_1528:                             ;   in Loop: Header=BB4_1444 Depth=3
	s_or_b32 exec_lo, exec_lo, s62
	v_mul_f32_e32 v1, v19, v14
	v_mov_b32_e32 v36, 0x80
	s_mov_b32 s62, exec_lo
	v_and_b32_e32 v14, 0x7f800000, v1
	v_cmpx_ne_u32_e32 0x7f800000, v14
	s_cbranch_execz .LBB4_1536
; %bb.1529:                             ;   in Loop: Header=BB4_1444 Depth=3
	v_mov_b32_e32 v36, 0
	s_mov_b32 s63, exec_lo
	v_cmpx_ne_u32_e32 0, v1
	s_cbranch_execz .LBB4_1535
; %bb.1530:                             ;   in Loop: Header=BB4_1444 Depth=3
	v_bfe_u32 v14, v1, 23, 8
	v_and_b32_e32 v15, 0x7fffff, v1
	v_sub_nc_u32_e32 v31, 0x70, v14
	v_cmp_gt_u32_e32 vcc_lo, 0x71, v14
	v_or_b32_e32 v36, 0x800000, v15
	v_cndmask_b32_e32 v31, 0, v31, vcc_lo
	v_cmp_eq_u32_e32 vcc_lo, 0, v14
	v_add_nc_u32_e32 v14, 0xffffff91, v14
	v_cndmask_b32_e64 v31, v31, 0x6f, vcc_lo
	v_cndmask_b32_e32 v15, v36, v15, vcc_lo
	v_cndmask_b32_e64 v14, v14, 0xffffff92, vcc_lo
	v_lshl_add_u32 v36, 0x200000, v31, -1
	v_lshrrev_b32_e32 v37, v31, v15
	v_lshlrev_b32_e64 v51, v31, 0x100000
	v_add_nc_u32_e32 v31, v31, v14
	v_and_b32_e32 v15, v36, v15
	v_bfe_u32 v50, v37, 21, 1
	v_cmp_eq_u32_e64 s16, v15, v51
	v_add_nc_u32_e32 v36, -1, v50
	v_cndmask_b32_e64 v15, 0, v36, s16
	v_lshrrev_b32_e32 v36, 23, v37
	s_mov_b32 s16, exec_lo
	v_add_nc_u32_e32 v15, v15, v37
	v_xor_b32_e32 v36, 1, v36
	v_and_b32_e32 v14, 0x1fffff, v15
	v_add_nc_u32_e32 v15, v14, v37
                                        ; implicit-def: $vgpr14
	v_cmpx_ne_u32_e64 v31, v36
	s_xor_b32 s16, exec_lo, s16
; %bb.1531:                             ;   in Loop: Header=BB4_1444 Depth=3
	v_cmp_lt_u32_e32 vcc_lo, 0xffffff, v15
	v_sub_nc_u32_e32 v14, v31, v36
	v_cndmask_b32_e64 v31, 0, 1, vcc_lo
	v_add_co_ci_u32_e64 v14, null, 0, v14, vcc_lo
	v_lshrrev_b32_e32 v15, v31, v15
; %bb.1532:                             ;   in Loop: Header=BB4_1444 Depth=3
	s_andn2_saveexec_b32 s16, s16
; %bb.1533:                             ;   in Loop: Header=BB4_1444 Depth=3
	v_bfe_u32 v14, v15, 23, 1
; %bb.1534:                             ;   in Loop: Header=BB4_1444 Depth=3
	s_or_b32 exec_lo, exec_lo, s16
	v_lshrrev_b32_e32 v15, 21, v15
	v_cmp_gt_i32_e32 vcc_lo, 32, v14
	v_min_i32_e32 v31, 31, v14
	v_and_b32_sdwa v1, v1, v101 dst_sel:DWORD dst_unused:UNUSED_PAD src0_sel:BYTE_3 src1_sel:DWORD
	v_cndmask_b32_e32 v15, 3, v15, vcc_lo
	v_lshlrev_b32_e32 v31, 2, v31
	v_and_b32_e32 v36, 3, v15
	v_or_b32_e32 v14, v14, v15
	v_or3_b32 v1, v31, v1, v36
	v_cmp_ne_u32_e32 vcc_lo, 0, v14
	v_cndmask_b32_e32 v36, 0, v1, vcc_lo
.LBB4_1535:                             ;   in Loop: Header=BB4_1444 Depth=3
	s_or_b32 exec_lo, exec_lo, s63
.LBB4_1536:                             ;   in Loop: Header=BB4_1444 Depth=3
	s_or_b32 exec_lo, exec_lo, s62
	flat_load_ubyte v1, v[8:9] offset:192 slc
	s_mov_b32 s16, 0
	s_mov_b32 s62, exec_lo
	s_waitcnt vmcnt(0) lgkmcnt(0)
	v_cmpx_lt_i16_e32 0x7f, v1
	s_xor_b32 s62, exec_lo, s62
	s_cbranch_execz .LBB4_1686
; %bb.1537:                             ;   in Loop: Header=BB4_1444 Depth=3
	s_mov_b32 s16, -1
	s_mov_b32 s63, exec_lo
	v_cmpx_eq_u16_e32 0x80, v1
; %bb.1538:                             ;   in Loop: Header=BB4_1444 Depth=3
	s_xor_b32 s16, exec_lo, -1
; %bb.1539:                             ;   in Loop: Header=BB4_1444 Depth=3
	s_or_b32 exec_lo, exec_lo, s63
	s_and_b32 s16, s16, exec_lo
	s_or_saveexec_b32 s62, s62
	v_mov_b32_e32 v14, 0x7f800001
	s_xor_b32 exec_lo, exec_lo, s62
	s_cbranch_execnz .LBB4_1687
.LBB4_1540:                             ;   in Loop: Header=BB4_1444 Depth=3
	s_or_b32 exec_lo, exec_lo, s62
	s_and_saveexec_b32 s62, s16
	s_cbranch_execz .LBB4_1542
.LBB4_1541:                             ;   in Loop: Header=BB4_1444 Depth=3
	v_and_b32_e32 v14, 0xffff, v1
	v_lshlrev_b32_e32 v1, 24, v1
	v_and_b32_e32 v15, 3, v14
	v_bfe_u32 v50, v14, 2, 5
	v_and_b32_e32 v1, 0x80000000, v1
	v_ffbh_u32_e32 v31, v15
	v_cmp_eq_u32_e32 vcc_lo, 0, v50
	v_min_u32_e32 v31, 32, v31
	v_subrev_nc_u32_e32 v37, 29, v31
	v_sub_nc_u32_e32 v31, 30, v31
	v_lshlrev_b32_e32 v14, v37, v14
	v_cndmask_b32_e32 v31, v50, v31, vcc_lo
	v_and_b32_e32 v14, 3, v14
	v_cndmask_b32_e32 v14, v15, v14, vcc_lo
	v_lshl_add_u32 v15, v31, 23, 0x37800000
	v_lshlrev_b32_e32 v14, 21, v14
	v_or3_b32 v14, v1, v15, v14
.LBB4_1542:                             ;   in Loop: Header=BB4_1444 Depth=3
	s_or_b32 exec_lo, exec_lo, s62
	v_mul_f32_e32 v1, v19, v14
	v_mov_b32_e32 v31, 0x80
	s_mov_b32 s62, exec_lo
	v_and_b32_e32 v14, 0x7f800000, v1
	v_cmpx_ne_u32_e32 0x7f800000, v14
	s_cbranch_execz .LBB4_1550
; %bb.1543:                             ;   in Loop: Header=BB4_1444 Depth=3
	v_mov_b32_e32 v31, 0
	s_mov_b32 s63, exec_lo
	v_cmpx_ne_u32_e32 0, v1
	s_cbranch_execz .LBB4_1549
; %bb.1544:                             ;   in Loop: Header=BB4_1444 Depth=3
	v_bfe_u32 v14, v1, 23, 8
	v_and_b32_e32 v15, 0x7fffff, v1
	v_sub_nc_u32_e32 v31, 0x70, v14
	v_cmp_gt_u32_e32 vcc_lo, 0x71, v14
	v_or_b32_e32 v37, 0x800000, v15
	v_cndmask_b32_e32 v31, 0, v31, vcc_lo
	v_cmp_eq_u32_e32 vcc_lo, 0, v14
	v_add_nc_u32_e32 v14, 0xffffff91, v14
	v_cndmask_b32_e64 v31, v31, 0x6f, vcc_lo
	v_cndmask_b32_e32 v15, v37, v15, vcc_lo
	v_cndmask_b32_e64 v14, v14, 0xffffff92, vcc_lo
	v_lshl_add_u32 v37, 0x200000, v31, -1
	v_lshrrev_b32_e32 v50, v31, v15
	v_lshlrev_b32_e64 v64, v31, 0x100000
	v_add_nc_u32_e32 v31, v31, v14
	v_and_b32_e32 v15, v37, v15
	v_bfe_u32 v51, v50, 21, 1
	v_cmp_eq_u32_e64 s16, v15, v64
	v_add_nc_u32_e32 v37, -1, v51
	v_cndmask_b32_e64 v15, 0, v37, s16
	v_lshrrev_b32_e32 v37, 23, v50
	s_mov_b32 s16, exec_lo
	v_add_nc_u32_e32 v15, v15, v50
	v_xor_b32_e32 v37, 1, v37
	v_and_b32_e32 v14, 0x1fffff, v15
	v_add_nc_u32_e32 v15, v14, v50
                                        ; implicit-def: $vgpr14
	v_cmpx_ne_u32_e64 v31, v37
	s_xor_b32 s16, exec_lo, s16
; %bb.1545:                             ;   in Loop: Header=BB4_1444 Depth=3
	v_cmp_lt_u32_e32 vcc_lo, 0xffffff, v15
	v_sub_nc_u32_e32 v14, v31, v37
	v_cndmask_b32_e64 v31, 0, 1, vcc_lo
	v_add_co_ci_u32_e64 v14, null, 0, v14, vcc_lo
	v_lshrrev_b32_e32 v15, v31, v15
; %bb.1546:                             ;   in Loop: Header=BB4_1444 Depth=3
	s_andn2_saveexec_b32 s16, s16
; %bb.1547:                             ;   in Loop: Header=BB4_1444 Depth=3
	v_bfe_u32 v14, v15, 23, 1
; %bb.1548:                             ;   in Loop: Header=BB4_1444 Depth=3
	s_or_b32 exec_lo, exec_lo, s16
	v_lshrrev_b32_e32 v15, 21, v15
	v_cmp_gt_i32_e32 vcc_lo, 32, v14
	v_min_i32_e32 v31, 31, v14
	v_and_b32_sdwa v1, v1, v101 dst_sel:DWORD dst_unused:UNUSED_PAD src0_sel:BYTE_3 src1_sel:DWORD
	v_cndmask_b32_e32 v15, 3, v15, vcc_lo
	v_lshlrev_b32_e32 v31, 2, v31
	v_and_b32_e32 v37, 3, v15
	v_or_b32_e32 v14, v14, v15
	v_or3_b32 v1, v31, v1, v37
	v_cmp_ne_u32_e32 vcc_lo, 0, v14
	v_cndmask_b32_e32 v31, 0, v1, vcc_lo
.LBB4_1549:                             ;   in Loop: Header=BB4_1444 Depth=3
	s_or_b32 exec_lo, exec_lo, s63
.LBB4_1550:                             ;   in Loop: Header=BB4_1444 Depth=3
	s_or_b32 exec_lo, exec_lo, s62
	flat_load_ubyte v1, v[8:9] offset:224 slc
	s_mov_b32 s16, 0
	s_mov_b32 s62, exec_lo
	s_waitcnt vmcnt(0) lgkmcnt(0)
	v_cmpx_lt_i16_e32 0x7f, v1
	s_xor_b32 s62, exec_lo, s62
	s_cbranch_execz .LBB4_1688
; %bb.1551:                             ;   in Loop: Header=BB4_1444 Depth=3
	s_mov_b32 s16, -1
	s_mov_b32 s63, exec_lo
	v_cmpx_eq_u16_e32 0x80, v1
; %bb.1552:                             ;   in Loop: Header=BB4_1444 Depth=3
	s_xor_b32 s16, exec_lo, -1
; %bb.1553:                             ;   in Loop: Header=BB4_1444 Depth=3
	s_or_b32 exec_lo, exec_lo, s63
	s_and_b32 s16, s16, exec_lo
	s_or_saveexec_b32 s62, s62
	v_mov_b32_e32 v14, 0x7f800001
	s_xor_b32 exec_lo, exec_lo, s62
	s_cbranch_execnz .LBB4_1689
.LBB4_1554:                             ;   in Loop: Header=BB4_1444 Depth=3
	s_or_b32 exec_lo, exec_lo, s62
	s_and_saveexec_b32 s62, s16
	s_cbranch_execz .LBB4_1556
.LBB4_1555:                             ;   in Loop: Header=BB4_1444 Depth=3
	v_and_b32_e32 v14, 0xffff, v1
	v_lshlrev_b32_e32 v1, 24, v1
	v_and_b32_e32 v15, 3, v14
	v_bfe_u32 v51, v14, 2, 5
	v_and_b32_e32 v1, 0x80000000, v1
	v_ffbh_u32_e32 v37, v15
	v_cmp_eq_u32_e32 vcc_lo, 0, v51
	v_min_u32_e32 v37, 32, v37
	v_subrev_nc_u32_e32 v50, 29, v37
	v_sub_nc_u32_e32 v37, 30, v37
	v_lshlrev_b32_e32 v14, v50, v14
	v_cndmask_b32_e32 v37, v51, v37, vcc_lo
	v_and_b32_e32 v14, 3, v14
	v_cndmask_b32_e32 v14, v15, v14, vcc_lo
	v_lshl_add_u32 v15, v37, 23, 0x37800000
	v_lshlrev_b32_e32 v14, 21, v14
	v_or3_b32 v14, v1, v15, v14
.LBB4_1556:                             ;   in Loop: Header=BB4_1444 Depth=3
	s_or_b32 exec_lo, exec_lo, s62
	v_mul_f32_e32 v1, v19, v14
	v_mov_b32_e32 v37, 0x80
	s_mov_b32 s62, exec_lo
	v_and_b32_e32 v14, 0x7f800000, v1
	v_cmpx_ne_u32_e32 0x7f800000, v14
	s_cbranch_execz .LBB4_1564
; %bb.1557:                             ;   in Loop: Header=BB4_1444 Depth=3
	v_mov_b32_e32 v37, 0
	s_mov_b32 s63, exec_lo
	v_cmpx_ne_u32_e32 0, v1
	s_cbranch_execz .LBB4_1563
; %bb.1558:                             ;   in Loop: Header=BB4_1444 Depth=3
	v_bfe_u32 v14, v1, 23, 8
	v_and_b32_e32 v15, 0x7fffff, v1
	v_sub_nc_u32_e32 v37, 0x70, v14
	v_cmp_gt_u32_e32 vcc_lo, 0x71, v14
	v_or_b32_e32 v50, 0x800000, v15
	v_cndmask_b32_e32 v37, 0, v37, vcc_lo
	v_cmp_eq_u32_e32 vcc_lo, 0, v14
	v_add_nc_u32_e32 v14, 0xffffff91, v14
	v_cndmask_b32_e64 v37, v37, 0x6f, vcc_lo
	v_cndmask_b32_e32 v15, v50, v15, vcc_lo
	v_cndmask_b32_e64 v14, v14, 0xffffff92, vcc_lo
	v_lshl_add_u32 v50, 0x200000, v37, -1
	v_lshrrev_b32_e32 v51, v37, v15
	v_lshlrev_b32_e64 v65, v37, 0x100000
	v_add_nc_u32_e32 v37, v37, v14
	v_and_b32_e32 v15, v50, v15
	v_bfe_u32 v64, v51, 21, 1
	v_cmp_eq_u32_e64 s16, v15, v65
	v_add_nc_u32_e32 v50, -1, v64
	v_cndmask_b32_e64 v15, 0, v50, s16
	v_lshrrev_b32_e32 v50, 23, v51
	s_mov_b32 s16, exec_lo
	v_add_nc_u32_e32 v15, v15, v51
	v_xor_b32_e32 v50, 1, v50
	v_and_b32_e32 v14, 0x1fffff, v15
	v_add_nc_u32_e32 v15, v14, v51
                                        ; implicit-def: $vgpr14
	v_cmpx_ne_u32_e64 v37, v50
	s_xor_b32 s16, exec_lo, s16
; %bb.1559:                             ;   in Loop: Header=BB4_1444 Depth=3
	v_cmp_lt_u32_e32 vcc_lo, 0xffffff, v15
	v_sub_nc_u32_e32 v14, v37, v50
	v_cndmask_b32_e64 v37, 0, 1, vcc_lo
	v_add_co_ci_u32_e64 v14, null, 0, v14, vcc_lo
	v_lshrrev_b32_e32 v15, v37, v15
; %bb.1560:                             ;   in Loop: Header=BB4_1444 Depth=3
	s_andn2_saveexec_b32 s16, s16
; %bb.1561:                             ;   in Loop: Header=BB4_1444 Depth=3
	v_bfe_u32 v14, v15, 23, 1
; %bb.1562:                             ;   in Loop: Header=BB4_1444 Depth=3
	s_or_b32 exec_lo, exec_lo, s16
	v_lshrrev_b32_e32 v15, 21, v15
	v_cmp_gt_i32_e32 vcc_lo, 32, v14
	v_min_i32_e32 v37, 31, v14
	v_and_b32_sdwa v1, v1, v101 dst_sel:DWORD dst_unused:UNUSED_PAD src0_sel:BYTE_3 src1_sel:DWORD
	v_cndmask_b32_e32 v15, 3, v15, vcc_lo
	v_lshlrev_b32_e32 v37, 2, v37
	v_and_b32_e32 v50, 3, v15
	v_or_b32_e32 v14, v14, v15
	v_or3_b32 v1, v37, v1, v50
	v_cmp_ne_u32_e32 vcc_lo, 0, v14
	v_cndmask_b32_e32 v37, 0, v1, vcc_lo
.LBB4_1563:                             ;   in Loop: Header=BB4_1444 Depth=3
	s_or_b32 exec_lo, exec_lo, s63
.LBB4_1564:                             ;   in Loop: Header=BB4_1444 Depth=3
	s_or_b32 exec_lo, exec_lo, s62
	flat_load_ubyte v1, v[8:9] offset:256 slc
	s_mov_b32 s16, 0
	s_mov_b32 s62, exec_lo
	s_waitcnt vmcnt(0) lgkmcnt(0)
	v_cmpx_lt_i16_e32 0x7f, v1
	s_xor_b32 s62, exec_lo, s62
	s_cbranch_execz .LBB4_1690
; %bb.1565:                             ;   in Loop: Header=BB4_1444 Depth=3
	s_mov_b32 s16, -1
	s_mov_b32 s63, exec_lo
	v_cmpx_eq_u16_e32 0x80, v1
; %bb.1566:                             ;   in Loop: Header=BB4_1444 Depth=3
	s_xor_b32 s16, exec_lo, -1
; %bb.1567:                             ;   in Loop: Header=BB4_1444 Depth=3
	s_or_b32 exec_lo, exec_lo, s63
	s_and_b32 s16, s16, exec_lo
	s_or_saveexec_b32 s62, s62
	v_mov_b32_e32 v14, 0x7f800001
	s_xor_b32 exec_lo, exec_lo, s62
	s_cbranch_execnz .LBB4_1691
.LBB4_1568:                             ;   in Loop: Header=BB4_1444 Depth=3
	s_or_b32 exec_lo, exec_lo, s62
	s_and_saveexec_b32 s62, s16
	s_cbranch_execz .LBB4_1570
.LBB4_1569:                             ;   in Loop: Header=BB4_1444 Depth=3
	v_and_b32_e32 v14, 0xffff, v1
	v_lshlrev_b32_e32 v1, 24, v1
	v_and_b32_e32 v15, 3, v14
	v_bfe_u32 v64, v14, 2, 5
	v_and_b32_e32 v1, 0x80000000, v1
	v_ffbh_u32_e32 v50, v15
	v_cmp_eq_u32_e32 vcc_lo, 0, v64
	v_min_u32_e32 v50, 32, v50
	v_subrev_nc_u32_e32 v51, 29, v50
	v_sub_nc_u32_e32 v50, 30, v50
	v_lshlrev_b32_e32 v14, v51, v14
	v_cndmask_b32_e32 v50, v64, v50, vcc_lo
	v_and_b32_e32 v14, 3, v14
	v_cndmask_b32_e32 v14, v15, v14, vcc_lo
	v_lshl_add_u32 v15, v50, 23, 0x37800000
	v_lshlrev_b32_e32 v14, 21, v14
	v_or3_b32 v14, v1, v15, v14
.LBB4_1570:                             ;   in Loop: Header=BB4_1444 Depth=3
	s_or_b32 exec_lo, exec_lo, s62
	v_mul_f32_e32 v50, v19, v14
	v_and_b32_e32 v1, 0x7f800000, v50
	v_cmp_ne_u32_e32 vcc_lo, 0x7f800000, v1
	v_mov_b32_e32 v1, 0x80
	s_and_saveexec_b32 s62, vcc_lo
	s_cbranch_execz .LBB4_1578
; %bb.1571:                             ;   in Loop: Header=BB4_1444 Depth=3
	v_mov_b32_e32 v1, 0
	s_mov_b32 s63, exec_lo
	v_cmpx_ne_u32_e32 0, v50
	s_cbranch_execz .LBB4_1577
; %bb.1572:                             ;   in Loop: Header=BB4_1444 Depth=3
	v_bfe_u32 v1, v50, 23, 8
	v_and_b32_e32 v14, 0x7fffff, v50
	v_sub_nc_u32_e32 v15, 0x70, v1
	v_cmp_gt_u32_e32 vcc_lo, 0x71, v1
	v_or_b32_e32 v51, 0x800000, v14
	v_cndmask_b32_e32 v15, 0, v15, vcc_lo
	v_cmp_eq_u32_e32 vcc_lo, 0, v1
	v_add_nc_u32_e32 v1, 0xffffff91, v1
	v_cndmask_b32_e64 v15, v15, 0x6f, vcc_lo
	v_cndmask_b32_e32 v14, v51, v14, vcc_lo
	v_cndmask_b32_e64 v1, v1, 0xffffff92, vcc_lo
	v_lshl_add_u32 v51, 0x200000, v15, -1
	v_lshrrev_b32_e32 v64, v15, v14
	v_lshlrev_b32_e64 v66, v15, 0x100000
	v_add_nc_u32_e32 v15, v15, v1
	v_and_b32_e32 v14, v51, v14
	v_bfe_u32 v65, v64, 21, 1
	v_cmp_eq_u32_e64 s16, v14, v66
	v_add_nc_u32_e32 v51, -1, v65
	v_cndmask_b32_e64 v14, 0, v51, s16
	v_lshrrev_b32_e32 v51, 23, v64
	s_mov_b32 s16, exec_lo
	v_add_nc_u32_e32 v14, v14, v64
	v_xor_b32_e32 v51, 1, v51
	v_and_b32_e32 v1, 0x1fffff, v14
	v_add_nc_u32_e32 v14, v1, v64
                                        ; implicit-def: $vgpr1
	v_cmpx_ne_u32_e64 v15, v51
	s_xor_b32 s16, exec_lo, s16
; %bb.1573:                             ;   in Loop: Header=BB4_1444 Depth=3
	v_cmp_lt_u32_e32 vcc_lo, 0xffffff, v14
	v_sub_nc_u32_e32 v1, v15, v51
	v_cndmask_b32_e64 v15, 0, 1, vcc_lo
	v_add_co_ci_u32_e64 v1, null, 0, v1, vcc_lo
	v_lshrrev_b32_e32 v14, v15, v14
; %bb.1574:                             ;   in Loop: Header=BB4_1444 Depth=3
	s_andn2_saveexec_b32 s16, s16
; %bb.1575:                             ;   in Loop: Header=BB4_1444 Depth=3
	v_bfe_u32 v1, v14, 23, 1
; %bb.1576:                             ;   in Loop: Header=BB4_1444 Depth=3
	s_or_b32 exec_lo, exec_lo, s16
	v_lshrrev_b32_e32 v14, 21, v14
	v_cmp_gt_i32_e32 vcc_lo, 32, v1
	v_min_i32_e32 v15, 31, v1
	v_and_b32_sdwa v50, v50, v101 dst_sel:DWORD dst_unused:UNUSED_PAD src0_sel:BYTE_3 src1_sel:DWORD
	v_cndmask_b32_e32 v14, 3, v14, vcc_lo
	v_lshlrev_b32_e32 v15, 2, v15
	v_and_b32_e32 v51, 3, v14
	v_or_b32_e32 v1, v1, v14
	v_or3_b32 v14, v15, v50, v51
	v_cmp_ne_u32_e32 vcc_lo, 0, v1
	v_cndmask_b32_e32 v1, 0, v14, vcc_lo
.LBB4_1577:                             ;   in Loop: Header=BB4_1444 Depth=3
	s_or_b32 exec_lo, exec_lo, s63
.LBB4_1578:                             ;   in Loop: Header=BB4_1444 Depth=3
	s_or_b32 exec_lo, exec_lo, s62
	flat_load_ubyte v50, v[8:9] offset:288 slc
	s_mov_b32 s16, 0
	s_mov_b32 s62, exec_lo
	s_waitcnt vmcnt(0) lgkmcnt(0)
	v_cmpx_lt_i16_e32 0x7f, v50
	s_xor_b32 s62, exec_lo, s62
	s_cbranch_execz .LBB4_1692
; %bb.1579:                             ;   in Loop: Header=BB4_1444 Depth=3
	s_mov_b32 s16, -1
	s_mov_b32 s63, exec_lo
	v_cmpx_eq_u16_e32 0x80, v50
; %bb.1580:                             ;   in Loop: Header=BB4_1444 Depth=3
	s_xor_b32 s16, exec_lo, -1
; %bb.1581:                             ;   in Loop: Header=BB4_1444 Depth=3
	s_or_b32 exec_lo, exec_lo, s63
	s_and_b32 s16, s16, exec_lo
	s_or_saveexec_b32 s62, s62
	v_mov_b32_e32 v14, 0x7f800001
	s_xor_b32 exec_lo, exec_lo, s62
	s_cbranch_execnz .LBB4_1693
.LBB4_1582:                             ;   in Loop: Header=BB4_1444 Depth=3
	s_or_b32 exec_lo, exec_lo, s62
	s_and_saveexec_b32 s62, s16
	s_cbranch_execz .LBB4_1584
.LBB4_1583:                             ;   in Loop: Header=BB4_1444 Depth=3
	v_and_b32_e32 v14, 0xffff, v50
	v_lshlrev_b32_e32 v50, 24, v50
	v_and_b32_e32 v15, 3, v14
	v_bfe_u32 v65, v14, 2, 5
	v_ffbh_u32_e32 v51, v15
	v_cmp_eq_u32_e32 vcc_lo, 0, v65
	v_min_u32_e32 v51, 32, v51
	v_subrev_nc_u32_e32 v64, 29, v51
	v_sub_nc_u32_e32 v51, 30, v51
	v_lshlrev_b32_e32 v14, v64, v14
	v_cndmask_b32_e32 v51, v65, v51, vcc_lo
	v_and_b32_e32 v14, 3, v14
	v_cndmask_b32_e32 v14, v15, v14, vcc_lo
	v_and_b32_e32 v15, 0x80000000, v50
	v_lshl_add_u32 v50, v51, 23, 0x37800000
	v_lshlrev_b32_e32 v14, 21, v14
	v_or3_b32 v14, v15, v50, v14
.LBB4_1584:                             ;   in Loop: Header=BB4_1444 Depth=3
	s_or_b32 exec_lo, exec_lo, s62
	v_mul_f32_e32 v50, v19, v14
	v_mov_b32_e32 v64, 0x80
	s_mov_b32 s62, exec_lo
	v_and_b32_e32 v14, 0x7f800000, v50
	v_cmpx_ne_u32_e32 0x7f800000, v14
	s_cbranch_execz .LBB4_1592
; %bb.1585:                             ;   in Loop: Header=BB4_1444 Depth=3
	v_mov_b32_e32 v64, 0
	s_mov_b32 s63, exec_lo
	v_cmpx_ne_u32_e32 0, v50
	s_cbranch_execz .LBB4_1591
; %bb.1586:                             ;   in Loop: Header=BB4_1444 Depth=3
	v_bfe_u32 v14, v50, 23, 8
	v_and_b32_e32 v15, 0x7fffff, v50
	v_sub_nc_u32_e32 v51, 0x70, v14
	v_cmp_gt_u32_e32 vcc_lo, 0x71, v14
	v_or_b32_e32 v64, 0x800000, v15
	v_cndmask_b32_e32 v51, 0, v51, vcc_lo
	v_cmp_eq_u32_e32 vcc_lo, 0, v14
	v_add_nc_u32_e32 v14, 0xffffff91, v14
	v_cndmask_b32_e64 v51, v51, 0x6f, vcc_lo
	v_cndmask_b32_e32 v15, v64, v15, vcc_lo
	v_cndmask_b32_e64 v14, v14, 0xffffff92, vcc_lo
	v_lshl_add_u32 v64, 0x200000, v51, -1
	v_lshrrev_b32_e32 v65, v51, v15
	v_lshlrev_b32_e64 v67, v51, 0x100000
	v_add_nc_u32_e32 v51, v51, v14
	v_and_b32_e32 v15, v64, v15
	v_bfe_u32 v66, v65, 21, 1
	v_cmp_eq_u32_e64 s16, v15, v67
	v_add_nc_u32_e32 v64, -1, v66
	v_cndmask_b32_e64 v15, 0, v64, s16
	v_lshrrev_b32_e32 v64, 23, v65
	s_mov_b32 s16, exec_lo
	v_add_nc_u32_e32 v15, v15, v65
	v_xor_b32_e32 v64, 1, v64
	v_and_b32_e32 v14, 0x1fffff, v15
	v_add_nc_u32_e32 v15, v14, v65
                                        ; implicit-def: $vgpr14
	v_cmpx_ne_u32_e64 v51, v64
	s_xor_b32 s16, exec_lo, s16
; %bb.1587:                             ;   in Loop: Header=BB4_1444 Depth=3
	v_cmp_lt_u32_e32 vcc_lo, 0xffffff, v15
	v_sub_nc_u32_e32 v14, v51, v64
	v_cndmask_b32_e64 v51, 0, 1, vcc_lo
	v_add_co_ci_u32_e64 v14, null, 0, v14, vcc_lo
	v_lshrrev_b32_e32 v15, v51, v15
; %bb.1588:                             ;   in Loop: Header=BB4_1444 Depth=3
	s_andn2_saveexec_b32 s16, s16
; %bb.1589:                             ;   in Loop: Header=BB4_1444 Depth=3
	v_bfe_u32 v14, v15, 23, 1
; %bb.1590:                             ;   in Loop: Header=BB4_1444 Depth=3
	s_or_b32 exec_lo, exec_lo, s16
	v_lshrrev_b32_e32 v15, 21, v15
	v_cmp_gt_i32_e32 vcc_lo, 32, v14
	v_min_i32_e32 v51, 31, v14
	v_and_b32_sdwa v50, v50, v101 dst_sel:DWORD dst_unused:UNUSED_PAD src0_sel:BYTE_3 src1_sel:DWORD
	v_cndmask_b32_e32 v15, 3, v15, vcc_lo
	v_lshlrev_b32_e32 v51, 2, v51
	v_and_b32_e32 v64, 3, v15
	v_or_b32_e32 v14, v14, v15
	v_or3_b32 v15, v51, v50, v64
	v_cmp_ne_u32_e32 vcc_lo, 0, v14
	v_cndmask_b32_e32 v64, 0, v15, vcc_lo
.LBB4_1591:                             ;   in Loop: Header=BB4_1444 Depth=3
	s_or_b32 exec_lo, exec_lo, s63
.LBB4_1592:                             ;   in Loop: Header=BB4_1444 Depth=3
	s_or_b32 exec_lo, exec_lo, s62
	flat_load_ubyte v50, v[8:9] offset:320 slc
	s_mov_b32 s16, 0
	s_mov_b32 s62, exec_lo
	s_waitcnt vmcnt(0) lgkmcnt(0)
	v_cmpx_lt_i16_e32 0x7f, v50
	s_xor_b32 s62, exec_lo, s62
	s_cbranch_execz .LBB4_1694
; %bb.1593:                             ;   in Loop: Header=BB4_1444 Depth=3
	s_mov_b32 s16, -1
	s_mov_b32 s63, exec_lo
	v_cmpx_eq_u16_e32 0x80, v50
; %bb.1594:                             ;   in Loop: Header=BB4_1444 Depth=3
	s_xor_b32 s16, exec_lo, -1
; %bb.1595:                             ;   in Loop: Header=BB4_1444 Depth=3
	s_or_b32 exec_lo, exec_lo, s63
	s_and_b32 s16, s16, exec_lo
	s_or_saveexec_b32 s62, s62
	v_mov_b32_e32 v14, 0x7f800001
	s_xor_b32 exec_lo, exec_lo, s62
	s_cbranch_execnz .LBB4_1695
.LBB4_1596:                             ;   in Loop: Header=BB4_1444 Depth=3
	s_or_b32 exec_lo, exec_lo, s62
	s_and_saveexec_b32 s62, s16
	s_cbranch_execz .LBB4_1598
.LBB4_1597:                             ;   in Loop: Header=BB4_1444 Depth=3
	v_and_b32_e32 v14, 0xffff, v50
	v_lshlrev_b32_e32 v50, 24, v50
	v_and_b32_e32 v15, 3, v14
	v_bfe_u32 v66, v14, 2, 5
	v_ffbh_u32_e32 v51, v15
	v_cmp_eq_u32_e32 vcc_lo, 0, v66
	v_min_u32_e32 v51, 32, v51
	v_subrev_nc_u32_e32 v65, 29, v51
	v_sub_nc_u32_e32 v51, 30, v51
	v_lshlrev_b32_e32 v14, v65, v14
	v_cndmask_b32_e32 v51, v66, v51, vcc_lo
	v_and_b32_e32 v14, 3, v14
	v_cndmask_b32_e32 v14, v15, v14, vcc_lo
	v_and_b32_e32 v15, 0x80000000, v50
	v_lshl_add_u32 v50, v51, 23, 0x37800000
	v_lshlrev_b32_e32 v14, 21, v14
	v_or3_b32 v14, v15, v50, v14
.LBB4_1598:                             ;   in Loop: Header=BB4_1444 Depth=3
	s_or_b32 exec_lo, exec_lo, s62
	v_mul_f32_e32 v50, v19, v14
	v_mov_b32_e32 v65, 0x80
	s_mov_b32 s62, exec_lo
	v_and_b32_e32 v14, 0x7f800000, v50
	v_cmpx_ne_u32_e32 0x7f800000, v14
	s_cbranch_execz .LBB4_1606
; %bb.1599:                             ;   in Loop: Header=BB4_1444 Depth=3
	v_mov_b32_e32 v65, 0
	s_mov_b32 s63, exec_lo
	v_cmpx_ne_u32_e32 0, v50
	s_cbranch_execz .LBB4_1605
; %bb.1600:                             ;   in Loop: Header=BB4_1444 Depth=3
	v_bfe_u32 v14, v50, 23, 8
	v_and_b32_e32 v15, 0x7fffff, v50
	v_sub_nc_u32_e32 v51, 0x70, v14
	v_cmp_gt_u32_e32 vcc_lo, 0x71, v14
	v_or_b32_e32 v65, 0x800000, v15
	v_cndmask_b32_e32 v51, 0, v51, vcc_lo
	v_cmp_eq_u32_e32 vcc_lo, 0, v14
	v_add_nc_u32_e32 v14, 0xffffff91, v14
	v_cndmask_b32_e64 v51, v51, 0x6f, vcc_lo
	v_cndmask_b32_e32 v15, v65, v15, vcc_lo
	v_cndmask_b32_e64 v14, v14, 0xffffff92, vcc_lo
	v_lshl_add_u32 v65, 0x200000, v51, -1
	v_lshrrev_b32_e32 v66, v51, v15
	v_lshlrev_b32_e64 v68, v51, 0x100000
	v_add_nc_u32_e32 v51, v51, v14
	v_and_b32_e32 v15, v65, v15
	v_bfe_u32 v67, v66, 21, 1
	v_cmp_eq_u32_e64 s16, v15, v68
	v_add_nc_u32_e32 v65, -1, v67
	v_cndmask_b32_e64 v15, 0, v65, s16
	v_lshrrev_b32_e32 v65, 23, v66
	s_mov_b32 s16, exec_lo
	v_add_nc_u32_e32 v15, v15, v66
	v_xor_b32_e32 v65, 1, v65
	v_and_b32_e32 v14, 0x1fffff, v15
	v_add_nc_u32_e32 v15, v14, v66
                                        ; implicit-def: $vgpr14
	v_cmpx_ne_u32_e64 v51, v65
	s_xor_b32 s16, exec_lo, s16
; %bb.1601:                             ;   in Loop: Header=BB4_1444 Depth=3
	v_cmp_lt_u32_e32 vcc_lo, 0xffffff, v15
	v_sub_nc_u32_e32 v14, v51, v65
	v_cndmask_b32_e64 v51, 0, 1, vcc_lo
	v_add_co_ci_u32_e64 v14, null, 0, v14, vcc_lo
	v_lshrrev_b32_e32 v15, v51, v15
; %bb.1602:                             ;   in Loop: Header=BB4_1444 Depth=3
	s_andn2_saveexec_b32 s16, s16
; %bb.1603:                             ;   in Loop: Header=BB4_1444 Depth=3
	v_bfe_u32 v14, v15, 23, 1
; %bb.1604:                             ;   in Loop: Header=BB4_1444 Depth=3
	s_or_b32 exec_lo, exec_lo, s16
	v_lshrrev_b32_e32 v15, 21, v15
	v_cmp_gt_i32_e32 vcc_lo, 32, v14
	v_min_i32_e32 v51, 31, v14
	v_and_b32_sdwa v50, v50, v101 dst_sel:DWORD dst_unused:UNUSED_PAD src0_sel:BYTE_3 src1_sel:DWORD
	v_cndmask_b32_e32 v15, 3, v15, vcc_lo
	v_lshlrev_b32_e32 v51, 2, v51
	v_and_b32_e32 v65, 3, v15
	v_or_b32_e32 v14, v14, v15
	v_or3_b32 v15, v51, v50, v65
	v_cmp_ne_u32_e32 vcc_lo, 0, v14
	v_cndmask_b32_e32 v65, 0, v15, vcc_lo
.LBB4_1605:                             ;   in Loop: Header=BB4_1444 Depth=3
	s_or_b32 exec_lo, exec_lo, s63
.LBB4_1606:                             ;   in Loop: Header=BB4_1444 Depth=3
	s_or_b32 exec_lo, exec_lo, s62
	flat_load_ubyte v50, v[8:9] offset:352 slc
	s_mov_b32 s16, 0
	s_mov_b32 s62, exec_lo
	s_waitcnt vmcnt(0) lgkmcnt(0)
	v_cmpx_lt_i16_e32 0x7f, v50
	s_xor_b32 s62, exec_lo, s62
	s_cbranch_execz .LBB4_1696
; %bb.1607:                             ;   in Loop: Header=BB4_1444 Depth=3
	s_mov_b32 s16, -1
	s_mov_b32 s63, exec_lo
	v_cmpx_eq_u16_e32 0x80, v50
; %bb.1608:                             ;   in Loop: Header=BB4_1444 Depth=3
	s_xor_b32 s16, exec_lo, -1
; %bb.1609:                             ;   in Loop: Header=BB4_1444 Depth=3
	s_or_b32 exec_lo, exec_lo, s63
	s_and_b32 s16, s16, exec_lo
	s_or_saveexec_b32 s62, s62
	v_mov_b32_e32 v14, 0x7f800001
	s_xor_b32 exec_lo, exec_lo, s62
	s_cbranch_execnz .LBB4_1697
.LBB4_1610:                             ;   in Loop: Header=BB4_1444 Depth=3
	s_or_b32 exec_lo, exec_lo, s62
	s_and_saveexec_b32 s62, s16
	s_cbranch_execz .LBB4_1612
.LBB4_1611:                             ;   in Loop: Header=BB4_1444 Depth=3
	v_and_b32_e32 v14, 0xffff, v50
	v_lshlrev_b32_e32 v50, 24, v50
	v_and_b32_e32 v15, 3, v14
	v_bfe_u32 v67, v14, 2, 5
	v_ffbh_u32_e32 v51, v15
	v_cmp_eq_u32_e32 vcc_lo, 0, v67
	v_min_u32_e32 v51, 32, v51
	v_subrev_nc_u32_e32 v66, 29, v51
	v_sub_nc_u32_e32 v51, 30, v51
	v_lshlrev_b32_e32 v14, v66, v14
	v_cndmask_b32_e32 v51, v67, v51, vcc_lo
	v_and_b32_e32 v14, 3, v14
	v_cndmask_b32_e32 v14, v15, v14, vcc_lo
	v_and_b32_e32 v15, 0x80000000, v50
	v_lshl_add_u32 v50, v51, 23, 0x37800000
	v_lshlrev_b32_e32 v14, 21, v14
	v_or3_b32 v14, v15, v50, v14
.LBB4_1612:                             ;   in Loop: Header=BB4_1444 Depth=3
	s_or_b32 exec_lo, exec_lo, s62
	v_mul_f32_e32 v50, v19, v14
	v_mov_b32_e32 v66, 0x80
	s_mov_b32 s62, exec_lo
	v_and_b32_e32 v14, 0x7f800000, v50
	v_cmpx_ne_u32_e32 0x7f800000, v14
	s_cbranch_execz .LBB4_1620
; %bb.1613:                             ;   in Loop: Header=BB4_1444 Depth=3
	v_mov_b32_e32 v66, 0
	s_mov_b32 s63, exec_lo
	v_cmpx_ne_u32_e32 0, v50
	s_cbranch_execz .LBB4_1619
; %bb.1614:                             ;   in Loop: Header=BB4_1444 Depth=3
	v_bfe_u32 v14, v50, 23, 8
	v_and_b32_e32 v15, 0x7fffff, v50
	v_sub_nc_u32_e32 v51, 0x70, v14
	v_cmp_gt_u32_e32 vcc_lo, 0x71, v14
	v_or_b32_e32 v66, 0x800000, v15
	v_cndmask_b32_e32 v51, 0, v51, vcc_lo
	v_cmp_eq_u32_e32 vcc_lo, 0, v14
	v_add_nc_u32_e32 v14, 0xffffff91, v14
	v_cndmask_b32_e64 v51, v51, 0x6f, vcc_lo
	v_cndmask_b32_e32 v15, v66, v15, vcc_lo
	v_cndmask_b32_e64 v14, v14, 0xffffff92, vcc_lo
	v_lshl_add_u32 v66, 0x200000, v51, -1
	v_lshrrev_b32_e32 v67, v51, v15
	v_lshlrev_b32_e64 v69, v51, 0x100000
	v_add_nc_u32_e32 v51, v51, v14
	v_and_b32_e32 v15, v66, v15
	v_bfe_u32 v68, v67, 21, 1
	v_cmp_eq_u32_e64 s16, v15, v69
	v_add_nc_u32_e32 v66, -1, v68
	v_cndmask_b32_e64 v15, 0, v66, s16
	v_lshrrev_b32_e32 v66, 23, v67
	s_mov_b32 s16, exec_lo
	v_add_nc_u32_e32 v15, v15, v67
	v_xor_b32_e32 v66, 1, v66
	v_and_b32_e32 v14, 0x1fffff, v15
	v_add_nc_u32_e32 v15, v14, v67
                                        ; implicit-def: $vgpr14
	v_cmpx_ne_u32_e64 v51, v66
	s_xor_b32 s16, exec_lo, s16
; %bb.1615:                             ;   in Loop: Header=BB4_1444 Depth=3
	v_cmp_lt_u32_e32 vcc_lo, 0xffffff, v15
	v_sub_nc_u32_e32 v14, v51, v66
	v_cndmask_b32_e64 v51, 0, 1, vcc_lo
	v_add_co_ci_u32_e64 v14, null, 0, v14, vcc_lo
	v_lshrrev_b32_e32 v15, v51, v15
; %bb.1616:                             ;   in Loop: Header=BB4_1444 Depth=3
	s_andn2_saveexec_b32 s16, s16
; %bb.1617:                             ;   in Loop: Header=BB4_1444 Depth=3
	v_bfe_u32 v14, v15, 23, 1
; %bb.1618:                             ;   in Loop: Header=BB4_1444 Depth=3
	s_or_b32 exec_lo, exec_lo, s16
	v_lshrrev_b32_e32 v15, 21, v15
	v_cmp_gt_i32_e32 vcc_lo, 32, v14
	v_min_i32_e32 v51, 31, v14
	v_and_b32_sdwa v50, v50, v101 dst_sel:DWORD dst_unused:UNUSED_PAD src0_sel:BYTE_3 src1_sel:DWORD
	v_cndmask_b32_e32 v15, 3, v15, vcc_lo
	v_lshlrev_b32_e32 v51, 2, v51
	v_and_b32_e32 v66, 3, v15
	v_or_b32_e32 v14, v14, v15
	v_or3_b32 v15, v51, v50, v66
	v_cmp_ne_u32_e32 vcc_lo, 0, v14
	v_cndmask_b32_e32 v66, 0, v15, vcc_lo
.LBB4_1619:                             ;   in Loop: Header=BB4_1444 Depth=3
	s_or_b32 exec_lo, exec_lo, s63
.LBB4_1620:                             ;   in Loop: Header=BB4_1444 Depth=3
	s_or_b32 exec_lo, exec_lo, s62
	flat_load_ubyte v50, v[8:9] offset:384 slc
	s_mov_b32 s16, 0
	s_mov_b32 s62, exec_lo
	s_waitcnt vmcnt(0) lgkmcnt(0)
	v_cmpx_lt_i16_e32 0x7f, v50
	s_xor_b32 s62, exec_lo, s62
	s_cbranch_execz .LBB4_1698
; %bb.1621:                             ;   in Loop: Header=BB4_1444 Depth=3
	s_mov_b32 s16, -1
	s_mov_b32 s63, exec_lo
	v_cmpx_eq_u16_e32 0x80, v50
; %bb.1622:                             ;   in Loop: Header=BB4_1444 Depth=3
	s_xor_b32 s16, exec_lo, -1
; %bb.1623:                             ;   in Loop: Header=BB4_1444 Depth=3
	s_or_b32 exec_lo, exec_lo, s63
	s_and_b32 s16, s16, exec_lo
	s_or_saveexec_b32 s62, s62
	v_mov_b32_e32 v14, 0x7f800001
	s_xor_b32 exec_lo, exec_lo, s62
	s_cbranch_execnz .LBB4_1699
.LBB4_1624:                             ;   in Loop: Header=BB4_1444 Depth=3
	s_or_b32 exec_lo, exec_lo, s62
	s_and_saveexec_b32 s62, s16
	s_cbranch_execz .LBB4_1626
.LBB4_1625:                             ;   in Loop: Header=BB4_1444 Depth=3
	v_and_b32_e32 v14, 0xffff, v50
	v_lshlrev_b32_e32 v50, 24, v50
	v_and_b32_e32 v15, 3, v14
	v_bfe_u32 v68, v14, 2, 5
	v_ffbh_u32_e32 v51, v15
	v_cmp_eq_u32_e32 vcc_lo, 0, v68
	v_min_u32_e32 v51, 32, v51
	v_subrev_nc_u32_e32 v67, 29, v51
	v_sub_nc_u32_e32 v51, 30, v51
	v_lshlrev_b32_e32 v14, v67, v14
	v_cndmask_b32_e32 v51, v68, v51, vcc_lo
	v_and_b32_e32 v14, 3, v14
	v_cndmask_b32_e32 v14, v15, v14, vcc_lo
	v_and_b32_e32 v15, 0x80000000, v50
	v_lshl_add_u32 v50, v51, 23, 0x37800000
	v_lshlrev_b32_e32 v14, 21, v14
	v_or3_b32 v14, v15, v50, v14
.LBB4_1626:                             ;   in Loop: Header=BB4_1444 Depth=3
	s_or_b32 exec_lo, exec_lo, s62
	v_mul_f32_e32 v50, v19, v14
	v_mov_b32_e32 v67, 0x80
	s_mov_b32 s62, exec_lo
	v_and_b32_e32 v14, 0x7f800000, v50
	v_cmpx_ne_u32_e32 0x7f800000, v14
	s_cbranch_execz .LBB4_1634
; %bb.1627:                             ;   in Loop: Header=BB4_1444 Depth=3
	v_mov_b32_e32 v67, 0
	s_mov_b32 s63, exec_lo
	v_cmpx_ne_u32_e32 0, v50
	s_cbranch_execz .LBB4_1633
; %bb.1628:                             ;   in Loop: Header=BB4_1444 Depth=3
	v_bfe_u32 v14, v50, 23, 8
	v_and_b32_e32 v15, 0x7fffff, v50
	v_sub_nc_u32_e32 v51, 0x70, v14
	v_cmp_gt_u32_e32 vcc_lo, 0x71, v14
	v_or_b32_e32 v67, 0x800000, v15
	v_cndmask_b32_e32 v51, 0, v51, vcc_lo
	v_cmp_eq_u32_e32 vcc_lo, 0, v14
	v_add_nc_u32_e32 v14, 0xffffff91, v14
	v_cndmask_b32_e64 v51, v51, 0x6f, vcc_lo
	v_cndmask_b32_e32 v15, v67, v15, vcc_lo
	v_cndmask_b32_e64 v14, v14, 0xffffff92, vcc_lo
	v_lshl_add_u32 v67, 0x200000, v51, -1
	v_lshrrev_b32_e32 v68, v51, v15
	v_lshlrev_b32_e64 v80, v51, 0x100000
	v_add_nc_u32_e32 v51, v51, v14
	v_and_b32_e32 v15, v67, v15
	v_bfe_u32 v69, v68, 21, 1
	v_cmp_eq_u32_e64 s16, v15, v80
	v_add_nc_u32_e32 v67, -1, v69
	v_cndmask_b32_e64 v15, 0, v67, s16
	v_lshrrev_b32_e32 v67, 23, v68
	s_mov_b32 s16, exec_lo
	v_add_nc_u32_e32 v15, v15, v68
	v_xor_b32_e32 v67, 1, v67
	v_and_b32_e32 v14, 0x1fffff, v15
	v_add_nc_u32_e32 v15, v14, v68
                                        ; implicit-def: $vgpr14
	v_cmpx_ne_u32_e64 v51, v67
	s_xor_b32 s16, exec_lo, s16
; %bb.1629:                             ;   in Loop: Header=BB4_1444 Depth=3
	v_cmp_lt_u32_e32 vcc_lo, 0xffffff, v15
	v_sub_nc_u32_e32 v14, v51, v67
	v_cndmask_b32_e64 v51, 0, 1, vcc_lo
	v_add_co_ci_u32_e64 v14, null, 0, v14, vcc_lo
	v_lshrrev_b32_e32 v15, v51, v15
; %bb.1630:                             ;   in Loop: Header=BB4_1444 Depth=3
	s_andn2_saveexec_b32 s16, s16
; %bb.1631:                             ;   in Loop: Header=BB4_1444 Depth=3
	v_bfe_u32 v14, v15, 23, 1
; %bb.1632:                             ;   in Loop: Header=BB4_1444 Depth=3
	s_or_b32 exec_lo, exec_lo, s16
	v_lshrrev_b32_e32 v15, 21, v15
	v_cmp_gt_i32_e32 vcc_lo, 32, v14
	v_min_i32_e32 v51, 31, v14
	v_and_b32_sdwa v50, v50, v101 dst_sel:DWORD dst_unused:UNUSED_PAD src0_sel:BYTE_3 src1_sel:DWORD
	v_cndmask_b32_e32 v15, 3, v15, vcc_lo
	v_lshlrev_b32_e32 v51, 2, v51
	v_and_b32_e32 v67, 3, v15
	v_or_b32_e32 v14, v14, v15
	v_or3_b32 v15, v51, v50, v67
	v_cmp_ne_u32_e32 vcc_lo, 0, v14
	v_cndmask_b32_e32 v67, 0, v15, vcc_lo
.LBB4_1633:                             ;   in Loop: Header=BB4_1444 Depth=3
	s_or_b32 exec_lo, exec_lo, s63
.LBB4_1634:                             ;   in Loop: Header=BB4_1444 Depth=3
	s_or_b32 exec_lo, exec_lo, s62
	flat_load_ubyte v50, v[8:9] offset:416 slc
	s_mov_b32 s16, 0
	s_mov_b32 s62, exec_lo
	s_waitcnt vmcnt(0) lgkmcnt(0)
	v_cmpx_lt_i16_e32 0x7f, v50
	s_xor_b32 s62, exec_lo, s62
	s_cbranch_execz .LBB4_1700
; %bb.1635:                             ;   in Loop: Header=BB4_1444 Depth=3
	s_mov_b32 s16, -1
	s_mov_b32 s63, exec_lo
	v_cmpx_eq_u16_e32 0x80, v50
; %bb.1636:                             ;   in Loop: Header=BB4_1444 Depth=3
	s_xor_b32 s16, exec_lo, -1
; %bb.1637:                             ;   in Loop: Header=BB4_1444 Depth=3
	s_or_b32 exec_lo, exec_lo, s63
	s_and_b32 s16, s16, exec_lo
	s_or_saveexec_b32 s62, s62
	v_mov_b32_e32 v14, 0x7f800001
	s_xor_b32 exec_lo, exec_lo, s62
	s_cbranch_execnz .LBB4_1701
.LBB4_1638:                             ;   in Loop: Header=BB4_1444 Depth=3
	s_or_b32 exec_lo, exec_lo, s62
	s_and_saveexec_b32 s62, s16
	s_cbranch_execz .LBB4_1640
.LBB4_1639:                             ;   in Loop: Header=BB4_1444 Depth=3
	v_and_b32_e32 v14, 0xffff, v50
	v_lshlrev_b32_e32 v50, 24, v50
	v_and_b32_e32 v15, 3, v14
	v_bfe_u32 v69, v14, 2, 5
	v_ffbh_u32_e32 v51, v15
	v_cmp_eq_u32_e32 vcc_lo, 0, v69
	v_min_u32_e32 v51, 32, v51
	v_subrev_nc_u32_e32 v68, 29, v51
	v_sub_nc_u32_e32 v51, 30, v51
	v_lshlrev_b32_e32 v14, v68, v14
	v_cndmask_b32_e32 v51, v69, v51, vcc_lo
	v_and_b32_e32 v14, 3, v14
	v_cndmask_b32_e32 v14, v15, v14, vcc_lo
	v_and_b32_e32 v15, 0x80000000, v50
	v_lshl_add_u32 v50, v51, 23, 0x37800000
	v_lshlrev_b32_e32 v14, 21, v14
	v_or3_b32 v14, v15, v50, v14
.LBB4_1640:                             ;   in Loop: Header=BB4_1444 Depth=3
	s_or_b32 exec_lo, exec_lo, s62
	v_mul_f32_e32 v50, v19, v14
	v_mov_b32_e32 v68, 0x80
	s_mov_b32 s62, exec_lo
	v_and_b32_e32 v14, 0x7f800000, v50
	v_cmpx_ne_u32_e32 0x7f800000, v14
	s_cbranch_execz .LBB4_1648
; %bb.1641:                             ;   in Loop: Header=BB4_1444 Depth=3
	v_mov_b32_e32 v68, 0
	s_mov_b32 s63, exec_lo
	v_cmpx_ne_u32_e32 0, v50
	s_cbranch_execz .LBB4_1647
; %bb.1642:                             ;   in Loop: Header=BB4_1444 Depth=3
	v_bfe_u32 v14, v50, 23, 8
	v_and_b32_e32 v15, 0x7fffff, v50
	v_sub_nc_u32_e32 v51, 0x70, v14
	v_cmp_gt_u32_e32 vcc_lo, 0x71, v14
	v_or_b32_e32 v68, 0x800000, v15
	v_cndmask_b32_e32 v51, 0, v51, vcc_lo
	v_cmp_eq_u32_e32 vcc_lo, 0, v14
	v_add_nc_u32_e32 v14, 0xffffff91, v14
	v_cndmask_b32_e64 v51, v51, 0x6f, vcc_lo
	v_cndmask_b32_e32 v15, v68, v15, vcc_lo
	v_cndmask_b32_e64 v14, v14, 0xffffff92, vcc_lo
	v_lshl_add_u32 v68, 0x200000, v51, -1
	v_lshrrev_b32_e32 v69, v51, v15
	v_lshlrev_b32_e64 v81, v51, 0x100000
	v_add_nc_u32_e32 v51, v51, v14
	v_and_b32_e32 v15, v68, v15
	v_bfe_u32 v80, v69, 21, 1
	v_cmp_eq_u32_e64 s16, v15, v81
	v_add_nc_u32_e32 v68, -1, v80
	v_cndmask_b32_e64 v15, 0, v68, s16
	v_lshrrev_b32_e32 v68, 23, v69
	s_mov_b32 s16, exec_lo
	v_add_nc_u32_e32 v15, v15, v69
	v_xor_b32_e32 v68, 1, v68
	v_and_b32_e32 v14, 0x1fffff, v15
	v_add_nc_u32_e32 v15, v14, v69
                                        ; implicit-def: $vgpr14
	v_cmpx_ne_u32_e64 v51, v68
	s_xor_b32 s16, exec_lo, s16
; %bb.1643:                             ;   in Loop: Header=BB4_1444 Depth=3
	v_cmp_lt_u32_e32 vcc_lo, 0xffffff, v15
	v_sub_nc_u32_e32 v14, v51, v68
	v_cndmask_b32_e64 v51, 0, 1, vcc_lo
	v_add_co_ci_u32_e64 v14, null, 0, v14, vcc_lo
	v_lshrrev_b32_e32 v15, v51, v15
; %bb.1644:                             ;   in Loop: Header=BB4_1444 Depth=3
	s_andn2_saveexec_b32 s16, s16
; %bb.1645:                             ;   in Loop: Header=BB4_1444 Depth=3
	v_bfe_u32 v14, v15, 23, 1
; %bb.1646:                             ;   in Loop: Header=BB4_1444 Depth=3
	s_or_b32 exec_lo, exec_lo, s16
	v_lshrrev_b32_e32 v15, 21, v15
	v_cmp_gt_i32_e32 vcc_lo, 32, v14
	v_min_i32_e32 v51, 31, v14
	v_and_b32_sdwa v50, v50, v101 dst_sel:DWORD dst_unused:UNUSED_PAD src0_sel:BYTE_3 src1_sel:DWORD
	v_cndmask_b32_e32 v15, 3, v15, vcc_lo
	v_lshlrev_b32_e32 v51, 2, v51
	v_and_b32_e32 v68, 3, v15
	v_or_b32_e32 v14, v14, v15
	v_or3_b32 v15, v51, v50, v68
	v_cmp_ne_u32_e32 vcc_lo, 0, v14
	v_cndmask_b32_e32 v68, 0, v15, vcc_lo
.LBB4_1647:                             ;   in Loop: Header=BB4_1444 Depth=3
	s_or_b32 exec_lo, exec_lo, s63
.LBB4_1648:                             ;   in Loop: Header=BB4_1444 Depth=3
	s_or_b32 exec_lo, exec_lo, s62
	flat_load_ubyte v50, v[8:9] offset:448 slc
	s_mov_b32 s16, 0
	s_mov_b32 s62, exec_lo
	s_waitcnt vmcnt(0) lgkmcnt(0)
	v_cmpx_lt_i16_e32 0x7f, v50
	s_xor_b32 s62, exec_lo, s62
	s_cbranch_execz .LBB4_1702
; %bb.1649:                             ;   in Loop: Header=BB4_1444 Depth=3
	s_mov_b32 s16, -1
	s_mov_b32 s63, exec_lo
	v_cmpx_eq_u16_e32 0x80, v50
; %bb.1650:                             ;   in Loop: Header=BB4_1444 Depth=3
	s_xor_b32 s16, exec_lo, -1
; %bb.1651:                             ;   in Loop: Header=BB4_1444 Depth=3
	s_or_b32 exec_lo, exec_lo, s63
	s_and_b32 s16, s16, exec_lo
	s_or_saveexec_b32 s62, s62
	v_mov_b32_e32 v14, 0x7f800001
	s_xor_b32 exec_lo, exec_lo, s62
	s_cbranch_execnz .LBB4_1703
.LBB4_1652:                             ;   in Loop: Header=BB4_1444 Depth=3
	s_or_b32 exec_lo, exec_lo, s62
	s_and_saveexec_b32 s62, s16
	s_cbranch_execz .LBB4_1654
.LBB4_1653:                             ;   in Loop: Header=BB4_1444 Depth=3
	v_and_b32_e32 v14, 0xffff, v50
	v_lshlrev_b32_e32 v50, 24, v50
	v_and_b32_e32 v15, 3, v14
	v_bfe_u32 v80, v14, 2, 5
	v_ffbh_u32_e32 v51, v15
	v_cmp_eq_u32_e32 vcc_lo, 0, v80
	v_min_u32_e32 v51, 32, v51
	v_subrev_nc_u32_e32 v69, 29, v51
	v_sub_nc_u32_e32 v51, 30, v51
	v_lshlrev_b32_e32 v14, v69, v14
	v_cndmask_b32_e32 v51, v80, v51, vcc_lo
	v_and_b32_e32 v14, 3, v14
	v_cndmask_b32_e32 v14, v15, v14, vcc_lo
	v_and_b32_e32 v15, 0x80000000, v50
	v_lshl_add_u32 v50, v51, 23, 0x37800000
	v_lshlrev_b32_e32 v14, 21, v14
	v_or3_b32 v14, v15, v50, v14
.LBB4_1654:                             ;   in Loop: Header=BB4_1444 Depth=3
	s_or_b32 exec_lo, exec_lo, s62
	v_mul_f32_e32 v51, v19, v14
	v_mov_b32_e32 v50, 0x80
	s_mov_b32 s62, exec_lo
	v_and_b32_e32 v14, 0x7f800000, v51
	v_cmpx_ne_u32_e32 0x7f800000, v14
	s_cbranch_execz .LBB4_1662
; %bb.1655:                             ;   in Loop: Header=BB4_1444 Depth=3
	v_mov_b32_e32 v50, 0
	s_mov_b32 s63, exec_lo
	v_cmpx_ne_u32_e32 0, v51
	s_cbranch_execz .LBB4_1661
; %bb.1656:                             ;   in Loop: Header=BB4_1444 Depth=3
	v_bfe_u32 v14, v51, 23, 8
	v_and_b32_e32 v15, 0x7fffff, v51
	v_sub_nc_u32_e32 v50, 0x70, v14
	v_cmp_gt_u32_e32 vcc_lo, 0x71, v14
	v_or_b32_e32 v69, 0x800000, v15
	v_cndmask_b32_e32 v50, 0, v50, vcc_lo
	v_cmp_eq_u32_e32 vcc_lo, 0, v14
	v_add_nc_u32_e32 v14, 0xffffff91, v14
	v_cndmask_b32_e64 v50, v50, 0x6f, vcc_lo
	v_cndmask_b32_e32 v15, v69, v15, vcc_lo
	v_cndmask_b32_e64 v14, v14, 0xffffff92, vcc_lo
	v_lshl_add_u32 v69, 0x200000, v50, -1
	v_lshrrev_b32_e32 v80, v50, v15
	v_lshlrev_b32_e64 v82, v50, 0x100000
	v_add_nc_u32_e32 v50, v50, v14
	v_and_b32_e32 v15, v69, v15
	v_bfe_u32 v81, v80, 21, 1
	v_cmp_eq_u32_e64 s16, v15, v82
	v_add_nc_u32_e32 v69, -1, v81
	v_cndmask_b32_e64 v15, 0, v69, s16
	v_lshrrev_b32_e32 v69, 23, v80
	s_mov_b32 s16, exec_lo
	v_add_nc_u32_e32 v15, v15, v80
	v_xor_b32_e32 v69, 1, v69
	v_and_b32_e32 v14, 0x1fffff, v15
	v_add_nc_u32_e32 v15, v14, v80
                                        ; implicit-def: $vgpr14
	v_cmpx_ne_u32_e64 v50, v69
	s_xor_b32 s16, exec_lo, s16
; %bb.1657:                             ;   in Loop: Header=BB4_1444 Depth=3
	v_cmp_lt_u32_e32 vcc_lo, 0xffffff, v15
	v_sub_nc_u32_e32 v14, v50, v69
	v_cndmask_b32_e64 v50, 0, 1, vcc_lo
	v_add_co_ci_u32_e64 v14, null, 0, v14, vcc_lo
	v_lshrrev_b32_e32 v15, v50, v15
; %bb.1658:                             ;   in Loop: Header=BB4_1444 Depth=3
	s_andn2_saveexec_b32 s16, s16
; %bb.1659:                             ;   in Loop: Header=BB4_1444 Depth=3
	v_bfe_u32 v14, v15, 23, 1
; %bb.1660:                             ;   in Loop: Header=BB4_1444 Depth=3
	s_or_b32 exec_lo, exec_lo, s16
	v_lshrrev_b32_e32 v15, 21, v15
	v_cmp_gt_i32_e32 vcc_lo, 32, v14
	v_min_i32_e32 v50, 31, v14
	v_and_b32_sdwa v51, v51, v101 dst_sel:DWORD dst_unused:UNUSED_PAD src0_sel:BYTE_3 src1_sel:DWORD
	v_cndmask_b32_e32 v15, 3, v15, vcc_lo
	v_lshlrev_b32_e32 v50, 2, v50
	v_and_b32_e32 v69, 3, v15
	v_or_b32_e32 v14, v14, v15
	v_or3_b32 v15, v50, v51, v69
	v_cmp_ne_u32_e32 vcc_lo, 0, v14
	v_cndmask_b32_e32 v50, 0, v15, vcc_lo
.LBB4_1661:                             ;   in Loop: Header=BB4_1444 Depth=3
	s_or_b32 exec_lo, exec_lo, s63
.LBB4_1662:                             ;   in Loop: Header=BB4_1444 Depth=3
	s_or_b32 exec_lo, exec_lo, s62
	flat_load_ubyte v8, v[8:9] offset:480 slc
	s_mov_b32 s16, 0
	s_mov_b32 s62, exec_lo
	s_waitcnt vmcnt(0) lgkmcnt(0)
	v_cmpx_lt_i16_e32 0x7f, v8
	s_xor_b32 s62, exec_lo, s62
	s_cbranch_execz .LBB4_1704
; %bb.1663:                             ;   in Loop: Header=BB4_1444 Depth=3
	s_mov_b32 s16, -1
	s_mov_b32 s63, exec_lo
	v_cmpx_eq_u16_e32 0x80, v8
; %bb.1664:                             ;   in Loop: Header=BB4_1444 Depth=3
	s_xor_b32 s16, exec_lo, -1
; %bb.1665:                             ;   in Loop: Header=BB4_1444 Depth=3
	s_or_b32 exec_lo, exec_lo, s63
	s_and_b32 s16, s16, exec_lo
	s_or_saveexec_b32 s62, s62
	v_mov_b32_e32 v9, 0x7f800001
	s_xor_b32 exec_lo, exec_lo, s62
	s_cbranch_execnz .LBB4_1705
.LBB4_1666:                             ;   in Loop: Header=BB4_1444 Depth=3
	s_or_b32 exec_lo, exec_lo, s62
	s_and_saveexec_b32 s62, s16
	s_cbranch_execz .LBB4_1668
.LBB4_1667:                             ;   in Loop: Header=BB4_1444 Depth=3
	v_and_b32_e32 v9, 0xffff, v8
	v_lshlrev_b32_e32 v8, 24, v8
	v_and_b32_e32 v14, 3, v9
	v_bfe_u32 v69, v9, 2, 5
	v_and_b32_e32 v8, 0x80000000, v8
	v_ffbh_u32_e32 v15, v14
	v_cmp_eq_u32_e32 vcc_lo, 0, v69
	v_min_u32_e32 v15, 32, v15
	v_subrev_nc_u32_e32 v51, 29, v15
	v_sub_nc_u32_e32 v15, 30, v15
	v_lshlrev_b32_e32 v9, v51, v9
	v_cndmask_b32_e32 v15, v69, v15, vcc_lo
	v_and_b32_e32 v9, 3, v9
	v_cndmask_b32_e32 v9, v14, v9, vcc_lo
	v_lshl_add_u32 v14, v15, 23, 0x37800000
	v_lshlrev_b32_e32 v9, 21, v9
	v_or3_b32 v9, v8, v14, v9
.LBB4_1668:                             ;   in Loop: Header=BB4_1444 Depth=3
	s_or_b32 exec_lo, exec_lo, s62
	v_mul_f32_e32 v8, v19, v9
	v_and_b32_e32 v9, 0x7f800000, v8
	v_cmp_ne_u32_e32 vcc_lo, 0x7f800000, v9
	v_mov_b32_e32 v9, 0x80
	s_and_saveexec_b32 s62, vcc_lo
	s_cbranch_execz .LBB4_1443
; %bb.1669:                             ;   in Loop: Header=BB4_1444 Depth=3
	v_mov_b32_e32 v9, 0
	s_mov_b32 s63, exec_lo
	v_cmpx_ne_u32_e32 0, v8
	s_cbranch_execz .LBB4_1442
; %bb.1670:                             ;   in Loop: Header=BB4_1444 Depth=3
	v_bfe_u32 v9, v8, 23, 8
	v_and_b32_e32 v14, 0x7fffff, v8
	v_sub_nc_u32_e32 v15, 0x70, v9
	v_cmp_gt_u32_e32 vcc_lo, 0x71, v9
	v_or_b32_e32 v19, 0x800000, v14
	v_cndmask_b32_e32 v15, 0, v15, vcc_lo
	v_cmp_eq_u32_e32 vcc_lo, 0, v9
	v_add_nc_u32_e32 v9, 0xffffff91, v9
	v_cndmask_b32_e64 v15, v15, 0x6f, vcc_lo
	v_cndmask_b32_e32 v14, v19, v14, vcc_lo
	v_cndmask_b32_e64 v9, v9, 0xffffff92, vcc_lo
	v_lshl_add_u32 v19, 0x200000, v15, -1
	v_lshrrev_b32_e32 v51, v15, v14
	v_lshlrev_b32_e64 v80, v15, 0x100000
	v_add_nc_u32_e32 v15, v15, v9
	v_and_b32_e32 v14, v19, v14
	v_bfe_u32 v69, v51, 21, 1
	v_cmp_eq_u32_e64 s16, v14, v80
	v_add_nc_u32_e32 v19, -1, v69
	v_cndmask_b32_e64 v14, 0, v19, s16
	v_lshrrev_b32_e32 v19, 23, v51
	s_mov_b32 s16, exec_lo
	v_add_nc_u32_e32 v14, v14, v51
	v_xor_b32_e32 v19, 1, v19
	v_and_b32_e32 v9, 0x1fffff, v14
	v_add_nc_u32_e32 v14, v9, v51
                                        ; implicit-def: $vgpr9
	v_cmpx_ne_u32_e64 v15, v19
	s_xor_b32 s16, exec_lo, s16
; %bb.1671:                             ;   in Loop: Header=BB4_1444 Depth=3
	v_cmp_lt_u32_e32 vcc_lo, 0xffffff, v14
	v_sub_nc_u32_e32 v9, v15, v19
	v_cndmask_b32_e64 v15, 0, 1, vcc_lo
	v_add_co_ci_u32_e64 v9, null, 0, v9, vcc_lo
	v_lshrrev_b32_e32 v14, v15, v14
; %bb.1672:                             ;   in Loop: Header=BB4_1444 Depth=3
	s_andn2_saveexec_b32 s16, s16
	s_cbranch_execz .LBB4_1441
; %bb.1673:                             ;   in Loop: Header=BB4_1444 Depth=3
	v_bfe_u32 v9, v14, 23, 1
	s_branch .LBB4_1441
.LBB4_1674:                             ;   in Loop: Header=BB4_1444 Depth=3
	s_or_saveexec_b32 s62, s62
	v_mov_b32_e32 v14, 0x7f800001
	s_xor_b32 exec_lo, exec_lo, s62
	s_cbranch_execz .LBB4_1456
.LBB4_1675:                             ;   in Loop: Header=BB4_1444 Depth=3
	v_cmp_ne_u16_e32 vcc_lo, 0, v1
	v_mov_b32_e32 v14, 0
	s_andn2_b32 s16, s16, exec_lo
	s_and_b32 s63, vcc_lo, exec_lo
	s_or_b32 s16, s16, s63
	s_or_b32 exec_lo, exec_lo, s62
	s_and_saveexec_b32 s62, s16
	s_cbranch_execnz .LBB4_1457
	s_branch .LBB4_1458
.LBB4_1676:                             ;   in Loop: Header=BB4_1444 Depth=3
	s_or_saveexec_b32 s62, s62
	v_mov_b32_e32 v14, 0x7f800001
	s_xor_b32 exec_lo, exec_lo, s62
	s_cbranch_execz .LBB4_1470
.LBB4_1677:                             ;   in Loop: Header=BB4_1444 Depth=3
	v_cmp_ne_u16_e32 vcc_lo, 0, v1
	v_mov_b32_e32 v14, 0
	s_andn2_b32 s16, s16, exec_lo
	s_and_b32 s63, vcc_lo, exec_lo
	s_or_b32 s16, s16, s63
	s_or_b32 exec_lo, exec_lo, s62
	s_and_saveexec_b32 s62, s16
	s_cbranch_execnz .LBB4_1471
	s_branch .LBB4_1472
.LBB4_1678:                             ;   in Loop: Header=BB4_1444 Depth=3
	s_or_saveexec_b32 s62, s62
	v_mov_b32_e32 v14, 0x7f800001
	s_xor_b32 exec_lo, exec_lo, s62
	s_cbranch_execz .LBB4_1484
.LBB4_1679:                             ;   in Loop: Header=BB4_1444 Depth=3
	v_cmp_ne_u16_e32 vcc_lo, 0, v1
	v_mov_b32_e32 v14, 0
	s_andn2_b32 s16, s16, exec_lo
	s_and_b32 s63, vcc_lo, exec_lo
	s_or_b32 s16, s16, s63
	s_or_b32 exec_lo, exec_lo, s62
	s_and_saveexec_b32 s62, s16
	s_cbranch_execnz .LBB4_1485
	s_branch .LBB4_1486
.LBB4_1680:                             ;   in Loop: Header=BB4_1444 Depth=3
	s_or_saveexec_b32 s62, s62
	v_mov_b32_e32 v14, 0x7f800001
	s_xor_b32 exec_lo, exec_lo, s62
	s_cbranch_execz .LBB4_1498
.LBB4_1681:                             ;   in Loop: Header=BB4_1444 Depth=3
	v_cmp_ne_u16_e32 vcc_lo, 0, v1
	v_mov_b32_e32 v14, 0
	s_andn2_b32 s16, s16, exec_lo
	s_and_b32 s63, vcc_lo, exec_lo
	s_or_b32 s16, s16, s63
	s_or_b32 exec_lo, exec_lo, s62
	s_and_saveexec_b32 s62, s16
	s_cbranch_execnz .LBB4_1499
	s_branch .LBB4_1500
.LBB4_1682:                             ;   in Loop: Header=BB4_1444 Depth=3
	s_or_saveexec_b32 s62, s62
	v_mov_b32_e32 v14, 0x7f800001
	s_xor_b32 exec_lo, exec_lo, s62
	s_cbranch_execz .LBB4_1512
.LBB4_1683:                             ;   in Loop: Header=BB4_1444 Depth=3
	v_cmp_ne_u16_e32 vcc_lo, 0, v1
	v_mov_b32_e32 v14, 0
	s_andn2_b32 s16, s16, exec_lo
	s_and_b32 s63, vcc_lo, exec_lo
	s_or_b32 s16, s16, s63
	s_or_b32 exec_lo, exec_lo, s62
	s_and_saveexec_b32 s62, s16
	s_cbranch_execnz .LBB4_1513
	s_branch .LBB4_1514
.LBB4_1684:                             ;   in Loop: Header=BB4_1444 Depth=3
	s_or_saveexec_b32 s62, s62
	v_mov_b32_e32 v14, 0x7f800001
	s_xor_b32 exec_lo, exec_lo, s62
	s_cbranch_execz .LBB4_1526
.LBB4_1685:                             ;   in Loop: Header=BB4_1444 Depth=3
	v_cmp_ne_u16_e32 vcc_lo, 0, v1
	v_mov_b32_e32 v14, 0
	s_andn2_b32 s16, s16, exec_lo
	s_and_b32 s63, vcc_lo, exec_lo
	s_or_b32 s16, s16, s63
	s_or_b32 exec_lo, exec_lo, s62
	s_and_saveexec_b32 s62, s16
	s_cbranch_execnz .LBB4_1527
	s_branch .LBB4_1528
.LBB4_1686:                             ;   in Loop: Header=BB4_1444 Depth=3
	s_or_saveexec_b32 s62, s62
	v_mov_b32_e32 v14, 0x7f800001
	s_xor_b32 exec_lo, exec_lo, s62
	s_cbranch_execz .LBB4_1540
.LBB4_1687:                             ;   in Loop: Header=BB4_1444 Depth=3
	v_cmp_ne_u16_e32 vcc_lo, 0, v1
	v_mov_b32_e32 v14, 0
	s_andn2_b32 s16, s16, exec_lo
	s_and_b32 s63, vcc_lo, exec_lo
	s_or_b32 s16, s16, s63
	s_or_b32 exec_lo, exec_lo, s62
	s_and_saveexec_b32 s62, s16
	s_cbranch_execnz .LBB4_1541
	s_branch .LBB4_1542
.LBB4_1688:                             ;   in Loop: Header=BB4_1444 Depth=3
	s_or_saveexec_b32 s62, s62
	v_mov_b32_e32 v14, 0x7f800001
	s_xor_b32 exec_lo, exec_lo, s62
	s_cbranch_execz .LBB4_1554
.LBB4_1689:                             ;   in Loop: Header=BB4_1444 Depth=3
	v_cmp_ne_u16_e32 vcc_lo, 0, v1
	v_mov_b32_e32 v14, 0
	s_andn2_b32 s16, s16, exec_lo
	s_and_b32 s63, vcc_lo, exec_lo
	s_or_b32 s16, s16, s63
	s_or_b32 exec_lo, exec_lo, s62
	s_and_saveexec_b32 s62, s16
	s_cbranch_execnz .LBB4_1555
	s_branch .LBB4_1556
.LBB4_1690:                             ;   in Loop: Header=BB4_1444 Depth=3
	s_or_saveexec_b32 s62, s62
	v_mov_b32_e32 v14, 0x7f800001
	s_xor_b32 exec_lo, exec_lo, s62
	s_cbranch_execz .LBB4_1568
.LBB4_1691:                             ;   in Loop: Header=BB4_1444 Depth=3
	v_cmp_ne_u16_e32 vcc_lo, 0, v1
	v_mov_b32_e32 v14, 0
	s_andn2_b32 s16, s16, exec_lo
	s_and_b32 s63, vcc_lo, exec_lo
	s_or_b32 s16, s16, s63
	s_or_b32 exec_lo, exec_lo, s62
	s_and_saveexec_b32 s62, s16
	s_cbranch_execnz .LBB4_1569
	s_branch .LBB4_1570
.LBB4_1692:                             ;   in Loop: Header=BB4_1444 Depth=3
	s_or_saveexec_b32 s62, s62
	v_mov_b32_e32 v14, 0x7f800001
	s_xor_b32 exec_lo, exec_lo, s62
	s_cbranch_execz .LBB4_1582
.LBB4_1693:                             ;   in Loop: Header=BB4_1444 Depth=3
	v_cmp_ne_u16_e32 vcc_lo, 0, v50
	v_mov_b32_e32 v14, 0
	s_andn2_b32 s16, s16, exec_lo
	s_and_b32 s63, vcc_lo, exec_lo
	s_or_b32 s16, s16, s63
	s_or_b32 exec_lo, exec_lo, s62
	s_and_saveexec_b32 s62, s16
	s_cbranch_execnz .LBB4_1583
	s_branch .LBB4_1584
.LBB4_1694:                             ;   in Loop: Header=BB4_1444 Depth=3
	s_or_saveexec_b32 s62, s62
	v_mov_b32_e32 v14, 0x7f800001
	s_xor_b32 exec_lo, exec_lo, s62
	s_cbranch_execz .LBB4_1596
.LBB4_1695:                             ;   in Loop: Header=BB4_1444 Depth=3
	v_cmp_ne_u16_e32 vcc_lo, 0, v50
	v_mov_b32_e32 v14, 0
	s_andn2_b32 s16, s16, exec_lo
	s_and_b32 s63, vcc_lo, exec_lo
	s_or_b32 s16, s16, s63
	s_or_b32 exec_lo, exec_lo, s62
	s_and_saveexec_b32 s62, s16
	s_cbranch_execnz .LBB4_1597
	s_branch .LBB4_1598
.LBB4_1696:                             ;   in Loop: Header=BB4_1444 Depth=3
	s_or_saveexec_b32 s62, s62
	v_mov_b32_e32 v14, 0x7f800001
	s_xor_b32 exec_lo, exec_lo, s62
	s_cbranch_execz .LBB4_1610
.LBB4_1697:                             ;   in Loop: Header=BB4_1444 Depth=3
	v_cmp_ne_u16_e32 vcc_lo, 0, v50
	v_mov_b32_e32 v14, 0
	s_andn2_b32 s16, s16, exec_lo
	s_and_b32 s63, vcc_lo, exec_lo
	s_or_b32 s16, s16, s63
	s_or_b32 exec_lo, exec_lo, s62
	s_and_saveexec_b32 s62, s16
	s_cbranch_execnz .LBB4_1611
	s_branch .LBB4_1612
.LBB4_1698:                             ;   in Loop: Header=BB4_1444 Depth=3
	s_or_saveexec_b32 s62, s62
	v_mov_b32_e32 v14, 0x7f800001
	s_xor_b32 exec_lo, exec_lo, s62
	s_cbranch_execz .LBB4_1624
.LBB4_1699:                             ;   in Loop: Header=BB4_1444 Depth=3
	v_cmp_ne_u16_e32 vcc_lo, 0, v50
	v_mov_b32_e32 v14, 0
	s_andn2_b32 s16, s16, exec_lo
	s_and_b32 s63, vcc_lo, exec_lo
	s_or_b32 s16, s16, s63
	s_or_b32 exec_lo, exec_lo, s62
	s_and_saveexec_b32 s62, s16
	s_cbranch_execnz .LBB4_1625
	s_branch .LBB4_1626
.LBB4_1700:                             ;   in Loop: Header=BB4_1444 Depth=3
	s_or_saveexec_b32 s62, s62
	v_mov_b32_e32 v14, 0x7f800001
	s_xor_b32 exec_lo, exec_lo, s62
	s_cbranch_execz .LBB4_1638
.LBB4_1701:                             ;   in Loop: Header=BB4_1444 Depth=3
	v_cmp_ne_u16_e32 vcc_lo, 0, v50
	v_mov_b32_e32 v14, 0
	s_andn2_b32 s16, s16, exec_lo
	s_and_b32 s63, vcc_lo, exec_lo
	s_or_b32 s16, s16, s63
	s_or_b32 exec_lo, exec_lo, s62
	s_and_saveexec_b32 s62, s16
	s_cbranch_execnz .LBB4_1639
	s_branch .LBB4_1640
.LBB4_1702:                             ;   in Loop: Header=BB4_1444 Depth=3
	s_or_saveexec_b32 s62, s62
	v_mov_b32_e32 v14, 0x7f800001
	s_xor_b32 exec_lo, exec_lo, s62
	s_cbranch_execz .LBB4_1652
.LBB4_1703:                             ;   in Loop: Header=BB4_1444 Depth=3
	v_cmp_ne_u16_e32 vcc_lo, 0, v50
	v_mov_b32_e32 v14, 0
	s_andn2_b32 s16, s16, exec_lo
	s_and_b32 s63, vcc_lo, exec_lo
	s_or_b32 s16, s16, s63
	s_or_b32 exec_lo, exec_lo, s62
	s_and_saveexec_b32 s62, s16
	s_cbranch_execnz .LBB4_1653
	s_branch .LBB4_1654
.LBB4_1704:                             ;   in Loop: Header=BB4_1444 Depth=3
	s_or_saveexec_b32 s62, s62
	v_mov_b32_e32 v9, 0x7f800001
	s_xor_b32 exec_lo, exec_lo, s62
	s_cbranch_execz .LBB4_1666
.LBB4_1705:                             ;   in Loop: Header=BB4_1444 Depth=3
	v_cmp_ne_u16_e32 vcc_lo, 0, v8
	v_mov_b32_e32 v9, 0
	s_andn2_b32 s16, s16, exec_lo
	s_and_b32 s63, vcc_lo, exec_lo
	s_or_b32 s16, s16, s63
	s_or_b32 exec_lo, exec_lo, s62
	s_and_saveexec_b32 s62, s16
	s_cbranch_execnz .LBB4_1667
	s_branch .LBB4_1668
.LBB4_1706:                             ;   in Loop: Header=BB4_57 Depth=2
	s_or_b32 exec_lo, exec_lo, s61
.LBB4_1707:                             ;   in Loop: Header=BB4_57 Depth=2
	s_or_b32 exec_lo, exec_lo, s23
	v_lshlrev_b32_e32 v1, 9, v16
	v_cmp_ne_u32_e32 vcc_lo, v10, v1
	s_and_b32 exec_lo, exec_lo, vcc_lo
	s_cbranch_execz .LBB4_1735
; %bb.1708:                             ;   in Loop: Header=BB4_57 Depth=2
	v_lshlrev_b32_e32 v5, 5, v5
	v_lshlrev_b32_e32 v8, 5, v13
	v_sub_nc_u32_e32 v5, v11, v5
	v_sub_nc_u32_e32 v5, v5, v8
	v_add_nc_u32_e32 v5, v1, v5
	v_sub_nc_u32_e32 v1, v10, v5
	v_cmp_lt_i32_e32 vcc_lo, 0, v1
	s_and_b32 exec_lo, exec_lo, vcc_lo
	s_cbranch_execz .LBB4_1735
; %bb.1709:                             ;   in Loop: Header=BB4_57 Depth=2
	s_trap 2
	ds_read_b64 v[8:9], v0
	v_add_nc_u32_e32 v4, v5, v4
	s_mov_b32 s23, 0
	v_ashrrev_i32_e32 v5, 31, v4
	s_branch .LBB4_1713
.LBB4_1710:                             ;   in Loop: Header=BB4_1713 Depth=3
	s_or_b32 exec_lo, exec_lo, s16
	v_lshrrev_b32_e32 v15, 21, v15
	v_cmp_gt_i32_e32 vcc_lo, 32, v14
	v_min_i32_e32 v16, 31, v14
	v_and_b32_sdwa v13, v13, v101 dst_sel:DWORD dst_unused:UNUSED_PAD src0_sel:BYTE_3 src1_sel:DWORD
	v_cndmask_b32_e32 v15, 3, v15, vcc_lo
	v_lshlrev_b32_e32 v16, 2, v16
	v_and_b32_e32 v17, 3, v15
	v_or_b32_e32 v14, v14, v15
	v_or3_b32 v13, v16, v13, v17
	v_cmp_ne_u32_e32 vcc_lo, 0, v14
	v_cndmask_b32_e32 v14, 0, v13, vcc_lo
.LBB4_1711:                             ;   in Loop: Header=BB4_1713 Depth=3
	s_or_b32 exec_lo, exec_lo, s62
.LBB4_1712:                             ;   in Loop: Header=BB4_1713 Depth=3
	s_or_b32 exec_lo, exec_lo, s61
	v_sub_nc_u32_e32 v1, v1, v98
	v_add_co_u32 v4, s16, v4, v98
	v_add_co_ci_u32_e64 v5, null, 0, v5, s16
	v_cmp_gt_i32_e32 vcc_lo, 1, v1
	flat_store_byte v[10:11], v14 glc slc
	s_or_b32 s23, vcc_lo, s23
	s_andn2_b32 exec_lo, exec_lo, s23
	s_cbranch_execz .LBB4_1735
.LBB4_1713:                             ;   Parent Loop BB4_47 Depth=1
                                        ;     Parent Loop BB4_57 Depth=2
                                        ; =>    This Inner Loop Header: Depth=3
	s_trap 2
	ds_read_b64 v[10:11], v0
	s_waitcnt lgkmcnt(0)
	v_readfirstlane_b32 s16, v10
	s_and_b32 s61, s16, 0xff
	s_cmpk_lt_i32 s61, 0x80
	s_cbranch_scc1 .LBB4_1717
; %bb.1714:                             ;   in Loop: Header=BB4_1713 Depth=3
	s_and_b32 s62, 0xffff, s61
	s_cmpk_eq_i32 s62, 0x80
	s_mov_b32 s62, -1
	s_cbranch_scc0 .LBB4_1716
; %bb.1715:                             ;   in Loop: Header=BB4_1713 Depth=3
	s_mov_b32 s62, 0
.LBB4_1716:                             ;   in Loop: Header=BB4_1713 Depth=3
	s_mov_b32 s63, 0x7f800001
	s_branch .LBB4_1719
.LBB4_1717:                             ;   in Loop: Header=BB4_1713 Depth=3
	s_mov_b32 s62, 0
	s_mov_b32 s63, 0x7f800001
	s_cbranch_execz .LBB4_1719
; %bb.1718:                             ;   in Loop: Header=BB4_1713 Depth=3
	s_and_b32 s61, 0xffff, s61
	s_mov_b32 s63, 0
	s_cmp_lg_u32 s61, 0
	s_cselect_b32 s62, -1, 0
.LBB4_1719:                             ;   in Loop: Header=BB4_1713 Depth=3
	v_mov_b32_e32 v13, s63
	s_andn2_b32 vcc_lo, exec_lo, s62
	s_cbranch_vccnz .LBB4_1721
; %bb.1720:                             ;   in Loop: Header=BB4_1713 Depth=3
	s_and_b32 s61, s16, 3
	s_bfe_u32 s63, s16, 0x50002
	s_flbit_i32_b32 s62, s61
	v_lshlrev_b32_e32 v10, 24, v10
	s_min_u32 s62, s62, 32
	s_sub_i32 s72, s62, 29
	s_sub_i32 s62, 30, s62
	s_lshl_b32 s16, s16, s72
	v_and_b32_e32 v10, 0x80000000, v10
	s_and_b32 s16, s16, 3
	s_cmp_eq_u32 s63, 0
	s_cselect_b32 s62, s62, s63
	s_cselect_b32 s16, s16, s61
	s_lshl_b32 s61, s62, 23
	s_lshl_b32 s16, s16, 21
	s_add_i32 s61, s61, 0x37800000
	v_or_b32_e32 v10, s61, v10
	v_or_b32_e32 v13, s16, v10
.LBB4_1721:                             ;   in Loop: Header=BB4_1713 Depth=3
	v_add_co_u32 v10, vcc_lo, v8, v4
	v_add_co_ci_u32_e64 v11, null, v9, v5, vcc_lo
	s_mov_b32 s16, 0
	s_mov_b32 s61, exec_lo
	flat_load_ubyte v16, v[10:11] slc
	s_waitcnt vmcnt(0) lgkmcnt(0)
	v_cmpx_lt_i16_e32 0x7f, v16
	s_xor_b32 s61, exec_lo, s61
	s_cbranch_execz .LBB4_1733
; %bb.1722:                             ;   in Loop: Header=BB4_1713 Depth=3
	s_mov_b32 s16, -1
	s_mov_b32 s62, exec_lo
	v_cmpx_eq_u16_e32 0x80, v16
; %bb.1723:                             ;   in Loop: Header=BB4_1713 Depth=3
	s_xor_b32 s16, exec_lo, -1
; %bb.1724:                             ;   in Loop: Header=BB4_1713 Depth=3
	s_or_b32 exec_lo, exec_lo, s62
	s_and_b32 s16, s16, exec_lo
	s_or_saveexec_b32 s61, s61
	v_mov_b32_e32 v14, 0x7f800001
	s_xor_b32 exec_lo, exec_lo, s61
	s_cbranch_execnz .LBB4_1734
.LBB4_1725:                             ;   in Loop: Header=BB4_1713 Depth=3
	s_or_b32 exec_lo, exec_lo, s61
	s_and_saveexec_b32 s61, s16
	s_cbranch_execz .LBB4_1727
.LBB4_1726:                             ;   in Loop: Header=BB4_1713 Depth=3
	v_and_b32_e32 v14, 0xffff, v16
	v_lshlrev_b32_e32 v16, 24, v16
	v_and_b32_e32 v15, 3, v14
	v_bfe_u32 v19, v14, 2, 5
	v_ffbh_u32_e32 v17, v15
	v_cmp_eq_u32_e32 vcc_lo, 0, v19
	v_min_u32_e32 v17, 32, v17
	v_subrev_nc_u32_e32 v18, 29, v17
	v_sub_nc_u32_e32 v17, 30, v17
	v_lshlrev_b32_e32 v14, v18, v14
	v_cndmask_b32_e32 v17, v19, v17, vcc_lo
	v_and_b32_e32 v14, 3, v14
	v_cndmask_b32_e32 v14, v15, v14, vcc_lo
	v_and_b32_e32 v15, 0x80000000, v16
	v_lshl_add_u32 v16, v17, 23, 0x37800000
	v_lshlrev_b32_e32 v14, 21, v14
	v_or3_b32 v14, v15, v16, v14
.LBB4_1727:                             ;   in Loop: Header=BB4_1713 Depth=3
	s_or_b32 exec_lo, exec_lo, s61
	v_mul_f32_e32 v13, v13, v14
	v_and_b32_e32 v14, 0x7f800000, v13
	v_cmp_ne_u32_e32 vcc_lo, 0x7f800000, v14
	v_mov_b32_e32 v14, 0x80
	s_and_saveexec_b32 s61, vcc_lo
	s_cbranch_execz .LBB4_1712
; %bb.1728:                             ;   in Loop: Header=BB4_1713 Depth=3
	v_mov_b32_e32 v14, 0
	s_mov_b32 s62, exec_lo
	v_cmpx_ne_u32_e32 0, v13
	s_cbranch_execz .LBB4_1711
; %bb.1729:                             ;   in Loop: Header=BB4_1713 Depth=3
	v_bfe_u32 v14, v13, 23, 8
	v_and_b32_e32 v15, 0x7fffff, v13
	v_sub_nc_u32_e32 v16, 0x70, v14
	v_cmp_gt_u32_e32 vcc_lo, 0x71, v14
	v_or_b32_e32 v17, 0x800000, v15
	v_cndmask_b32_e32 v16, 0, v16, vcc_lo
	v_cmp_eq_u32_e32 vcc_lo, 0, v14
	v_add_nc_u32_e32 v14, 0xffffff91, v14
	v_cndmask_b32_e64 v16, v16, 0x6f, vcc_lo
	v_cndmask_b32_e32 v15, v17, v15, vcc_lo
	v_cndmask_b32_e64 v14, v14, 0xffffff92, vcc_lo
	v_lshl_add_u32 v17, 0x200000, v16, -1
	v_lshrrev_b32_e32 v18, v16, v15
	v_lshlrev_b32_e64 v20, v16, 0x100000
	v_add_nc_u32_e32 v16, v16, v14
	v_and_b32_e32 v15, v17, v15
	v_bfe_u32 v19, v18, 21, 1
	v_cmp_eq_u32_e64 s16, v15, v20
	v_add_nc_u32_e32 v17, -1, v19
	v_cndmask_b32_e64 v15, 0, v17, s16
	v_lshrrev_b32_e32 v17, 23, v18
	s_mov_b32 s16, exec_lo
	v_add_nc_u32_e32 v15, v15, v18
	v_xor_b32_e32 v17, 1, v17
	v_and_b32_e32 v14, 0x1fffff, v15
	v_add_nc_u32_e32 v15, v14, v18
                                        ; implicit-def: $vgpr14
	v_cmpx_ne_u32_e64 v16, v17
	s_xor_b32 s16, exec_lo, s16
; %bb.1730:                             ;   in Loop: Header=BB4_1713 Depth=3
	v_cmp_lt_u32_e32 vcc_lo, 0xffffff, v15
	v_sub_nc_u32_e32 v14, v16, v17
	v_cndmask_b32_e64 v16, 0, 1, vcc_lo
	v_add_co_ci_u32_e64 v14, null, 0, v14, vcc_lo
	v_lshrrev_b32_e32 v15, v16, v15
; %bb.1731:                             ;   in Loop: Header=BB4_1713 Depth=3
	s_andn2_saveexec_b32 s16, s16
	s_cbranch_execz .LBB4_1710
; %bb.1732:                             ;   in Loop: Header=BB4_1713 Depth=3
	v_bfe_u32 v14, v15, 23, 1
	s_branch .LBB4_1710
.LBB4_1733:                             ;   in Loop: Header=BB4_1713 Depth=3
	s_or_saveexec_b32 s61, s61
	v_mov_b32_e32 v14, 0x7f800001
	s_xor_b32 exec_lo, exec_lo, s61
	s_cbranch_execz .LBB4_1725
.LBB4_1734:                             ;   in Loop: Header=BB4_1713 Depth=3
	v_cmp_ne_u16_e32 vcc_lo, 0, v16
	v_mov_b32_e32 v14, 0
	s_andn2_b32 s16, s16, exec_lo
	s_and_b32 s62, vcc_lo, exec_lo
	s_or_b32 s16, s16, s62
	s_or_b32 exec_lo, exec_lo, s61
	s_and_saveexec_b32 s61, s16
	s_cbranch_execnz .LBB4_1726
	s_branch .LBB4_1727
.LBB4_1735:                             ;   in Loop: Header=BB4_57 Depth=2
	s_or_b32 exec_lo, exec_lo, s17
	v_cmp_lt_i32_e64 s16, 0, v3
	s_and_saveexec_b32 s17, s6
	s_cbranch_execz .LBB4_128
.LBB4_1736:                             ;   in Loop: Header=BB4_57 Depth=2
	s_and_saveexec_b32 s23, s29
	s_xor_b32 s23, exec_lo, s23
	s_cbranch_execz .LBB4_1751
; %bb.1737:                             ;   in Loop: Header=BB4_57 Depth=2
	s_and_saveexec_b32 s61, s11
	s_cbranch_execz .LBB4_1750
; %bb.1738:                             ;   in Loop: Header=BB4_57 Depth=2
	s_mov_b32 s63, exec_lo
	s_mov_b32 s62, exec_lo
	v_mbcnt_lo_u32_b32 v1, s63, 0
	s_waitcnt vmcnt(0) lgkmcnt(0)
	s_waitcnt_vscnt null, 0x0
	buffer_gl1_inv
	buffer_gl0_inv
	v_cmpx_eq_u32_e32 0, v1
	s_cbranch_execz .LBB4_1740
; %bb.1739:                             ;   in Loop: Header=BB4_57 Depth=2
	s_bcnt1_i32_b32 s63, s63
	v_mov_b32_e32 v4, v2
	v_mov_b32_e32 v3, s63
	ds_add_u64 v0, v[3:4]
	s_trap 2
.LBB4_1740:                             ;   in Loop: Header=BB4_57 Depth=2
	s_or_b32 exec_lo, exec_lo, s62
	s_trap 2
	ds_read_b64 v[3:4], v0
	s_waitcnt lgkmcnt(0)
	buffer_gl0_inv
	v_add_co_u32 v28, vcc_lo, v28, v87
	v_add_co_ci_u32_e64 v29, null, 0, v29, vcc_lo
	s_mov_b32 s62, exec_lo
	v_cmpx_lt_u64_e64 v[3:4], v[28:29]
	s_cbranch_execz .LBB4_1749
; %bb.1741:                             ;   in Loop: Header=BB4_57 Depth=2
	s_mov_b32 s63, 0
	s_mov_b32 s74, 0
                                        ; implicit-def: $sgpr72
                                        ; implicit-def: $sgpr73
	s_inst_prefetch 0x1
	s_branch .LBB4_1743
	.p2align	6
.LBB4_1742:                             ;   in Loop: Header=BB4_1743 Depth=3
	s_or_b32 exec_lo, exec_lo, s76
	s_and_b32 s75, exec_lo, s77
	s_or_b32 s63, s75, s63
	s_andn2_b32 s72, s72, exec_lo
	s_and_b32 s75, s73, exec_lo
	s_or_b32 s72, s72, s75
	s_andn2_b32 exec_lo, exec_lo, s63
	s_cbranch_execz .LBB4_1747
.LBB4_1743:                             ;   Parent Loop BB4_47 Depth=1
                                        ;     Parent Loop BB4_57 Depth=2
                                        ; =>    This Inner Loop Header: Depth=3
	s_add_i32 s74, s74, 1
	s_cmpk_lg_i32 s74, 0x2710
	s_cselect_b32 s75, -1, 0
	s_and_b32 vcc_lo, exec_lo, s75
	s_cbranch_vccz .LBB4_1745
; %bb.1744:                             ;   in Loop: Header=BB4_1743 Depth=3
	s_mov_b32 s77, -1
	s_or_b32 s73, s73, exec_lo
	s_and_saveexec_b32 s76, s75
	s_cbranch_execz .LBB4_1742
	s_branch .LBB4_1746
	.p2align	6
.LBB4_1745:                             ;   in Loop: Header=BB4_1743 Depth=3
	s_trap 2
	ds_read_b64 v[3:4], v0
	s_andn2_b32 s75, s75, exec_lo
	s_mov_b32 s74, 0
	s_waitcnt lgkmcnt(0)
	flat_load_dword v1, v[3:4] glc dlc
	s_waitcnt vmcnt(0) lgkmcnt(0)
	buffer_gl1_inv
	buffer_gl0_inv
	v_cmp_eq_u32_e32 vcc_lo, 0, v1
	s_and_b32 s76, vcc_lo, exec_lo
	s_or_b32 s75, s75, s76
	s_mov_b32 s77, -1
	s_or_b32 s73, s73, exec_lo
	s_and_saveexec_b32 s76, s75
	s_cbranch_execz .LBB4_1742
.LBB4_1746:                             ;   in Loop: Header=BB4_1743 Depth=3
	s_sleep 1
	s_trap 2
	ds_read_b64 v[3:4], v0
	s_waitcnt lgkmcnt(0)
	buffer_gl0_inv
	s_andn2_b32 s73, s73, exec_lo
	v_cmp_ge_u64_e32 vcc_lo, v[3:4], v[28:29]
	s_orn2_b32 s77, vcc_lo, exec_lo
	s_branch .LBB4_1742
.LBB4_1747:                             ;   in Loop: Header=BB4_57 Depth=2
	s_inst_prefetch 0x2
	s_or_b32 exec_lo, exec_lo, s63
	s_and_saveexec_b32 s63, s72
	s_xor_b32 s63, exec_lo, s63
	s_cbranch_execz .LBB4_1749
; %bb.1748:                             ;   in Loop: Header=BB4_57 Depth=2
	ds_write_b32 v0, v99
	s_trap 2
.LBB4_1749:                             ;   in Loop: Header=BB4_57 Depth=2
	s_or_b32 exec_lo, exec_lo, s62
	;;#ASMSTART
	s_wakeup
	;;#ASMEND
.LBB4_1750:                             ;   in Loop: Header=BB4_57 Depth=2
	s_or_b32 exec_lo, exec_lo, s61
.LBB4_1751:                             ;   in Loop: Header=BB4_57 Depth=2
	s_andn2_saveexec_b32 s23, s23
	s_cbranch_execz .LBB4_1753
; %bb.1752:                             ;   in Loop: Header=BB4_57 Depth=2
	s_waitcnt vmcnt(0) lgkmcnt(0)
	s_waitcnt_vscnt null, 0x0
	buffer_gl1_inv
	buffer_gl0_inv
	s_barrier
.LBB4_1753:                             ;   in Loop: Header=BB4_57 Depth=2
	s_or_b32 exec_lo, exec_lo, s23
	s_or_b32 exec_lo, exec_lo, s17
                                        ; implicit-def: $vgpr1
	s_and_saveexec_b32 s17, s15
	s_xor_b32 s17, exec_lo, s17
	s_cbranch_execnz .LBB4_129
.LBB4_1754:                             ;   in Loop: Header=BB4_57 Depth=2
	s_andn2_saveexec_b32 s16, s17
	s_cbranch_execz .LBB4_1773
.LBB4_1755:                             ;   in Loop: Header=BB4_57 Depth=2
	s_and_saveexec_b32 s17, s29
	s_xor_b32 s17, exec_lo, s17
	s_cbranch_execz .LBB4_1770
; %bb.1756:                             ;   in Loop: Header=BB4_57 Depth=2
	s_and_saveexec_b32 s23, s11
	s_cbranch_execz .LBB4_1769
; %bb.1757:                             ;   in Loop: Header=BB4_57 Depth=2
	s_mov_b32 s62, exec_lo
	s_mov_b32 s61, exec_lo
	v_mbcnt_lo_u32_b32 v1, s62, 0
	;;#ASMSTART
	s_waitcnt lgkmcnt(0) vmcnt(0)
	;;#ASMEND
	v_cmpx_eq_u32_e32 0, v1
	s_cbranch_execz .LBB4_1759
; %bb.1758:                             ;   in Loop: Header=BB4_57 Depth=2
	s_bcnt1_i32_b32 s62, s62
	v_mov_b32_e32 v4, v2
	v_mov_b32_e32 v3, s62
	s_waitcnt vmcnt(0) lgkmcnt(0)
	s_waitcnt_vscnt null, 0x0
	ds_add_u64 v0, v[3:4]
	s_trap 2
.LBB4_1759:                             ;   in Loop: Header=BB4_57 Depth=2
	s_or_b32 exec_lo, exec_lo, s61
	s_trap 2
	ds_read_b64 v[3:4], v0
	s_waitcnt vmcnt(0) lgkmcnt(0)
	buffer_gl0_inv
	v_add_co_u32 v28, vcc_lo, v28, v87
	v_add_co_ci_u32_e64 v29, null, 0, v29, vcc_lo
	s_mov_b32 s61, exec_lo
	v_cmpx_lt_u64_e64 v[3:4], v[28:29]
	s_cbranch_execz .LBB4_1768
; %bb.1760:                             ;   in Loop: Header=BB4_57 Depth=2
	s_mov_b32 s62, 0
	s_mov_b32 s73, 0
                                        ; implicit-def: $sgpr63
                                        ; implicit-def: $sgpr72
	s_inst_prefetch 0x1
	s_branch .LBB4_1762
	.p2align	6
.LBB4_1761:                             ;   in Loop: Header=BB4_1762 Depth=3
	s_or_b32 exec_lo, exec_lo, s75
	s_and_b32 s74, exec_lo, s76
	s_or_b32 s62, s74, s62
	s_andn2_b32 s63, s63, exec_lo
	s_and_b32 s74, s72, exec_lo
	s_or_b32 s63, s63, s74
	s_andn2_b32 exec_lo, exec_lo, s62
	s_cbranch_execz .LBB4_1766
.LBB4_1762:                             ;   Parent Loop BB4_47 Depth=1
                                        ;     Parent Loop BB4_57 Depth=2
                                        ; =>    This Inner Loop Header: Depth=3
	s_add_i32 s73, s73, 1
	s_cmpk_lg_i32 s73, 0x2710
	s_cselect_b32 s74, -1, 0
	s_and_b32 vcc_lo, exec_lo, s74
	s_cbranch_vccz .LBB4_1764
; %bb.1763:                             ;   in Loop: Header=BB4_1762 Depth=3
	s_mov_b32 s76, -1
	s_or_b32 s72, s72, exec_lo
	s_and_saveexec_b32 s75, s74
	s_cbranch_execz .LBB4_1761
	s_branch .LBB4_1765
	.p2align	6
.LBB4_1764:                             ;   in Loop: Header=BB4_1762 Depth=3
	s_trap 2
	ds_read_b64 v[3:4], v0
	s_andn2_b32 s74, s74, exec_lo
	s_mov_b32 s73, 0
	s_waitcnt lgkmcnt(0)
	s_waitcnt_vscnt null, 0x0
	flat_load_dword v1, v[3:4] glc dlc
	s_waitcnt vmcnt(0) lgkmcnt(0)
	buffer_gl1_inv
	buffer_gl0_inv
	v_cmp_eq_u32_e32 vcc_lo, 0, v1
	s_and_b32 s75, vcc_lo, exec_lo
	s_or_b32 s74, s74, s75
	s_mov_b32 s76, -1
	s_or_b32 s72, s72, exec_lo
	s_and_saveexec_b32 s75, s74
	s_cbranch_execz .LBB4_1761
.LBB4_1765:                             ;   in Loop: Header=BB4_1762 Depth=3
	s_sleep 1
	s_trap 2
	ds_read_b64 v[3:4], v0
	s_waitcnt lgkmcnt(0)
	buffer_gl0_inv
	s_andn2_b32 s72, s72, exec_lo
	v_cmp_ge_u64_e32 vcc_lo, v[3:4], v[28:29]
	s_orn2_b32 s76, vcc_lo, exec_lo
	s_branch .LBB4_1761
.LBB4_1766:                             ;   in Loop: Header=BB4_57 Depth=2
	s_inst_prefetch 0x2
	s_or_b32 exec_lo, exec_lo, s62
	s_and_saveexec_b32 s62, s63
	s_xor_b32 s62, exec_lo, s62
	s_cbranch_execz .LBB4_1768
; %bb.1767:                             ;   in Loop: Header=BB4_57 Depth=2
	ds_write_b32 v0, v99
	s_trap 2
.LBB4_1768:                             ;   in Loop: Header=BB4_57 Depth=2
	s_or_b32 exec_lo, exec_lo, s61
	;;#ASMSTART
	s_wakeup
	;;#ASMEND
.LBB4_1769:                             ;   in Loop: Header=BB4_57 Depth=2
	s_or_b32 exec_lo, exec_lo, s23
.LBB4_1770:                             ;   in Loop: Header=BB4_57 Depth=2
	s_andn2_saveexec_b32 s17, s17
	s_cbranch_execz .LBB4_1772
; %bb.1771:                             ;   in Loop: Header=BB4_57 Depth=2
	;;#ASMSTART
	s_waitcnt lgkmcnt(0) vmcnt(0)
	;;#ASMEND
	s_barrier
.LBB4_1772:                             ;   in Loop: Header=BB4_57 Depth=2
	s_or_b32 exec_lo, exec_lo, s17
	v_and_b32_e32 v1, 16, v84
.LBB4_1773:                             ;   in Loop: Header=BB4_57 Depth=2
	s_or_b32 exec_lo, exec_lo, s16
	s_mov_b32 s16, exec_lo
	v_cmpx_ne_u32_e32 0, v1
	s_cbranch_execz .LBB4_56
; %bb.1774:                             ;   in Loop: Header=BB4_57 Depth=2
	s_and_saveexec_b32 s17, s10
	s_cbranch_execz .LBB4_55
; %bb.1775:                             ;   in Loop: Header=BB4_57 Depth=2
	s_waitcnt vmcnt(0) lgkmcnt(0)
	s_waitcnt_vscnt null, 0x0
	flat_store_dword v[26:27], v99
	s_branch .LBB4_55
.LBB4_1776:                             ;   in Loop: Header=BB4_47 Depth=1
	s_or_b32 exec_lo, exec_lo, s19
.LBB4_1777:                             ;   in Loop: Header=BB4_47 Depth=1
	s_or_b32 exec_lo, exec_lo, s18
	s_mov_b32 s17, exec_lo
	v_cmpx_gt_i32_e32 2, v1
	s_cbranch_execz .LBB4_1849
; %bb.1778:                             ;   in Loop: Header=BB4_47 Depth=1
	v_cmp_eq_u32_e64 s19, 0, v1
	s_mov_b32 s18, 0
	s_branch .LBB4_1781
.LBB4_1779:                             ;   in Loop: Header=BB4_1781 Depth=2
	s_or_b32 exec_lo, exec_lo, s19
	v_add_co_u32 v48, vcc_lo, v48, 2
	v_add_co_ci_u32_e64 v49, null, 0, v49, vcc_lo
	s_waitcnt vmcnt(0) lgkmcnt(0)
	s_waitcnt_vscnt null, 0x0
	flat_store_dwordx2 v[22:23], v[48:49]
.LBB4_1780:                             ;   in Loop: Header=BB4_1781 Depth=2
	s_or_b32 exec_lo, exec_lo, s16
	v_add_nc_u32_e32 v71, v12, v71
	s_mov_b32 s19, 0
	s_andn2_b32 exec_lo, exec_lo, s18
	s_cbranch_execz .LBB4_1848
.LBB4_1781:                             ;   Parent Loop BB4_47 Depth=1
                                        ; =>  This Loop Header: Depth=2
                                        ;       Child Loop BB4_1787 Depth 3
                                        ;       Child Loop BB4_1811 Depth 3
	;; [unrolled: 1-line block ×3, first 2 shown]
	v_sub_nc_u32_e32 v1, v70, v71
	v_and_b32_e32 v3, 8, v84
	s_mov_b32 s21, exec_lo
	v_min_i32_e32 v12, v12, v1
	v_cmpx_ne_u32_e32 0, v3
	s_cbranch_execz .LBB4_1803
; %bb.1782:                             ;   in Loop: Header=BB4_1781 Depth=2
	s_waitcnt vmcnt(0) lgkmcnt(1)
	v_add_co_u32 v3, vcc_lo, v32, 8
	v_add_co_ci_u32_e64 v4, null, 0, v33, vcc_lo
	v_add_co_u32 v8, vcc_lo, v48, 2
	v_add_co_ci_u32_e64 v9, null, 0, v49, vcc_lo
	s_mov_b32 s22, exec_lo
	v_cmpx_lt_u64_e64 v[3:4], v[8:9]
	s_cbranch_execz .LBB4_1794
; %bb.1783:                             ;   in Loop: Header=BB4_1781 Depth=2
	v_and_b32_e32 v1, 64, v84
	s_mov_b32 s23, 0
	s_mov_b32 s72, 0
                                        ; implicit-def: $sgpr61
                                        ; implicit-def: $sgpr62
                                        ; implicit-def: $sgpr63
	v_cmp_eq_u32_e32 vcc_lo, 0, v1
	s_branch .LBB4_1787
.LBB4_1784:                             ;   in Loop: Header=BB4_1787 Depth=3
	s_waitcnt vmcnt(0) lgkmcnt(0)
	v_add_co_u32 v3, s16, v32, 8
	v_add_co_ci_u32_e64 v4, null, 0, v33, s16
	s_or_b32 s75, s75, exec_lo
	v_cmp_ge_u64_e64 s16, v[3:4], v[8:9]
	s_orn2_b32 s74, s16, exec_lo
.LBB4_1785:                             ;   in Loop: Header=BB4_1787 Depth=3
	s_or_b32 exec_lo, exec_lo, s77
	s_andn2_b32 s16, s63, exec_lo
	s_and_b32 s63, s75, exec_lo
	s_andn2_b32 s62, s62, exec_lo
	s_and_b32 s74, s74, exec_lo
	s_or_b32 s63, s16, s63
	s_or_b32 s62, s62, s74
.LBB4_1786:                             ;   in Loop: Header=BB4_1787 Depth=3
	s_or_b32 exec_lo, exec_lo, s73
	s_and_b32 s16, exec_lo, s62
	s_or_b32 s23, s16, s23
	s_andn2_b32 s16, s61, exec_lo
	s_and_b32 s61, s63, exec_lo
	s_or_b32 s61, s16, s61
	s_andn2_b32 exec_lo, exec_lo, s23
	s_cbranch_execz .LBB4_1791
.LBB4_1787:                             ;   Parent Loop BB4_47 Depth=1
                                        ;     Parent Loop BB4_1781 Depth=2
                                        ; =>    This Inner Loop Header: Depth=3
	s_sleep 1
	s_waitcnt vmcnt(0) lgkmcnt(0)
	flat_load_dwordx2 v[32:33], v[22:23] glc dlc
	s_or_b32 s63, s63, exec_lo
	s_or_b32 s62, s62, exec_lo
                                        ; implicit-def: $vgpr1
	s_and_saveexec_b32 s73, vcc_lo
	s_cbranch_execz .LBB4_1786
; %bb.1788:                             ;   in Loop: Header=BB4_1787 Depth=3
	s_cmpk_lt_i32 s72, 0x270f
	s_mov_b32 s74, -1
	s_cselect_b32 s76, -1, 0
	s_cmpk_gt_i32 s72, 0x270e
	s_cbranch_scc0 .LBB4_1790
; %bb.1789:                             ;   in Loop: Header=BB4_1787 Depth=3
	s_trap 2
	ds_read_b64 v[3:4], v0
	s_andn2_b32 s72, s76, exec_lo
	s_mov_b32 s75, 0
	s_waitcnt vmcnt(0) lgkmcnt(0)
	s_waitcnt_vscnt null, 0x0
	flat_load_dword v1, v[3:4] glc dlc
	s_waitcnt vmcnt(0) lgkmcnt(0)
	buffer_gl1_inv
	buffer_gl0_inv
	v_cmp_eq_u32_e64 s16, 0, v1
	s_and_b32 s16, s16, exec_lo
	s_or_b32 s76, s72, s16
	s_mov_b32 s72, 0
	s_and_saveexec_b32 s77, s76
	s_cbranch_execz .LBB4_1785
	s_branch .LBB4_1784
.LBB4_1790:                             ;   in Loop: Header=BB4_1787 Depth=3
	s_add_i32 s72, s72, 1
	s_mov_b32 s75, -1
                                        ; implicit-def: $vgpr1
	s_and_saveexec_b32 s77, s76
	s_cbranch_execz .LBB4_1785
	s_branch .LBB4_1784
.LBB4_1791:                             ;   in Loop: Header=BB4_1781 Depth=2
	s_or_b32 exec_lo, exec_lo, s23
	s_xor_b32 s16, s61, -1
	s_and_saveexec_b32 s23, s16
	s_xor_b32 s16, exec_lo, s23
	s_cbranch_execz .LBB4_1793
; %bb.1792:                             ;   in Loop: Header=BB4_1781 Depth=2
	v_or_b32_e32 v84, 64, v84
	s_waitcnt vmcnt(0) lgkmcnt(0)
	s_waitcnt_vscnt null, 0x0
	ds_write_b32 v0, v1
	s_trap 2
.LBB4_1793:                             ;   in Loop: Header=BB4_1781 Depth=2
	s_or_b32 exec_lo, exec_lo, s16
.LBB4_1794:                             ;   in Loop: Header=BB4_1781 Depth=2
	s_or_b32 exec_lo, exec_lo, s22
	v_and_b32_e32 v1, 0x100, v84
	s_mov_b32 s16, -1
	;;#ASMSTART
	s_wakeup
	;;#ASMEND
                                        ; implicit-def: $vgpr10_vgpr11
	v_cmp_ne_u32_e32 vcc_lo, 0, v1
	v_and_b32_e32 v1, 7, v48
	s_and_saveexec_b32 s22, vcc_lo
	s_cbranch_execz .LBB4_1798
; %bb.1795:                             ;   in Loop: Header=BB4_1781 Depth=2
	v_mad_u64_u32 v[14:15], null, v1, 24, v[6:7]
	v_ashrrev_i32_e32 v13, 31, v12
	s_mov_b32 s23, exec_lo
                                        ; implicit-def: $vgpr10_vgpr11
	flat_load_dword v3, v[14:15]
	flat_store_dwordx2 v[14:15], v[12:13] offset:8
	s_waitcnt vmcnt(0) lgkmcnt(1)
	v_cmp_ne_u32_e32 vcc_lo, 1, v3
	v_cmpx_eq_u32_e32 1, v3
	s_cbranch_execz .LBB4_1797
; %bb.1796:                             ;   in Loop: Header=BB4_1781 Depth=2
	flat_load_dword v10, v[14:15] offset:4 glc dlc
	s_waitcnt vmcnt(0) lgkmcnt(0)
	v_ashrrev_i32_e32 v11, 31, v10
.LBB4_1797:                             ;   in Loop: Header=BB4_1781 Depth=2
	s_or_b32 exec_lo, exec_lo, s23
	s_orn2_b32 s16, vcc_lo, exec_lo
.LBB4_1798:                             ;   in Loop: Header=BB4_1781 Depth=2
	s_or_b32 exec_lo, exec_lo, s22
	s_and_saveexec_b32 s22, s16
; %bb.1799:                             ;   in Loop: Header=BB4_1781 Depth=2
	v_mad_i64_i32 v[10:11], null, v1, v85, 0
; %bb.1800:                             ;   in Loop: Header=BB4_1781 Depth=2
	s_or_b32 exec_lo, exec_lo, s22
	v_add_co_u32 v3, vcc_lo, v24, v10
	v_and_b32_e32 v1, 0x2000, v84
	v_add_co_ci_u32_e64 v4, null, v25, v11, vcc_lo
	s_mov_b32 s16, exec_lo
	ds_write_b64 v0, v[3:4] offset:784
	v_cmpx_ne_u32_e32 0, v1
	s_cbranch_execz .LBB4_1802
; %bb.1801:                             ;   in Loop: Header=BB4_1781 Depth=2
	ds_read_b64 v[3:4], v0 offset:872
	s_waitcnt lgkmcnt(0)
	v_add_co_u32 v3, vcc_lo, v3, 1
	v_add_co_ci_u32_e64 v4, null, 0, v4, vcc_lo
	ds_write_b64 v0, v[3:4] offset:872
.LBB4_1802:                             ;   in Loop: Header=BB4_1781 Depth=2
	s_or_b32 exec_lo, exec_lo, s16
	v_mov_b32_e32 v49, v9
	v_mov_b32_e32 v48, v8
.LBB4_1803:                             ;   in Loop: Header=BB4_1781 Depth=2
	s_or_b32 exec_lo, exec_lo, s21
	s_xor_b32 s16, s19, -1
	s_and_b32 s16, exec_lo, s16
	s_or_b32 s18, s16, s18
	s_and_saveexec_b32 s16, s6
	s_cbranch_execz .LBB4_1822
; %bb.1804:                             ;   in Loop: Header=BB4_1781 Depth=2
	s_and_saveexec_b32 s19, s29
	s_xor_b32 s19, exec_lo, s19
	s_cbranch_execz .LBB4_1819
; %bb.1805:                             ;   in Loop: Header=BB4_1781 Depth=2
	s_and_saveexec_b32 s21, s11
	s_cbranch_execz .LBB4_1818
; %bb.1806:                             ;   in Loop: Header=BB4_1781 Depth=2
	s_mov_b32 s23, exec_lo
	s_mov_b32 s22, exec_lo
	v_mbcnt_lo_u32_b32 v1, s23, 0
	s_waitcnt vmcnt(0) lgkmcnt(0)
	s_waitcnt_vscnt null, 0x0
	buffer_gl1_inv
	buffer_gl0_inv
	v_cmpx_eq_u32_e32 0, v1
	s_cbranch_execz .LBB4_1808
; %bb.1807:                             ;   in Loop: Header=BB4_1781 Depth=2
	s_bcnt1_i32_b32 s23, s23
	v_mov_b32_e32 v4, v2
	v_mov_b32_e32 v3, s23
	ds_add_u64 v0, v[3:4]
	s_trap 2
.LBB4_1808:                             ;   in Loop: Header=BB4_1781 Depth=2
	s_or_b32 exec_lo, exec_lo, s22
	s_trap 2
	ds_read_b64 v[3:4], v0
	s_waitcnt lgkmcnt(0)
	buffer_gl0_inv
	v_add_co_u32 v28, vcc_lo, v28, v87
	v_add_co_ci_u32_e64 v29, null, 0, v29, vcc_lo
	s_mov_b32 s22, exec_lo
	v_cmpx_lt_u64_e64 v[3:4], v[28:29]
	s_cbranch_execz .LBB4_1817
; %bb.1809:                             ;   in Loop: Header=BB4_1781 Depth=2
	s_mov_b32 s23, 0
	s_mov_b32 s63, 0
                                        ; implicit-def: $sgpr61
                                        ; implicit-def: $sgpr62
	s_inst_prefetch 0x1
	s_branch .LBB4_1811
	.p2align	6
.LBB4_1810:                             ;   in Loop: Header=BB4_1811 Depth=3
	s_or_b32 exec_lo, exec_lo, s73
	s_and_b32 s72, exec_lo, s74
	s_or_b32 s23, s72, s23
	s_andn2_b32 s61, s61, exec_lo
	s_and_b32 s72, s62, exec_lo
	s_or_b32 s61, s61, s72
	s_andn2_b32 exec_lo, exec_lo, s23
	s_cbranch_execz .LBB4_1815
.LBB4_1811:                             ;   Parent Loop BB4_47 Depth=1
                                        ;     Parent Loop BB4_1781 Depth=2
                                        ; =>    This Inner Loop Header: Depth=3
	s_add_i32 s63, s63, 1
	s_cmpk_lg_i32 s63, 0x2710
	s_cselect_b32 s72, -1, 0
	s_and_b32 vcc_lo, exec_lo, s72
	s_cbranch_vccz .LBB4_1813
; %bb.1812:                             ;   in Loop: Header=BB4_1811 Depth=3
	s_mov_b32 s74, -1
	s_or_b32 s62, s62, exec_lo
	s_and_saveexec_b32 s73, s72
	s_cbranch_execz .LBB4_1810
	s_branch .LBB4_1814
	.p2align	6
.LBB4_1813:                             ;   in Loop: Header=BB4_1811 Depth=3
	s_trap 2
	ds_read_b64 v[3:4], v0
	s_andn2_b32 s72, s72, exec_lo
	s_mov_b32 s63, 0
	s_waitcnt lgkmcnt(0)
	flat_load_dword v1, v[3:4] glc dlc
	s_waitcnt vmcnt(0) lgkmcnt(0)
	buffer_gl1_inv
	buffer_gl0_inv
	v_cmp_eq_u32_e32 vcc_lo, 0, v1
	s_and_b32 s73, vcc_lo, exec_lo
	s_or_b32 s72, s72, s73
	s_mov_b32 s74, -1
	s_or_b32 s62, s62, exec_lo
	s_and_saveexec_b32 s73, s72
	s_cbranch_execz .LBB4_1810
.LBB4_1814:                             ;   in Loop: Header=BB4_1811 Depth=3
	s_sleep 1
	s_trap 2
	ds_read_b64 v[3:4], v0
	s_waitcnt lgkmcnt(0)
	buffer_gl0_inv
	s_andn2_b32 s62, s62, exec_lo
	v_cmp_ge_u64_e32 vcc_lo, v[3:4], v[28:29]
	s_orn2_b32 s74, vcc_lo, exec_lo
	s_branch .LBB4_1810
.LBB4_1815:                             ;   in Loop: Header=BB4_1781 Depth=2
	s_inst_prefetch 0x2
	s_or_b32 exec_lo, exec_lo, s23
	s_and_saveexec_b32 s23, s61
	s_xor_b32 s23, exec_lo, s23
	s_cbranch_execz .LBB4_1817
; %bb.1816:                             ;   in Loop: Header=BB4_1781 Depth=2
	ds_write_b32 v0, v99
	s_trap 2
.LBB4_1817:                             ;   in Loop: Header=BB4_1781 Depth=2
	s_or_b32 exec_lo, exec_lo, s22
	;;#ASMSTART
	s_wakeup
	;;#ASMEND
.LBB4_1818:                             ;   in Loop: Header=BB4_1781 Depth=2
	s_or_b32 exec_lo, exec_lo, s21
.LBB4_1819:                             ;   in Loop: Header=BB4_1781 Depth=2
	s_andn2_saveexec_b32 s19, s19
	s_cbranch_execz .LBB4_1821
; %bb.1820:                             ;   in Loop: Header=BB4_1781 Depth=2
	s_waitcnt vmcnt(0) lgkmcnt(0)
	s_waitcnt_vscnt null, 0x0
	buffer_gl1_inv
	buffer_gl0_inv
	s_barrier
.LBB4_1821:                             ;   in Loop: Header=BB4_1781 Depth=2
	s_or_b32 exec_lo, exec_lo, s19
.LBB4_1822:                             ;   in Loop: Header=BB4_1781 Depth=2
	s_or_b32 exec_lo, exec_lo, s16
                                        ; implicit-def: $vgpr1
	s_and_saveexec_b32 s16, s15
	s_xor_b32 s19, exec_lo, s16
	s_cbranch_execz .LBB4_1826
; %bb.1823:                             ;   in Loop: Header=BB4_1781 Depth=2
	s_trap 2
	ds_read_b32 v1, v0
	v_cmp_lt_i32_e32 vcc_lo, 0, v12
	s_waitcnt lgkmcnt(0)
	v_readfirstlane_b32 s16, v1
	v_and_b32_e32 v1, 16, v84
	s_cmp_eq_u32 s16, 0
	v_cmp_ne_u32_e64 s16, 0, v1
	s_cselect_b32 s21, -1, 0
	v_and_b32_e32 v1, 16, v84
	s_and_b32 s21, vcc_lo, s21
	s_and_b32 s21, s16, s21
	s_and_saveexec_b32 s16, s21
	s_cbranch_execz .LBB4_1825
; %bb.1824:                             ;   in Loop: Header=BB4_1781 Depth=2
	v_mov_b32_e32 v1, 1
	s_waitcnt vmcnt(0)
	s_waitcnt_vscnt null, 0x0
	buffer_gl1_inv
	buffer_gl0_inv
.LBB4_1825:                             ;   in Loop: Header=BB4_1781 Depth=2
	s_or_b32 exec_lo, exec_lo, s16
	s_andn2_saveexec_b32 s16, s19
	s_cbranch_execz .LBB4_1845
	s_branch .LBB4_1827
.LBB4_1826:                             ;   in Loop: Header=BB4_1781 Depth=2
	s_andn2_saveexec_b32 s16, s19
	s_cbranch_execz .LBB4_1845
.LBB4_1827:                             ;   in Loop: Header=BB4_1781 Depth=2
	s_and_saveexec_b32 s19, s29
	s_xor_b32 s19, exec_lo, s19
	s_cbranch_execz .LBB4_1842
; %bb.1828:                             ;   in Loop: Header=BB4_1781 Depth=2
	s_and_saveexec_b32 s21, s11
	s_cbranch_execz .LBB4_1841
; %bb.1829:                             ;   in Loop: Header=BB4_1781 Depth=2
	s_mov_b32 s23, exec_lo
	s_mov_b32 s22, exec_lo
	v_mbcnt_lo_u32_b32 v1, s23, 0
	;;#ASMSTART
	s_waitcnt lgkmcnt(0) vmcnt(0)
	;;#ASMEND
	v_cmpx_eq_u32_e32 0, v1
	s_cbranch_execz .LBB4_1831
; %bb.1830:                             ;   in Loop: Header=BB4_1781 Depth=2
	s_bcnt1_i32_b32 s23, s23
	v_mov_b32_e32 v4, v2
	v_mov_b32_e32 v3, s23
	s_waitcnt vmcnt(0) lgkmcnt(0)
	s_waitcnt_vscnt null, 0x0
	ds_add_u64 v0, v[3:4]
	s_trap 2
.LBB4_1831:                             ;   in Loop: Header=BB4_1781 Depth=2
	s_or_b32 exec_lo, exec_lo, s22
	s_trap 2
	ds_read_b64 v[3:4], v0
	s_waitcnt vmcnt(0) lgkmcnt(0)
	buffer_gl0_inv
	v_add_co_u32 v28, vcc_lo, v28, v87
	v_add_co_ci_u32_e64 v29, null, 0, v29, vcc_lo
	s_mov_b32 s22, exec_lo
	v_cmpx_lt_u64_e64 v[3:4], v[28:29]
	s_cbranch_execz .LBB4_1840
; %bb.1832:                             ;   in Loop: Header=BB4_1781 Depth=2
	s_mov_b32 s23, 0
	s_mov_b32 s63, 0
                                        ; implicit-def: $sgpr61
                                        ; implicit-def: $sgpr62
	s_inst_prefetch 0x1
	s_branch .LBB4_1834
	.p2align	6
.LBB4_1833:                             ;   in Loop: Header=BB4_1834 Depth=3
	s_or_b32 exec_lo, exec_lo, s73
	s_and_b32 s72, exec_lo, s74
	s_or_b32 s23, s72, s23
	s_andn2_b32 s61, s61, exec_lo
	s_and_b32 s72, s62, exec_lo
	s_or_b32 s61, s61, s72
	s_andn2_b32 exec_lo, exec_lo, s23
	s_cbranch_execz .LBB4_1838
.LBB4_1834:                             ;   Parent Loop BB4_47 Depth=1
                                        ;     Parent Loop BB4_1781 Depth=2
                                        ; =>    This Inner Loop Header: Depth=3
	s_add_i32 s63, s63, 1
	s_cmpk_lg_i32 s63, 0x2710
	s_cselect_b32 s72, -1, 0
	s_and_b32 vcc_lo, exec_lo, s72
	s_cbranch_vccz .LBB4_1836
; %bb.1835:                             ;   in Loop: Header=BB4_1834 Depth=3
	s_mov_b32 s74, -1
	s_or_b32 s62, s62, exec_lo
	s_and_saveexec_b32 s73, s72
	s_cbranch_execz .LBB4_1833
	s_branch .LBB4_1837
	.p2align	6
.LBB4_1836:                             ;   in Loop: Header=BB4_1834 Depth=3
	s_trap 2
	ds_read_b64 v[3:4], v0
	s_andn2_b32 s72, s72, exec_lo
	s_mov_b32 s63, 0
	s_waitcnt lgkmcnt(0)
	s_waitcnt_vscnt null, 0x0
	flat_load_dword v1, v[3:4] glc dlc
	s_waitcnt vmcnt(0) lgkmcnt(0)
	buffer_gl1_inv
	buffer_gl0_inv
	v_cmp_eq_u32_e32 vcc_lo, 0, v1
	s_and_b32 s73, vcc_lo, exec_lo
	s_or_b32 s72, s72, s73
	s_mov_b32 s74, -1
	s_or_b32 s62, s62, exec_lo
	s_and_saveexec_b32 s73, s72
	s_cbranch_execz .LBB4_1833
.LBB4_1837:                             ;   in Loop: Header=BB4_1834 Depth=3
	s_sleep 1
	s_trap 2
	ds_read_b64 v[3:4], v0
	s_waitcnt lgkmcnt(0)
	buffer_gl0_inv
	s_andn2_b32 s62, s62, exec_lo
	v_cmp_ge_u64_e32 vcc_lo, v[3:4], v[28:29]
	s_orn2_b32 s74, vcc_lo, exec_lo
	s_branch .LBB4_1833
.LBB4_1838:                             ;   in Loop: Header=BB4_1781 Depth=2
	s_inst_prefetch 0x2
	s_or_b32 exec_lo, exec_lo, s23
	s_and_saveexec_b32 s23, s61
	s_xor_b32 s23, exec_lo, s23
	s_cbranch_execz .LBB4_1840
; %bb.1839:                             ;   in Loop: Header=BB4_1781 Depth=2
	ds_write_b32 v0, v99
	s_trap 2
.LBB4_1840:                             ;   in Loop: Header=BB4_1781 Depth=2
	s_or_b32 exec_lo, exec_lo, s22
	;;#ASMSTART
	s_wakeup
	;;#ASMEND
.LBB4_1841:                             ;   in Loop: Header=BB4_1781 Depth=2
	s_or_b32 exec_lo, exec_lo, s21
.LBB4_1842:                             ;   in Loop: Header=BB4_1781 Depth=2
	s_andn2_saveexec_b32 s19, s19
	s_cbranch_execz .LBB4_1844
; %bb.1843:                             ;   in Loop: Header=BB4_1781 Depth=2
	;;#ASMSTART
	s_waitcnt lgkmcnt(0) vmcnt(0)
	;;#ASMEND
	s_barrier
.LBB4_1844:                             ;   in Loop: Header=BB4_1781 Depth=2
	s_or_b32 exec_lo, exec_lo, s19
	v_and_b32_e32 v1, 16, v84
.LBB4_1845:                             ;   in Loop: Header=BB4_1781 Depth=2
	s_or_b32 exec_lo, exec_lo, s16
	s_mov_b32 s16, exec_lo
	v_cmpx_ne_u32_e32 0, v1
	s_cbranch_execz .LBB4_1780
; %bb.1846:                             ;   in Loop: Header=BB4_1781 Depth=2
	s_and_saveexec_b32 s19, s10
	s_cbranch_execz .LBB4_1779
; %bb.1847:                             ;   in Loop: Header=BB4_1781 Depth=2
	s_waitcnt vmcnt(0) lgkmcnt(0)
	s_waitcnt_vscnt null, 0x0
	flat_store_dword v[26:27], v99
	s_branch .LBB4_1779
.LBB4_1848:                             ;   in Loop: Header=BB4_47 Depth=1
	s_or_b32 exec_lo, exec_lo, s18
.LBB4_1849:                             ;   in Loop: Header=BB4_47 Depth=1
	s_or_b32 exec_lo, exec_lo, s17
	s_andn2_b32 vcc_lo, exec_lo, s46
	s_cbranch_vccnz .LBB4_4704
; %bb.1850:                             ;   in Loop: Header=BB4_47 Depth=1
	s_mov_b32 s18, 2
	s_branch .LBB4_1853
.LBB4_1851:                             ;   in Loop: Header=BB4_1853 Depth=2
	s_or_b32 exec_lo, exec_lo, s19
.LBB4_1852:                             ;   in Loop: Header=BB4_1853 Depth=2
	s_or_b32 exec_lo, exec_lo, s17
	s_add_i32 s18, s18, 1
	s_cmp_eq_u32 s18, s25
	s_cbranch_scc1 .LBB4_4704
.LBB4_1853:                             ;   Parent Loop BB4_47 Depth=1
                                        ; =>  This Loop Header: Depth=2
                                        ;       Child Loop BB4_1856 Depth 3
                                        ;         Child Loop BB4_1864 Depth 4
                                        ;         Child Loop BB4_1892 Depth 4
	;; [unrolled: 1-line block ×9, first 2 shown]
                                        ;       Child Loop BB4_4632 Depth 3
                                        ;         Child Loop BB4_4638 Depth 4
                                        ;         Child Loop BB4_4666 Depth 4
	;; [unrolled: 1-line block ×3, first 2 shown]
	s_sub_i32 s16, s42, s18
	v_mov_b32_e32 v83, 0
	s_cmp_ge_i32 s16, s25
	s_mov_b32 s21, 0
	s_cselect_b32 s17, s25, 0
	s_sub_i32 s16, s16, s17
	s_ashr_i32 s17, s16, 31
	v_mul_lo_u32 v1, v39, s16
	v_mad_u64_u32 v[54:55], null, v38, s16, 0
	v_mul_lo_u32 v3, v38, s17
	v_add3_u32 v55, v55, v3, v1
	s_clause 0x1
	buffer_load_dword v3, off, s[0:3], s33 offset:188
	buffer_load_dword v4, off, s[0:3], s33 offset:192
	s_waitcnt vmcnt(1)
	v_sub_co_u32 v3, vcc_lo, v3, v54
	s_waitcnt vmcnt(0)
	v_sub_co_ci_u32_e64 v4, null, v4, v55, vcc_lo
	v_cmp_lt_i64_e32 vcc_lo, v[38:39], v[3:4]
	v_cndmask_b32_e32 v3, v3, v38, vcc_lo
	v_max_i32_e32 v82, 0, v3
	v_cmp_lt_i32_e32 vcc_lo, 0, v3
	v_add_nc_u32_e32 v1, 31, v82
	s_and_b32 s16, s57, vcc_lo
	v_lshrrev_b32_e32 v1, 1, v1
	v_and_b32_e32 v4, 0x3ffffff0, v1
	v_mov_b32_e32 v1, 0
	v_max_i32_e32 v52, s45, v4
	s_and_saveexec_b32 s19, s16
	s_cbranch_execz .LBB4_4629
; %bb.1854:                             ;   in Loop: Header=BB4_1853 Depth=2
	v_mov_b32_e32 v83, 0
	s_mov_b32 s23, 1
	s_mov_b32 s22, -1
	s_branch .LBB4_1856
.LBB4_1855:                             ;   in Loop: Header=BB4_1856 Depth=3
	s_or_b32 exec_lo, exec_lo, s16
	v_add_nc_u32_e32 v83, v52, v83
	s_xor_b32 s16, s22, -1
	v_mov_b32_e32 v1, s23
	s_mov_b32 s22, 0
	s_mov_b32 s23, 2
	v_cmp_ge_i32_e32 vcc_lo, v83, v82
	s_or_b32 s16, s16, vcc_lo
	s_and_b32 s16, exec_lo, s16
	s_or_b32 s21, s16, s21
	s_andn2_b32 exec_lo, exec_lo, s21
	s_cbranch_execz .LBB4_4628
.LBB4_1856:                             ;   Parent Loop BB4_47 Depth=1
                                        ;     Parent Loop BB4_1853 Depth=2
                                        ; =>    This Loop Header: Depth=3
                                        ;         Child Loop BB4_1864 Depth 4
                                        ;         Child Loop BB4_1892 Depth 4
	;; [unrolled: 1-line block ×9, first 2 shown]
	s_and_saveexec_b32 s16, s4
	s_cbranch_execz .LBB4_1858
; %bb.1857:                             ;   in Loop: Header=BB4_1856 Depth=3
	s_trap 2
	ds_read_b64 v[3:4], v0
	v_ashrrev_i32_e32 v5, 31, v83
	s_waitcnt lgkmcnt(0)
	v_add_co_u32 v1, vcc_lo, v3, v57
	v_add_co_ci_u32_e64 v3, null, v4, v58, vcc_lo
	v_add_co_u32 v1, vcc_lo, v1, v54
	v_add_co_ci_u32_e64 v3, null, v3, v55, vcc_lo
	v_add_co_u32 v4, vcc_lo, v1, v83
	v_add_co_ci_u32_e64 v5, null, v3, v5, vcc_lo
	v_mov_b32_e32 v3, v2
	ds_write_b64 v0, v[4:5]
	ds_write_b64 v0, v[2:3]
.LBB4_1858:                             ;   in Loop: Header=BB4_1856 Depth=3
	s_or_b32 exec_lo, exec_lo, s16
	v_sub_nc_u32_e32 v1, v82, v83
	v_and_b32_e32 v3, 12, v84
	s_mov_b32 s17, exec_lo
	v_min_i32_e32 v52, v52, v1
	v_cmpx_ne_u32_e32 0, v3
	s_cbranch_execz .LBB4_1884
; %bb.1859:                             ;   in Loop: Header=BB4_1856 Depth=3
	v_and_b32_e32 v1, 8, v84
	s_mov_b32 s61, exec_lo
	s_waitcnt vmcnt(0) lgkmcnt(1)
	v_add_co_u32 v3, vcc_lo, v32, v1
	v_add_co_ci_u32_e64 v4, null, 0, v33, vcc_lo
	v_add_co_u32 v8, vcc_lo, v48, 2
	v_add_co_ci_u32_e64 v9, null, 0, v49, vcc_lo
	v_cmpx_lt_u64_e64 v[3:4], v[8:9]
	s_cbranch_execz .LBB4_1871
; %bb.1860:                             ;   in Loop: Header=BB4_1856 Depth=3
	v_and_b32_e32 v3, 64, v84
	s_mov_b32 s62, 0
	s_mov_b32 s74, 0
                                        ; implicit-def: $sgpr63
                                        ; implicit-def: $sgpr72
                                        ; implicit-def: $sgpr73
	v_cmp_eq_u32_e32 vcc_lo, 0, v3
	s_branch .LBB4_1864
.LBB4_1861:                             ;   in Loop: Header=BB4_1864 Depth=4
	s_waitcnt vmcnt(0) lgkmcnt(0)
	v_add_co_u32 v4, s16, v32, v1
	v_add_co_ci_u32_e64 v5, null, 0, v33, s16
	s_or_b32 s77, s77, exec_lo
	v_cmp_ge_u64_e64 s16, v[4:5], v[8:9]
	s_orn2_b32 s76, s16, exec_lo
.LBB4_1862:                             ;   in Loop: Header=BB4_1864 Depth=4
	s_or_b32 exec_lo, exec_lo, s79
	s_andn2_b32 s16, s73, exec_lo
	s_and_b32 s73, s77, exec_lo
	s_andn2_b32 s72, s72, exec_lo
	s_and_b32 s76, s76, exec_lo
	s_or_b32 s73, s16, s73
	s_or_b32 s72, s72, s76
.LBB4_1863:                             ;   in Loop: Header=BB4_1864 Depth=4
	s_or_b32 exec_lo, exec_lo, s75
	s_and_b32 s16, exec_lo, s72
	s_or_b32 s62, s16, s62
	s_andn2_b32 s16, s63, exec_lo
	s_and_b32 s63, s73, exec_lo
	s_or_b32 s63, s16, s63
	s_andn2_b32 exec_lo, exec_lo, s62
	s_cbranch_execz .LBB4_1868
.LBB4_1864:                             ;   Parent Loop BB4_47 Depth=1
                                        ;     Parent Loop BB4_1853 Depth=2
                                        ;       Parent Loop BB4_1856 Depth=3
                                        ; =>      This Inner Loop Header: Depth=4
	s_sleep 1
	s_waitcnt vmcnt(0) lgkmcnt(0)
	flat_load_dwordx2 v[32:33], v[22:23] glc dlc
	s_or_b32 s73, s73, exec_lo
	s_or_b32 s72, s72, exec_lo
                                        ; implicit-def: $vgpr3
	s_and_saveexec_b32 s75, vcc_lo
	s_cbranch_execz .LBB4_1863
; %bb.1865:                             ;   in Loop: Header=BB4_1864 Depth=4
	s_cmpk_lt_i32 s74, 0x270f
	s_mov_b32 s76, -1
	s_cselect_b32 s78, -1, 0
	s_cmpk_gt_i32 s74, 0x270e
	s_cbranch_scc0 .LBB4_1867
; %bb.1866:                             ;   in Loop: Header=BB4_1864 Depth=4
	s_trap 2
	ds_read_b64 v[3:4], v0
	s_andn2_b32 s74, s78, exec_lo
	s_mov_b32 s77, 0
	s_waitcnt vmcnt(0) lgkmcnt(0)
	s_waitcnt_vscnt null, 0x0
	flat_load_dword v3, v[3:4] glc dlc
	s_waitcnt vmcnt(0) lgkmcnt(0)
	buffer_gl1_inv
	buffer_gl0_inv
	v_cmp_eq_u32_e64 s16, 0, v3
	s_and_b32 s16, s16, exec_lo
	s_or_b32 s78, s74, s16
	s_mov_b32 s74, 0
	s_and_saveexec_b32 s79, s78
	s_cbranch_execz .LBB4_1862
	s_branch .LBB4_1861
.LBB4_1867:                             ;   in Loop: Header=BB4_1864 Depth=4
	s_add_i32 s74, s74, 1
	s_mov_b32 s77, -1
                                        ; implicit-def: $vgpr3
	s_and_saveexec_b32 s79, s78
	s_cbranch_execz .LBB4_1862
	s_branch .LBB4_1861
.LBB4_1868:                             ;   in Loop: Header=BB4_1856 Depth=3
	s_or_b32 exec_lo, exec_lo, s62
	s_xor_b32 s16, s63, -1
	s_and_saveexec_b32 s62, s16
	s_xor_b32 s16, exec_lo, s62
	s_cbranch_execz .LBB4_1870
; %bb.1869:                             ;   in Loop: Header=BB4_1856 Depth=3
	v_or_b32_e32 v84, 64, v84
	s_waitcnt vmcnt(0) lgkmcnt(0)
	s_waitcnt_vscnt null, 0x0
	ds_write_b32 v0, v3
	s_trap 2
.LBB4_1870:                             ;   in Loop: Header=BB4_1856 Depth=3
	s_or_b32 exec_lo, exec_lo, s16
.LBB4_1871:                             ;   in Loop: Header=BB4_1856 Depth=3
	s_or_b32 exec_lo, exec_lo, s61
	v_and_b32_e32 v3, 0x108, v84
	s_mov_b32 s16, exec_lo
	;;#ASMSTART
	s_wakeup
	;;#ASMEND
                                        ; implicit-def: $vgpr10_vgpr11
	v_cmpx_ne_u32_e32 0x108, v3
	s_xor_b32 s16, exec_lo, s16
; %bb.1872:                             ;   in Loop: Header=BB4_1856 Depth=3
	v_and_b32_e32 v10, 7, v48
	v_mov_b32_e32 v11, v2
                                        ; implicit-def: $vgpr48_vgpr49
; %bb.1873:                             ;   in Loop: Header=BB4_1856 Depth=3
	s_andn2_saveexec_b32 s16, s16
	s_cbranch_execz .LBB4_1875
; %bb.1874:                             ;   in Loop: Header=BB4_1856 Depth=3
	v_and_b32_e32 v10, 7, v48
	v_ashrrev_i32_e32 v53, 31, v52
	v_mov_b32_e32 v11, v2
	v_mad_u64_u32 v[3:4], null, v10, 24, v[6:7]
	flat_store_dwordx2 v[3:4], v[52:53] offset:8
.LBB4_1875:                             ;   in Loop: Header=BB4_1856 Depth=3
	s_or_b32 exec_lo, exec_lo, s16
	v_and_b32_e32 v3, 0x100, v84
	s_mov_b32 s16, -1
	s_mov_b32 s61, exec_lo
                                        ; implicit-def: $vgpr12_vgpr13
	v_cmpx_ne_u32_e32 0, v3
	s_cbranch_execz .LBB4_1879
; %bb.1876:                             ;   in Loop: Header=BB4_1856 Depth=3
	v_mad_u64_u32 v[14:15], null, v10, 24, v[6:7]
	s_mov_b32 s62, exec_lo
                                        ; implicit-def: $vgpr12_vgpr13
	v_mov_b32_e32 v3, v15
	v_mad_u64_u32 v[3:4], null, v11, 24, v[3:4]
	v_mov_b32_e32 v15, v3
	flat_load_dword v3, v[14:15]
	s_waitcnt vmcnt(0) lgkmcnt(0)
	v_cmp_ne_u32_e32 vcc_lo, 1, v3
	v_cmpx_eq_u32_e32 1, v3
	s_cbranch_execz .LBB4_1878
; %bb.1877:                             ;   in Loop: Header=BB4_1856 Depth=3
	flat_load_dword v12, v[14:15] offset:4 glc dlc
	s_waitcnt vmcnt(0) lgkmcnt(0)
	v_ashrrev_i32_e32 v13, 31, v12
.LBB4_1878:                             ;   in Loop: Header=BB4_1856 Depth=3
	s_or_b32 exec_lo, exec_lo, s62
	s_orn2_b32 s16, vcc_lo, exec_lo
.LBB4_1879:                             ;   in Loop: Header=BB4_1856 Depth=3
	s_or_b32 exec_lo, exec_lo, s61
	s_and_saveexec_b32 s61, s16
; %bb.1880:                             ;   in Loop: Header=BB4_1856 Depth=3
	v_mul_lo_u32 v3, v11, v85
	v_mul_lo_u32 v4, v10, v86
	v_mad_u64_u32 v[12:13], null, v10, v85, 0
	v_add3_u32 v13, v13, v4, v3
; %bb.1881:                             ;   in Loop: Header=BB4_1856 Depth=3
	s_or_b32 exec_lo, exec_lo, s61
	v_cmp_eq_u32_e32 vcc_lo, 0, v1
	v_and_b32_e32 v5, 0x2000, v84
	s_mov_b32 s16, exec_lo
	v_cndmask_b32_e32 v1, 0xc8, v113, vcc_lo
	v_add_co_u32 v3, vcc_lo, v24, v12
	v_add_co_ci_u32_e64 v4, null, v25, v13, vcc_lo
	v_add_nc_u32_e32 v1, v0, v1
	ds_write_b64 v1, v[3:4] offset:584
	v_cmpx_ne_u32_e32 0, v5
	s_cbranch_execz .LBB4_1883
; %bb.1882:                             ;   in Loop: Header=BB4_1856 Depth=3
	ds_read_b64 v[3:4], v0 offset:872
	s_waitcnt lgkmcnt(0)
	v_add_co_u32 v3, vcc_lo, v3, 1
	v_add_co_ci_u32_e64 v4, null, 0, v4, vcc_lo
	ds_write_b64 v0, v[3:4] offset:872
.LBB4_1883:                             ;   in Loop: Header=BB4_1856 Depth=3
	s_or_b32 exec_lo, exec_lo, s16
	v_mov_b32_e32 v49, v9
	v_mov_b32_e32 v48, v8
.LBB4_1884:                             ;   in Loop: Header=BB4_1856 Depth=3
	s_or_b32 exec_lo, exec_lo, s17
	s_and_saveexec_b32 s16, s6
	s_cbranch_execz .LBB4_1903
; %bb.1885:                             ;   in Loop: Header=BB4_1856 Depth=3
	s_and_saveexec_b32 s17, s29
	s_xor_b32 s17, exec_lo, s17
	s_cbranch_execz .LBB4_1900
; %bb.1886:                             ;   in Loop: Header=BB4_1856 Depth=3
	s_and_saveexec_b32 s61, s11
	s_cbranch_execz .LBB4_1899
; %bb.1887:                             ;   in Loop: Header=BB4_1856 Depth=3
	s_mov_b32 s63, exec_lo
	s_mov_b32 s62, exec_lo
	v_mbcnt_lo_u32_b32 v1, s63, 0
	s_waitcnt vmcnt(0) lgkmcnt(0)
	s_waitcnt_vscnt null, 0x0
	buffer_gl1_inv
	buffer_gl0_inv
	v_cmpx_eq_u32_e32 0, v1
	s_cbranch_execz .LBB4_1889
; %bb.1888:                             ;   in Loop: Header=BB4_1856 Depth=3
	s_bcnt1_i32_b32 s63, s63
	v_mov_b32_e32 v4, v2
	v_mov_b32_e32 v3, s63
	ds_add_u64 v0, v[3:4]
	s_trap 2
.LBB4_1889:                             ;   in Loop: Header=BB4_1856 Depth=3
	s_or_b32 exec_lo, exec_lo, s62
	s_trap 2
	ds_read_b64 v[3:4], v0
	s_waitcnt lgkmcnt(0)
	buffer_gl0_inv
	v_add_co_u32 v28, vcc_lo, v28, v87
	v_add_co_ci_u32_e64 v29, null, 0, v29, vcc_lo
	s_mov_b32 s62, exec_lo
	v_cmpx_lt_u64_e64 v[3:4], v[28:29]
	s_cbranch_execz .LBB4_1898
; %bb.1890:                             ;   in Loop: Header=BB4_1856 Depth=3
	s_mov_b32 s63, 0
	s_mov_b32 s74, 0
                                        ; implicit-def: $sgpr72
                                        ; implicit-def: $sgpr73
	s_inst_prefetch 0x1
	s_branch .LBB4_1892
	.p2align	6
.LBB4_1891:                             ;   in Loop: Header=BB4_1892 Depth=4
	s_or_b32 exec_lo, exec_lo, s76
	s_and_b32 s75, exec_lo, s77
	s_or_b32 s63, s75, s63
	s_andn2_b32 s72, s72, exec_lo
	s_and_b32 s75, s73, exec_lo
	s_or_b32 s72, s72, s75
	s_andn2_b32 exec_lo, exec_lo, s63
	s_cbranch_execz .LBB4_1896
.LBB4_1892:                             ;   Parent Loop BB4_47 Depth=1
                                        ;     Parent Loop BB4_1853 Depth=2
                                        ;       Parent Loop BB4_1856 Depth=3
                                        ; =>      This Inner Loop Header: Depth=4
	s_add_i32 s74, s74, 1
	s_cmpk_lg_i32 s74, 0x2710
	s_cselect_b32 s75, -1, 0
	s_and_b32 vcc_lo, exec_lo, s75
	s_cbranch_vccz .LBB4_1894
; %bb.1893:                             ;   in Loop: Header=BB4_1892 Depth=4
	s_mov_b32 s77, -1
	s_or_b32 s73, s73, exec_lo
	s_and_saveexec_b32 s76, s75
	s_cbranch_execz .LBB4_1891
	s_branch .LBB4_1895
	.p2align	6
.LBB4_1894:                             ;   in Loop: Header=BB4_1892 Depth=4
	s_trap 2
	ds_read_b64 v[3:4], v0
	s_andn2_b32 s75, s75, exec_lo
	s_mov_b32 s74, 0
	s_waitcnt lgkmcnt(0)
	flat_load_dword v1, v[3:4] glc dlc
	s_waitcnt vmcnt(0) lgkmcnt(0)
	buffer_gl1_inv
	buffer_gl0_inv
	v_cmp_eq_u32_e32 vcc_lo, 0, v1
	s_and_b32 s76, vcc_lo, exec_lo
	s_or_b32 s75, s75, s76
	s_mov_b32 s77, -1
	s_or_b32 s73, s73, exec_lo
	s_and_saveexec_b32 s76, s75
	s_cbranch_execz .LBB4_1891
.LBB4_1895:                             ;   in Loop: Header=BB4_1892 Depth=4
	s_sleep 1
	s_trap 2
	ds_read_b64 v[3:4], v0
	s_waitcnt lgkmcnt(0)
	buffer_gl0_inv
	s_andn2_b32 s73, s73, exec_lo
	v_cmp_ge_u64_e32 vcc_lo, v[3:4], v[28:29]
	s_orn2_b32 s77, vcc_lo, exec_lo
	s_branch .LBB4_1891
.LBB4_1896:                             ;   in Loop: Header=BB4_1856 Depth=3
	s_inst_prefetch 0x2
	s_or_b32 exec_lo, exec_lo, s63
	s_and_saveexec_b32 s63, s72
	s_xor_b32 s63, exec_lo, s63
	s_cbranch_execz .LBB4_1898
; %bb.1897:                             ;   in Loop: Header=BB4_1856 Depth=3
	ds_write_b32 v0, v99
	s_trap 2
.LBB4_1898:                             ;   in Loop: Header=BB4_1856 Depth=3
	s_or_b32 exec_lo, exec_lo, s62
	;;#ASMSTART
	s_wakeup
	;;#ASMEND
.LBB4_1899:                             ;   in Loop: Header=BB4_1856 Depth=3
	s_or_b32 exec_lo, exec_lo, s61
.LBB4_1900:                             ;   in Loop: Header=BB4_1856 Depth=3
	s_andn2_saveexec_b32 s17, s17
	s_cbranch_execz .LBB4_1902
; %bb.1901:                             ;   in Loop: Header=BB4_1856 Depth=3
	s_waitcnt vmcnt(0) lgkmcnt(0)
	s_waitcnt_vscnt null, 0x0
	buffer_gl1_inv
	buffer_gl0_inv
	s_barrier
.LBB4_1902:                             ;   in Loop: Header=BB4_1856 Depth=3
	s_or_b32 exec_lo, exec_lo, s17
.LBB4_1903:                             ;   in Loop: Header=BB4_1856 Depth=3
	s_or_b32 exec_lo, exec_lo, s16
	s_trap 2
	ds_read_b32 v1, v0
	v_and_b32_e32 v3, 0x4000, v84
	s_xor_b32 s16, s5, -1
	v_cmp_ne_u32_e32 vcc_lo, 0, v3
	s_and_b32 s17, s16, vcc_lo
	s_and_saveexec_b32 s16, s17
	s_cbranch_execz .LBB4_1922
; %bb.1904:                             ;   in Loop: Header=BB4_1856 Depth=3
	s_and_saveexec_b32 s17, s29
	s_xor_b32 s17, exec_lo, s17
	s_cbranch_execz .LBB4_1919
; %bb.1905:                             ;   in Loop: Header=BB4_1856 Depth=3
	s_and_saveexec_b32 s61, s11
	s_cbranch_execz .LBB4_1918
; %bb.1906:                             ;   in Loop: Header=BB4_1856 Depth=3
	s_mov_b32 s63, exec_lo
	s_mov_b32 s62, exec_lo
	v_mbcnt_lo_u32_b32 v3, s63, 0
	s_waitcnt vmcnt(0) lgkmcnt(0)
	s_waitcnt_vscnt null, 0x0
	buffer_gl1_inv
	buffer_gl0_inv
	v_cmpx_eq_u32_e32 0, v3
	s_cbranch_execz .LBB4_1908
; %bb.1907:                             ;   in Loop: Header=BB4_1856 Depth=3
	s_bcnt1_i32_b32 s63, s63
	v_mov_b32_e32 v4, v2
	v_mov_b32_e32 v3, s63
	ds_add_u64 v0, v[3:4]
	s_trap 2
.LBB4_1908:                             ;   in Loop: Header=BB4_1856 Depth=3
	s_or_b32 exec_lo, exec_lo, s62
	s_trap 2
	ds_read_b64 v[3:4], v0
	s_waitcnt lgkmcnt(0)
	buffer_gl0_inv
	v_add_co_u32 v28, vcc_lo, v28, v87
	v_add_co_ci_u32_e64 v29, null, 0, v29, vcc_lo
	s_mov_b32 s62, exec_lo
	v_cmpx_lt_u64_e64 v[3:4], v[28:29]
	s_cbranch_execz .LBB4_1917
; %bb.1909:                             ;   in Loop: Header=BB4_1856 Depth=3
	s_mov_b32 s63, 0
	s_mov_b32 s74, 0
                                        ; implicit-def: $sgpr72
                                        ; implicit-def: $sgpr73
	s_inst_prefetch 0x1
	s_branch .LBB4_1911
	.p2align	6
.LBB4_1910:                             ;   in Loop: Header=BB4_1911 Depth=4
	s_or_b32 exec_lo, exec_lo, s76
	s_and_b32 s75, exec_lo, s77
	s_or_b32 s63, s75, s63
	s_andn2_b32 s72, s72, exec_lo
	s_and_b32 s75, s73, exec_lo
	s_or_b32 s72, s72, s75
	s_andn2_b32 exec_lo, exec_lo, s63
	s_cbranch_execz .LBB4_1915
.LBB4_1911:                             ;   Parent Loop BB4_47 Depth=1
                                        ;     Parent Loop BB4_1853 Depth=2
                                        ;       Parent Loop BB4_1856 Depth=3
                                        ; =>      This Inner Loop Header: Depth=4
	s_add_i32 s74, s74, 1
	s_cmpk_lg_i32 s74, 0x2710
	s_cselect_b32 s75, -1, 0
	s_and_b32 vcc_lo, exec_lo, s75
	s_cbranch_vccz .LBB4_1913
; %bb.1912:                             ;   in Loop: Header=BB4_1911 Depth=4
	s_mov_b32 s77, -1
	s_or_b32 s73, s73, exec_lo
	s_and_saveexec_b32 s76, s75
	s_cbranch_execz .LBB4_1910
	s_branch .LBB4_1914
	.p2align	6
.LBB4_1913:                             ;   in Loop: Header=BB4_1911 Depth=4
	s_trap 2
	ds_read_b64 v[3:4], v0
	s_andn2_b32 s75, s75, exec_lo
	s_mov_b32 s74, 0
	s_waitcnt lgkmcnt(0)
	flat_load_dword v3, v[3:4] glc dlc
	s_waitcnt vmcnt(0) lgkmcnt(0)
	buffer_gl1_inv
	buffer_gl0_inv
	v_cmp_eq_u32_e32 vcc_lo, 0, v3
	s_and_b32 s76, vcc_lo, exec_lo
	s_or_b32 s75, s75, s76
	s_mov_b32 s77, -1
	s_or_b32 s73, s73, exec_lo
	s_and_saveexec_b32 s76, s75
	s_cbranch_execz .LBB4_1910
.LBB4_1914:                             ;   in Loop: Header=BB4_1911 Depth=4
	s_sleep 1
	s_trap 2
	ds_read_b64 v[3:4], v0
	s_waitcnt lgkmcnt(0)
	buffer_gl0_inv
	s_andn2_b32 s73, s73, exec_lo
	v_cmp_ge_u64_e32 vcc_lo, v[3:4], v[28:29]
	s_orn2_b32 s77, vcc_lo, exec_lo
	s_branch .LBB4_1910
.LBB4_1915:                             ;   in Loop: Header=BB4_1856 Depth=3
	s_inst_prefetch 0x2
	s_or_b32 exec_lo, exec_lo, s63
	s_and_saveexec_b32 s63, s72
	s_xor_b32 s63, exec_lo, s63
	s_cbranch_execz .LBB4_1917
; %bb.1916:                             ;   in Loop: Header=BB4_1856 Depth=3
	ds_write_b32 v0, v99
	s_trap 2
.LBB4_1917:                             ;   in Loop: Header=BB4_1856 Depth=3
	s_or_b32 exec_lo, exec_lo, s62
	;;#ASMSTART
	s_wakeup
	;;#ASMEND
.LBB4_1918:                             ;   in Loop: Header=BB4_1856 Depth=3
	s_or_b32 exec_lo, exec_lo, s61
.LBB4_1919:                             ;   in Loop: Header=BB4_1856 Depth=3
	s_andn2_saveexec_b32 s17, s17
	s_cbranch_execz .LBB4_1921
; %bb.1920:                             ;   in Loop: Header=BB4_1856 Depth=3
	s_waitcnt vmcnt(0) lgkmcnt(0)
	s_waitcnt_vscnt null, 0x0
	buffer_gl1_inv
	buffer_gl0_inv
	s_barrier
.LBB4_1921:                             ;   in Loop: Header=BB4_1856 Depth=3
	s_or_b32 exec_lo, exec_lo, s17
.LBB4_1922:                             ;   in Loop: Header=BB4_1856 Depth=3
	s_or_b32 exec_lo, exec_lo, s16
	s_trap 2
	ds_read_b64 v[64:65], v0
	s_waitcnt lgkmcnt(0)
	v_cmp_eq_u64_e32 vcc_lo, 0, v[64:65]
	s_cbranch_vccnz .LBB4_1930
; %bb.1923:                             ;   in Loop: Header=BB4_1856 Depth=3
	s_trap 2
	ds_read_b64 v[66:67], v0
	s_waitcnt lgkmcnt(0)
	v_cmp_eq_u64_e32 vcc_lo, 0, v[66:67]
	s_cbranch_vccnz .LBB4_1930
; %bb.1924:                             ;   in Loop: Header=BB4_1856 Depth=3
	s_mov_b32 s16, -1
	s_and_saveexec_b32 s17, s14
	s_cbranch_execz .LBB4_1926
; %bb.1925:                             ;   in Loop: Header=BB4_1856 Depth=3
	ds_read_b32 v3, v0 offset:720
	s_waitcnt lgkmcnt(0)
	v_and_b32_e32 v3, 15, v3
	v_cmp_eq_u32_e32 vcc_lo, 0, v3
	s_orn2_b32 s16, vcc_lo, exec_lo
.LBB4_1926:                             ;   in Loop: Header=BB4_1856 Depth=3
	s_or_b32 exec_lo, exec_lo, s17
	s_and_saveexec_b32 s17, s13
	s_cbranch_execz .LBB4_1928
; %bb.1927:                             ;   in Loop: Header=BB4_1856 Depth=3
	ds_read_b32 v3, v0 offset:784
	s_waitcnt lgkmcnt(0)
	v_and_b32_e32 v3, 15, v3
	v_cmp_eq_u32_e32 vcc_lo, 0, v3
	s_and_b32 s61, s16, vcc_lo
	s_andn2_b32 s16, s16, exec_lo
	s_and_b32 s61, s61, exec_lo
	s_or_b32 s16, s16, s61
.LBB4_1928:                             ;   in Loop: Header=BB4_1856 Depth=3
	s_or_b32 exec_lo, exec_lo, s17
	v_cmp_eq_u32_e32 vcc_lo, 0, v1
	s_xor_b32 s16, s16, -1
	v_mov_b32_e32 v68, 0
	v_cndmask_b32_e64 v4, 0, 1, s16
	v_mov_b32_e32 v70, v0
	v_cndmask_b32_e32 v3, 0, v52, vcc_lo
	s_mov_b32 s16, -1
	v_cmp_ne_u32_e32 vcc_lo, 0, v4
	v_mov_b32_e32 v69, v3
	s_cbranch_vccz .LBB4_1935
; %bb.1929:                             ;   in Loop: Header=BB4_1856 Depth=3
	s_and_saveexec_b32 s17, s16
	s_cbranch_execnz .LBB4_3882
	s_branch .LBB4_4586
.LBB4_1930:                             ;   in Loop: Header=BB4_1856 Depth=3
	s_mov_b32 s16, 0
	s_and_saveexec_b32 s17, s6
	s_cbranch_execnz .LBB4_4587
.LBB4_1931:                             ;   in Loop: Header=BB4_1856 Depth=3
	s_or_b32 exec_lo, exec_lo, s17
                                        ; implicit-def: $vgpr1
	s_and_saveexec_b32 s17, s15
	s_xor_b32 s17, exec_lo, s17
	s_cbranch_execz .LBB4_4605
.LBB4_1932:                             ;   in Loop: Header=BB4_1856 Depth=3
	v_and_b32_e32 v1, 16, v84
	v_cmp_ne_u32_e32 vcc_lo, 0, v1
	v_and_b32_e32 v1, 16, v84
	s_and_b32 s61, vcc_lo, s16
	s_and_saveexec_b32 s16, s61
	s_cbranch_execz .LBB4_1934
; %bb.1933:                             ;   in Loop: Header=BB4_1856 Depth=3
	v_mov_b32_e32 v1, 1
	s_waitcnt vmcnt(0) lgkmcnt(0)
	s_waitcnt_vscnt null, 0x0
	buffer_gl1_inv
	buffer_gl0_inv
.LBB4_1934:                             ;   in Loop: Header=BB4_1856 Depth=3
	s_or_b32 exec_lo, exec_lo, s16
	s_andn2_saveexec_b32 s16, s17
	s_cbranch_execz .LBB4_4624
	s_branch .LBB4_4606
.LBB4_1935:                             ;   in Loop: Header=BB4_1856 Depth=3
	v_ashrrev_i32_e32 v1, 31, v3
	s_mov_b32 s17, exec_lo
	v_lshrrev_b32_e32 v1, 22, v1
	v_add_nc_u32_e32 v1, v3, v1
	v_ashrrev_i32_e32 v59, 10, v1
	v_lshrrev_b32_e32 v1, 5, v0
	v_sub_nc_u32_e32 v53, v59, v1
	v_cmpx_lt_i32_e32 0, v53
	s_cbranch_execz .LBB4_3227
; %bb.1936:                             ;   in Loop: Header=BB4_1856 Depth=3
	s_trap 2
	buffer_load_dword v1, off, s[0:3], s33 offset:196 ; 4-byte Folded Reload
	ds_read_b64 v[4:5], v0
	s_waitcnt lgkmcnt(0)
	v_readfirstlane_b32 s16, v4
	s_and_b32 s61, s16, 3
	s_bfe_u32 s72, s16, 0x50002
	s_flbit_i32_b32 s62, s61
	s_min_u32 s62, s62, 32
	s_sub_i32 s63, s62, 29
	s_sub_i32 s62, 30, s62
	s_lshl_b32 s63, s16, s63
	s_and_b32 s63, s63, 3
	s_cmp_eq_u32 s72, 0
	s_cselect_b32 s62, s62, s72
	s_cselect_b32 s61, s63, s61
	s_lshl_b32 s63, s16, 24
	s_lshl_b32 s62, s62, 23
	s_and_b32 s63, s63, 0x80000000
	s_add_i32 s62, s62, 0x37800000
	s_lshl_b32 s72, s61, 21
	s_or_b32 s62, s63, s62
	s_mov_b32 s61, 0
	s_or_b32 s62, s62, s72
	s_and_b32 s63, s16, 0xff
	s_waitcnt vmcnt(0)
	v_add_co_u32 v68, vcc_lo, v64, v1
	v_add_co_ci_u32_e64 v69, null, 0, v65, vcc_lo
	v_add_co_u32 v70, vcc_lo, v66, v1
	v_add_co_ci_u32_e64 v71, null, 0, v67, vcc_lo
	;; [unrolled: 2-line block ×3, first 2 shown]
	s_branch .LBB4_1940
.LBB4_1937:                             ;   in Loop: Header=BB4_1940 Depth=4
	s_or_b32 exec_lo, exec_lo, s16
	v_lshrrev_b32_e32 v96, 21, v96
	v_min_i32_e32 v115, 31, v51
	v_cmp_gt_i32_e32 vcc_lo, 32, v51
	v_and_b32_sdwa v11, v11, v101 dst_sel:DWORD dst_unused:UNUSED_PAD src0_sel:BYTE_3 src1_sel:DWORD
	v_lshlrev_b32_e32 v115, 2, v115
	v_cndmask_b32_e32 v96, 3, v96, vcc_lo
	v_and_b32_e32 v115, 0xfc, v115
	v_and_b32_e32 v40, 3, v96
	v_or_b32_e32 v51, v51, v96
	v_or3_b32 v11, v11, v115, v40
	v_cmp_ne_u32_e32 vcc_lo, 0, v51
	v_lshlrev_b32_e32 v11, 8, v11
	v_cndmask_b32_e32 v51, 0, v11, vcc_lo
.LBB4_1938:                             ;   in Loop: Header=BB4_1940 Depth=4
	s_or_b32 exec_lo, exec_lo, s73
.LBB4_1939:                             ;   in Loop: Header=BB4_1940 Depth=4
	s_or_b32 exec_lo, exec_lo, s72
	v_or_b32_sdwa v11, v13, v110 dst_sel:WORD_1 dst_unused:UNUSED_PAD src0_sel:DWORD src1_sel:DWORD
	v_or_b32_sdwa v13, v12, v79 dst_sel:WORD_1 dst_unused:UNUSED_PAD src0_sel:DWORD src1_sel:DWORD
	;; [unrolled: 1-line block ×5, first 2 shown]
	v_or3_b32 v12, v107, v95, v11
	v_or3_b32 v11, v74, v61, v13
	;; [unrolled: 1-line block ×3, first 2 shown]
	v_or_b32_sdwa v14, v15, v17 dst_sel:WORD_1 dst_unused:UNUSED_PAD src0_sel:DWORD src1_sel:DWORD
	v_or_b32_sdwa v1, v10, v1 dst_sel:WORD_1 dst_unused:UNUSED_PAD src0_sel:DWORD src1_sel:DWORD
	;; [unrolled: 1-line block ×3, first 2 shown]
	v_sub_nc_u32_e32 v53, v53, v87
	v_or3_b32 v15, v30, v21, v4
	v_or3_b32 v14, v16, v20, v14
	;; [unrolled: 1-line block ×5, first 2 shown]
	v_add_co_u32 v68, vcc_lo, v68, v118
	v_add_co_ci_u32_e64 v69, null, 0, v69, vcc_lo
	v_add_co_u32 v80, vcc_lo, v80, v118
	global_store_dwordx4 v[70:71], v[11:14], off glc slc
	global_store_dwordx4 v[70:71], v[15:18], off offset:512 glc slc
	v_add_co_ci_u32_e64 v81, null, 0, v81, vcc_lo
	v_cmp_gt_i32_e32 vcc_lo, 1, v53
	v_add_co_u32 v70, s16, v70, v118
	v_add_co_ci_u32_e64 v71, null, 0, v71, s16
	s_or_b32 s61, vcc_lo, s61
	s_andn2_b32 exec_lo, exec_lo, s61
	s_cbranch_execz .LBB4_3226
.LBB4_1940:                             ;   Parent Loop BB4_47 Depth=1
                                        ;     Parent Loop BB4_1853 Depth=2
                                        ;       Parent Loop BB4_1856 Depth=3
                                        ; =>      This Inner Loop Header: Depth=4
	s_cmpk_lt_i32 s63, 0x80
	s_cbranch_scc1 .LBB4_1944
; %bb.1941:                             ;   in Loop: Header=BB4_1940 Depth=4
	s_and_b32 s16, 0xffff, s63
	s_cmpk_eq_i32 s16, 0x80
	s_mov_b32 s16, -1
	s_cbranch_scc0 .LBB4_1943
; %bb.1942:                             ;   in Loop: Header=BB4_1940 Depth=4
	s_mov_b32 s16, 0
.LBB4_1943:                             ;   in Loop: Header=BB4_1940 Depth=4
	s_mov_b32 s72, 0x7f800001
	s_branch .LBB4_1946
.LBB4_1944:                             ;   in Loop: Header=BB4_1940 Depth=4
	s_mov_b32 s16, 0
	s_mov_b32 s72, 0x7f800001
	s_cbranch_execz .LBB4_1946
; %bb.1945:                             ;   in Loop: Header=BB4_1940 Depth=4
	s_and_b32 s16, 0xffff, s63
	s_mov_b32 s72, 0
	s_cmp_lg_u32 s16, 0
	s_cselect_b32 s16, -1, 0
.LBB4_1946:                             ;   in Loop: Header=BB4_1940 Depth=4
	s_andn2_b32 vcc_lo, exec_lo, s16
	s_cbranch_vccnz .LBB4_1948
; %bb.1947:                             ;   in Loop: Header=BB4_1940 Depth=4
	s_mov_b32 s72, s62
.LBB4_1948:                             ;   in Loop: Header=BB4_1940 Depth=4
	global_load_dwordx4 v[8:11], v[68:69], off slc
	s_mov_b32 s16, 0
	s_waitcnt vmcnt(0)
	v_cmp_gt_i16_sdwa s73, v8, v100 src0_sel:BYTE_0 src1_sel:DWORD
	s_and_saveexec_b32 s74, s73
	s_xor_b32 s73, exec_lo, s74
	s_cbranch_execz .LBB4_3034
; %bb.1949:                             ;   in Loop: Header=BB4_1940 Depth=4
	v_cmp_eq_u16_sdwa s75, v8, v101 src0_sel:BYTE_0 src1_sel:DWORD
	s_mov_b32 s16, -1
	s_and_saveexec_b32 s74, s75
; %bb.1950:                             ;   in Loop: Header=BB4_1940 Depth=4
	s_xor_b32 s16, exec_lo, -1
; %bb.1951:                             ;   in Loop: Header=BB4_1940 Depth=4
	s_or_b32 exec_lo, exec_lo, s74
	s_and_b32 s16, s16, exec_lo
	s_or_saveexec_b32 s73, s73
	v_mov_b32_e32 v1, 0x7f800001
	s_xor_b32 exec_lo, exec_lo, s73
	s_cbranch_execnz .LBB4_3035
.LBB4_1952:                             ;   in Loop: Header=BB4_1940 Depth=4
	s_or_b32 exec_lo, exec_lo, s73
	s_and_saveexec_b32 s73, s16
	s_cbranch_execz .LBB4_1954
.LBB4_1953:                             ;   in Loop: Header=BB4_1940 Depth=4
	v_and_b32_e32 v1, 3, v8
	v_bfe_u32 v12, v8, 2, 5
	v_lshlrev_b32_e32 v13, 24, v8
	v_ffbh_u32_e32 v4, v1
	v_cmp_eq_u32_e32 vcc_lo, 0, v12
	v_min_u32_e32 v4, 32, v4
	v_subrev_nc_u32_e32 v5, 29, v4
	v_sub_nc_u32_e32 v4, 30, v4
	v_lshlrev_b32_e32 v5, v5, v8
	v_cndmask_b32_e32 v4, v12, v4, vcc_lo
	v_and_b32_e32 v5, 3, v5
	v_lshl_add_u32 v4, v4, 23, 0x37800000
	v_cndmask_b32_e32 v1, v1, v5, vcc_lo
	v_and_b32_e32 v5, 0x80000000, v13
	v_lshlrev_b32_e32 v1, 21, v1
	v_or3_b32 v1, v5, v4, v1
.LBB4_1954:                             ;   in Loop: Header=BB4_1940 Depth=4
	s_or_b32 exec_lo, exec_lo, s73
	v_mul_f32_e32 v1, s72, v1
	v_mov_b32_e32 v61, 0x80
	s_mov_b32 s73, exec_lo
	v_and_b32_e32 v4, 0x7f800000, v1
	v_cmpx_ne_u32_e32 0x7f800000, v4
	s_cbranch_execz .LBB4_1962
; %bb.1955:                             ;   in Loop: Header=BB4_1940 Depth=4
	v_mov_b32_e32 v61, 0
	s_mov_b32 s74, exec_lo
	v_cmpx_ne_u32_e32 0, v1
	s_cbranch_execz .LBB4_1961
; %bb.1956:                             ;   in Loop: Header=BB4_1940 Depth=4
	v_bfe_u32 v4, v1, 23, 8
	v_and_b32_e32 v5, 0x7fffff, v1
	v_sub_nc_u32_e32 v12, 0x70, v4
	v_cmp_gt_u32_e32 vcc_lo, 0x71, v4
	v_or_b32_e32 v13, 0x800000, v5
	v_cndmask_b32_e32 v12, 0, v12, vcc_lo
	v_cmp_eq_u32_e32 vcc_lo, 0, v4
	v_add_nc_u32_e32 v4, 0xffffff91, v4
	v_cndmask_b32_e64 v12, v12, 0x6f, vcc_lo
	v_cndmask_b32_e32 v5, v13, v5, vcc_lo
	v_cndmask_b32_e64 v4, v4, 0xffffff92, vcc_lo
	v_lshl_add_u32 v13, 0x200000, v12, -1
	v_lshrrev_b32_e32 v14, v12, v5
	v_lshlrev_b32_e64 v16, v12, 0x100000
	v_add_nc_u32_e32 v12, v12, v4
	v_and_b32_e32 v5, v13, v5
	v_bfe_u32 v15, v14, 21, 1
	v_cmp_eq_u32_e64 s16, v5, v16
	v_add_nc_u32_e32 v13, -1, v15
	v_cndmask_b32_e64 v5, 0, v13, s16
	v_lshrrev_b32_e32 v13, 23, v14
	s_mov_b32 s16, exec_lo
	v_add_nc_u32_e32 v5, v5, v14
	v_xor_b32_e32 v13, 1, v13
	v_and_b32_e32 v4, 0x1fffff, v5
	v_add_nc_u32_e32 v5, v4, v14
                                        ; implicit-def: $vgpr4
	v_cmpx_ne_u32_e64 v12, v13
	s_xor_b32 s16, exec_lo, s16
; %bb.1957:                             ;   in Loop: Header=BB4_1940 Depth=4
	v_cmp_lt_u32_e32 vcc_lo, 0xffffff, v5
	v_sub_nc_u32_e32 v4, v12, v13
	v_cndmask_b32_e64 v12, 0, 1, vcc_lo
	v_add_co_ci_u32_e64 v4, null, 0, v4, vcc_lo
	v_lshrrev_b32_e32 v5, v12, v5
; %bb.1958:                             ;   in Loop: Header=BB4_1940 Depth=4
	s_andn2_saveexec_b32 s16, s16
; %bb.1959:                             ;   in Loop: Header=BB4_1940 Depth=4
	v_bfe_u32 v4, v5, 23, 1
; %bb.1960:                             ;   in Loop: Header=BB4_1940 Depth=4
	s_or_b32 exec_lo, exec_lo, s16
	v_lshrrev_b32_e32 v5, 21, v5
	v_min_i32_e32 v12, 31, v4
	v_cmp_gt_i32_e32 vcc_lo, 32, v4
	v_and_b32_sdwa v1, v1, v101 dst_sel:DWORD dst_unused:UNUSED_PAD src0_sel:BYTE_3 src1_sel:DWORD
	v_lshlrev_b32_e32 v12, 2, v12
	v_cndmask_b32_e32 v5, 3, v5, vcc_lo
	v_and_b32_e32 v12, 0xfc, v12
	v_and_b32_e32 v13, 3, v5
	v_or_b32_e32 v4, v4, v5
	v_or3_b32 v1, v12, v1, v13
	v_cmp_ne_u32_e32 vcc_lo, 0, v4
	v_cndmask_b32_e32 v61, 0, v1, vcc_lo
.LBB4_1961:                             ;   in Loop: Header=BB4_1940 Depth=4
	s_or_b32 exec_lo, exec_lo, s74
.LBB4_1962:                             ;   in Loop: Header=BB4_1940 Depth=4
	s_or_b32 exec_lo, exec_lo, s73
	v_cmp_gt_i16_sdwa s73, v8, v100 src0_sel:BYTE_1 src1_sel:DWORD
	s_mov_b32 s16, 0
	s_and_saveexec_b32 s74, s73
	s_xor_b32 s73, exec_lo, s74
	s_cbranch_execz .LBB4_3036
; %bb.1963:                             ;   in Loop: Header=BB4_1940 Depth=4
	v_cmp_eq_u16_sdwa s75, v8, v101 src0_sel:BYTE_1 src1_sel:DWORD
	s_mov_b32 s16, -1
	s_and_saveexec_b32 s74, s75
; %bb.1964:                             ;   in Loop: Header=BB4_1940 Depth=4
	s_xor_b32 s16, exec_lo, -1
; %bb.1965:                             ;   in Loop: Header=BB4_1940 Depth=4
	s_or_b32 exec_lo, exec_lo, s74
	s_and_b32 s16, s16, exec_lo
	s_or_saveexec_b32 s73, s73
	v_mov_b32_e32 v1, 0x7f800001
	s_xor_b32 exec_lo, exec_lo, s73
	s_cbranch_execnz .LBB4_3037
.LBB4_1966:                             ;   in Loop: Header=BB4_1940 Depth=4
	s_or_b32 exec_lo, exec_lo, s73
	s_and_saveexec_b32 s73, s16
	s_cbranch_execz .LBB4_1968
.LBB4_1967:                             ;   in Loop: Header=BB4_1940 Depth=4
	v_and_b32_sdwa v1, v102, v8 dst_sel:DWORD dst_unused:UNUSED_PAD src0_sel:DWORD src1_sel:BYTE_1
	v_and_b32_e32 v4, 3, v1
	v_bfe_u32 v13, v1, 2, 5
	v_ffbh_u32_e32 v5, v4
	v_cmp_eq_u32_e32 vcc_lo, 0, v13
	v_min_u32_e32 v5, 32, v5
	v_subrev_nc_u32_e32 v12, 29, v5
	v_sub_nc_u32_e32 v5, 30, v5
	v_lshlrev_b32_e32 v1, v12, v1
	v_lshlrev_b32_sdwa v12, v103, v8 dst_sel:DWORD dst_unused:UNUSED_PAD src0_sel:DWORD src1_sel:BYTE_1
	v_cndmask_b32_e32 v5, v13, v5, vcc_lo
	v_and_b32_e32 v1, 3, v1
	v_lshl_add_u32 v5, v5, 23, 0x37800000
	v_cndmask_b32_e32 v1, v4, v1, vcc_lo
	v_and_b32_e32 v4, 0x80000000, v12
	v_lshlrev_b32_e32 v1, 21, v1
	v_or3_b32 v1, v4, v5, v1
.LBB4_1968:                             ;   in Loop: Header=BB4_1940 Depth=4
	s_or_b32 exec_lo, exec_lo, s73
	v_mul_f32_e32 v1, s72, v1
	v_mov_b32_e32 v20, 0x8000
	s_mov_b32 s73, exec_lo
	v_and_b32_e32 v4, 0x7f800000, v1
	v_cmpx_ne_u32_e32 0x7f800000, v4
	s_cbranch_execz .LBB4_1976
; %bb.1969:                             ;   in Loop: Header=BB4_1940 Depth=4
	v_mov_b32_e32 v20, 0
	s_mov_b32 s74, exec_lo
	v_cmpx_ne_u32_e32 0, v1
	s_cbranch_execz .LBB4_1975
; %bb.1970:                             ;   in Loop: Header=BB4_1940 Depth=4
	v_bfe_u32 v4, v1, 23, 8
	v_and_b32_e32 v5, 0x7fffff, v1
	v_sub_nc_u32_e32 v12, 0x70, v4
	v_cmp_gt_u32_e32 vcc_lo, 0x71, v4
	v_or_b32_e32 v13, 0x800000, v5
	v_cndmask_b32_e32 v12, 0, v12, vcc_lo
	v_cmp_eq_u32_e32 vcc_lo, 0, v4
	v_add_nc_u32_e32 v4, 0xffffff91, v4
	v_cndmask_b32_e64 v12, v12, 0x6f, vcc_lo
	v_cndmask_b32_e32 v5, v13, v5, vcc_lo
	v_cndmask_b32_e64 v4, v4, 0xffffff92, vcc_lo
	v_lshl_add_u32 v13, 0x200000, v12, -1
	v_lshrrev_b32_e32 v14, v12, v5
	v_lshlrev_b32_e64 v16, v12, 0x100000
	v_add_nc_u32_e32 v12, v12, v4
	v_and_b32_e32 v5, v13, v5
	v_bfe_u32 v15, v14, 21, 1
	v_cmp_eq_u32_e64 s16, v5, v16
	v_add_nc_u32_e32 v13, -1, v15
	v_cndmask_b32_e64 v5, 0, v13, s16
	v_lshrrev_b32_e32 v13, 23, v14
	s_mov_b32 s16, exec_lo
	v_add_nc_u32_e32 v5, v5, v14
	v_xor_b32_e32 v13, 1, v13
	v_and_b32_e32 v4, 0x1fffff, v5
	v_add_nc_u32_e32 v5, v4, v14
                                        ; implicit-def: $vgpr4
	v_cmpx_ne_u32_e64 v12, v13
	s_xor_b32 s16, exec_lo, s16
; %bb.1971:                             ;   in Loop: Header=BB4_1940 Depth=4
	v_cmp_lt_u32_e32 vcc_lo, 0xffffff, v5
	v_sub_nc_u32_e32 v4, v12, v13
	v_cndmask_b32_e64 v12, 0, 1, vcc_lo
	v_add_co_ci_u32_e64 v4, null, 0, v4, vcc_lo
	v_lshrrev_b32_e32 v5, v12, v5
; %bb.1972:                             ;   in Loop: Header=BB4_1940 Depth=4
	s_andn2_saveexec_b32 s16, s16
; %bb.1973:                             ;   in Loop: Header=BB4_1940 Depth=4
	v_bfe_u32 v4, v5, 23, 1
; %bb.1974:                             ;   in Loop: Header=BB4_1940 Depth=4
	s_or_b32 exec_lo, exec_lo, s16
	v_lshrrev_b32_e32 v5, 21, v5
	v_min_i32_e32 v12, 31, v4
	v_cmp_gt_i32_e32 vcc_lo, 32, v4
	v_and_b32_sdwa v1, v1, v101 dst_sel:DWORD dst_unused:UNUSED_PAD src0_sel:BYTE_3 src1_sel:DWORD
	v_lshlrev_b32_e32 v12, 2, v12
	v_cndmask_b32_e32 v5, 3, v5, vcc_lo
	v_and_b32_e32 v12, 0xfc, v12
	v_and_b32_e32 v13, 3, v5
	v_or_b32_e32 v4, v4, v5
	v_or3_b32 v1, v1, v12, v13
	v_cmp_ne_u32_e32 vcc_lo, 0, v4
	v_lshlrev_b32_e32 v1, 8, v1
	v_cndmask_b32_e32 v20, 0, v1, vcc_lo
.LBB4_1975:                             ;   in Loop: Header=BB4_1940 Depth=4
	s_or_b32 exec_lo, exec_lo, s74
.LBB4_1976:                             ;   in Loop: Header=BB4_1940 Depth=4
	s_or_b32 exec_lo, exec_lo, s73
	v_and_b32_sdwa v4, v8, v112 dst_sel:DWORD dst_unused:UNUSED_PAD src0_sel:WORD_1 src1_sel:DWORD
	s_mov_b32 s16, 0
	s_mov_b32 s73, exec_lo
	v_cmpx_lt_i16_e32 0x7f, v4
	s_xor_b32 s73, exec_lo, s73
	s_cbranch_execz .LBB4_3038
; %bb.1977:                             ;   in Loop: Header=BB4_1940 Depth=4
	s_mov_b32 s16, -1
	s_mov_b32 s74, exec_lo
	v_cmpx_eq_u16_e32 0x80, v4
; %bb.1978:                             ;   in Loop: Header=BB4_1940 Depth=4
	s_xor_b32 s16, exec_lo, -1
; %bb.1979:                             ;   in Loop: Header=BB4_1940 Depth=4
	s_or_b32 exec_lo, exec_lo, s74
	s_and_b32 s16, s16, exec_lo
                                        ; implicit-def: $vgpr4
	s_or_saveexec_b32 s73, s73
	v_mov_b32_e32 v1, 0x7f800001
	s_xor_b32 exec_lo, exec_lo, s73
	s_cbranch_execnz .LBB4_3039
.LBB4_1980:                             ;   in Loop: Header=BB4_1940 Depth=4
	s_or_b32 exec_lo, exec_lo, s73
	s_and_saveexec_b32 s73, s16
	s_cbranch_execz .LBB4_1982
.LBB4_1981:                             ;   in Loop: Header=BB4_1940 Depth=4
	v_bfe_u32 v1, v8, 16, 2
	v_bfe_u32 v12, v8, 18, 5
	v_lshlrev_b32_e32 v13, 8, v8
	v_ffbh_u32_e32 v4, v1
	v_cmp_eq_u32_e32 vcc_lo, 0, v12
	v_min_u32_e32 v4, 32, v4
	v_subrev_nc_u32_e32 v5, 29, v4
	v_sub_nc_u32_e32 v4, 30, v4
	v_lshlrev_b32_sdwa v5, v5, v8 dst_sel:DWORD dst_unused:UNUSED_PAD src0_sel:DWORD src1_sel:WORD_1
	v_cndmask_b32_e32 v4, v12, v4, vcc_lo
	v_and_b32_e32 v5, 3, v5
	v_lshl_add_u32 v4, v4, 23, 0x37800000
	v_cndmask_b32_e32 v1, v1, v5, vcc_lo
	v_and_b32_e32 v5, 0x80000000, v13
	v_lshlrev_b32_e32 v1, 21, v1
	v_or3_b32 v1, v5, v4, v1
.LBB4_1982:                             ;   in Loop: Header=BB4_1940 Depth=4
	s_or_b32 exec_lo, exec_lo, s73
	v_mul_f32_e32 v1, s72, v1
	v_mov_b32_e32 v79, 0x80
	s_mov_b32 s73, exec_lo
	v_and_b32_e32 v4, 0x7f800000, v1
	v_cmpx_ne_u32_e32 0x7f800000, v4
	s_cbranch_execz .LBB4_1990
; %bb.1983:                             ;   in Loop: Header=BB4_1940 Depth=4
	v_mov_b32_e32 v79, 0
	s_mov_b32 s74, exec_lo
	v_cmpx_ne_u32_e32 0, v1
	s_cbranch_execz .LBB4_1989
; %bb.1984:                             ;   in Loop: Header=BB4_1940 Depth=4
	v_bfe_u32 v4, v1, 23, 8
	v_and_b32_e32 v5, 0x7fffff, v1
	v_sub_nc_u32_e32 v12, 0x70, v4
	v_cmp_gt_u32_e32 vcc_lo, 0x71, v4
	v_or_b32_e32 v13, 0x800000, v5
	v_cndmask_b32_e32 v12, 0, v12, vcc_lo
	v_cmp_eq_u32_e32 vcc_lo, 0, v4
	v_add_nc_u32_e32 v4, 0xffffff91, v4
	v_cndmask_b32_e64 v12, v12, 0x6f, vcc_lo
	v_cndmask_b32_e32 v5, v13, v5, vcc_lo
	v_cndmask_b32_e64 v4, v4, 0xffffff92, vcc_lo
	v_lshl_add_u32 v13, 0x200000, v12, -1
	v_lshrrev_b32_e32 v14, v12, v5
	v_lshlrev_b32_e64 v16, v12, 0x100000
	v_add_nc_u32_e32 v12, v12, v4
	v_and_b32_e32 v5, v13, v5
	v_bfe_u32 v15, v14, 21, 1
	v_cmp_eq_u32_e64 s16, v5, v16
	v_add_nc_u32_e32 v13, -1, v15
	v_cndmask_b32_e64 v5, 0, v13, s16
	v_lshrrev_b32_e32 v13, 23, v14
	s_mov_b32 s16, exec_lo
	v_add_nc_u32_e32 v5, v5, v14
	v_xor_b32_e32 v13, 1, v13
	v_and_b32_e32 v4, 0x1fffff, v5
	v_add_nc_u32_e32 v5, v4, v14
                                        ; implicit-def: $vgpr4
	v_cmpx_ne_u32_e64 v12, v13
	s_xor_b32 s16, exec_lo, s16
; %bb.1985:                             ;   in Loop: Header=BB4_1940 Depth=4
	v_cmp_lt_u32_e32 vcc_lo, 0xffffff, v5
	v_sub_nc_u32_e32 v4, v12, v13
	v_cndmask_b32_e64 v12, 0, 1, vcc_lo
	v_add_co_ci_u32_e64 v4, null, 0, v4, vcc_lo
	v_lshrrev_b32_e32 v5, v12, v5
; %bb.1986:                             ;   in Loop: Header=BB4_1940 Depth=4
	s_andn2_saveexec_b32 s16, s16
; %bb.1987:                             ;   in Loop: Header=BB4_1940 Depth=4
	v_bfe_u32 v4, v5, 23, 1
; %bb.1988:                             ;   in Loop: Header=BB4_1940 Depth=4
	s_or_b32 exec_lo, exec_lo, s16
	v_lshrrev_b32_e32 v5, 21, v5
	v_min_i32_e32 v12, 31, v4
	v_cmp_gt_i32_e32 vcc_lo, 32, v4
	v_and_b32_sdwa v1, v1, v101 dst_sel:DWORD dst_unused:UNUSED_PAD src0_sel:BYTE_3 src1_sel:DWORD
	v_lshlrev_b32_e32 v12, 2, v12
	v_cndmask_b32_e32 v5, 3, v5, vcc_lo
	v_and_b32_e32 v12, 0xfc, v12
	v_and_b32_e32 v13, 3, v5
	v_or_b32_e32 v4, v4, v5
	v_or3_b32 v1, v12, v1, v13
	v_cmp_ne_u32_e32 vcc_lo, 0, v4
	v_cndmask_b32_e32 v79, 0, v1, vcc_lo
.LBB4_1989:                             ;   in Loop: Header=BB4_1940 Depth=4
	s_or_b32 exec_lo, exec_lo, s74
.LBB4_1990:                             ;   in Loop: Header=BB4_1940 Depth=4
	s_or_b32 exec_lo, exec_lo, s73
	v_cmp_gt_i16_sdwa s73, v8, v100 src0_sel:BYTE_3 src1_sel:DWORD
	s_mov_b32 s16, 0
	s_and_saveexec_b32 s74, s73
	s_xor_b32 s73, exec_lo, s74
	s_cbranch_execz .LBB4_3040
; %bb.1991:                             ;   in Loop: Header=BB4_1940 Depth=4
	v_cmp_eq_u16_sdwa s75, v8, v101 src0_sel:BYTE_3 src1_sel:DWORD
	s_mov_b32 s16, -1
	s_and_saveexec_b32 s74, s75
; %bb.1992:                             ;   in Loop: Header=BB4_1940 Depth=4
	s_xor_b32 s16, exec_lo, -1
; %bb.1993:                             ;   in Loop: Header=BB4_1940 Depth=4
	s_or_b32 exec_lo, exec_lo, s74
	s_and_b32 s16, s16, exec_lo
	s_or_saveexec_b32 s73, s73
	v_mov_b32_e32 v1, 0x7f800001
	s_xor_b32 exec_lo, exec_lo, s73
	s_cbranch_execnz .LBB4_3041
.LBB4_1994:                             ;   in Loop: Header=BB4_1940 Depth=4
	s_or_b32 exec_lo, exec_lo, s73
	s_and_saveexec_b32 s73, s16
	s_cbranch_execz .LBB4_1996
.LBB4_1995:                             ;   in Loop: Header=BB4_1940 Depth=4
	v_bfe_u32 v1, v8, 24, 2
	v_bfe_u32 v12, v8, 26, 5
	v_ffbh_u32_e32 v4, v1
	v_cmp_eq_u32_e32 vcc_lo, 0, v12
	v_min_u32_e32 v4, 32, v4
	v_subrev_nc_u32_e32 v5, 29, v4
	v_sub_nc_u32_e32 v4, 30, v4
	v_lshlrev_b32_sdwa v5, v5, v8 dst_sel:DWORD dst_unused:UNUSED_PAD src0_sel:DWORD src1_sel:BYTE_3
	v_cndmask_b32_e32 v4, v12, v4, vcc_lo
	v_and_b32_e32 v5, 3, v5
	v_lshl_add_u32 v4, v4, 23, 0x37800000
	v_cndmask_b32_e32 v1, v1, v5, vcc_lo
	v_and_b32_e32 v5, 0x80000000, v8
	v_lshlrev_b32_e32 v1, 21, v1
	v_or3_b32 v1, v5, v4, v1
.LBB4_1996:                             ;   in Loop: Header=BB4_1940 Depth=4
	s_or_b32 exec_lo, exec_lo, s73
	v_mul_f32_e32 v1, s72, v1
	v_mov_b32_e32 v30, 0x8000
	s_mov_b32 s73, exec_lo
	v_and_b32_e32 v4, 0x7f800000, v1
	v_cmpx_ne_u32_e32 0x7f800000, v4
	s_cbranch_execz .LBB4_2004
; %bb.1997:                             ;   in Loop: Header=BB4_1940 Depth=4
	v_mov_b32_e32 v30, 0
	s_mov_b32 s74, exec_lo
	v_cmpx_ne_u32_e32 0, v1
	s_cbranch_execz .LBB4_2003
; %bb.1998:                             ;   in Loop: Header=BB4_1940 Depth=4
	v_bfe_u32 v4, v1, 23, 8
	v_and_b32_e32 v5, 0x7fffff, v1
	v_sub_nc_u32_e32 v8, 0x70, v4
	v_cmp_gt_u32_e32 vcc_lo, 0x71, v4
	v_or_b32_e32 v12, 0x800000, v5
	v_cndmask_b32_e32 v8, 0, v8, vcc_lo
	v_cmp_eq_u32_e32 vcc_lo, 0, v4
	v_add_nc_u32_e32 v4, 0xffffff91, v4
	v_cndmask_b32_e64 v8, v8, 0x6f, vcc_lo
	v_cndmask_b32_e32 v5, v12, v5, vcc_lo
	v_cndmask_b32_e64 v4, v4, 0xffffff92, vcc_lo
	v_lshl_add_u32 v12, 0x200000, v8, -1
	v_lshrrev_b32_e32 v13, v8, v5
	v_lshlrev_b32_e64 v15, v8, 0x100000
	v_add_nc_u32_e32 v8, v8, v4
	v_and_b32_e32 v5, v12, v5
	v_bfe_u32 v14, v13, 21, 1
	v_cmp_eq_u32_e64 s16, v5, v15
	v_add_nc_u32_e32 v12, -1, v14
	v_cndmask_b32_e64 v5, 0, v12, s16
	v_lshrrev_b32_e32 v12, 23, v13
	s_mov_b32 s16, exec_lo
	v_add_nc_u32_e32 v5, v5, v13
	v_xor_b32_e32 v12, 1, v12
	v_and_b32_e32 v4, 0x1fffff, v5
	v_add_nc_u32_e32 v5, v4, v13
                                        ; implicit-def: $vgpr4
	v_cmpx_ne_u32_e64 v8, v12
	s_xor_b32 s16, exec_lo, s16
; %bb.1999:                             ;   in Loop: Header=BB4_1940 Depth=4
	v_cmp_lt_u32_e32 vcc_lo, 0xffffff, v5
	v_sub_nc_u32_e32 v4, v8, v12
	v_cndmask_b32_e64 v8, 0, 1, vcc_lo
	v_add_co_ci_u32_e64 v4, null, 0, v4, vcc_lo
	v_lshrrev_b32_e32 v5, v8, v5
; %bb.2000:                             ;   in Loop: Header=BB4_1940 Depth=4
	s_andn2_saveexec_b32 s16, s16
; %bb.2001:                             ;   in Loop: Header=BB4_1940 Depth=4
	v_bfe_u32 v4, v5, 23, 1
; %bb.2002:                             ;   in Loop: Header=BB4_1940 Depth=4
	s_or_b32 exec_lo, exec_lo, s16
	v_lshrrev_b32_e32 v5, 21, v5
	v_min_i32_e32 v8, 31, v4
	v_cmp_gt_i32_e32 vcc_lo, 32, v4
	v_and_b32_sdwa v1, v1, v101 dst_sel:DWORD dst_unused:UNUSED_PAD src0_sel:BYTE_3 src1_sel:DWORD
	v_lshlrev_b32_e32 v8, 2, v8
	v_cndmask_b32_e32 v5, 3, v5, vcc_lo
	v_and_b32_e32 v8, 0xfc, v8
	v_and_b32_e32 v12, 3, v5
	v_or_b32_e32 v4, v4, v5
	v_or3_b32 v1, v1, v8, v12
	v_cmp_ne_u32_e32 vcc_lo, 0, v4
	v_lshlrev_b32_e32 v1, 8, v1
	v_cndmask_b32_e32 v30, 0, v1, vcc_lo
.LBB4_2003:                             ;   in Loop: Header=BB4_1940 Depth=4
	s_or_b32 exec_lo, exec_lo, s74
.LBB4_2004:                             ;   in Loop: Header=BB4_1940 Depth=4
	s_or_b32 exec_lo, exec_lo, s73
	v_cmp_gt_i16_sdwa s73, v9, v100 src0_sel:BYTE_0 src1_sel:DWORD
	s_mov_b32 s16, 0
	s_and_saveexec_b32 s74, s73
	s_xor_b32 s73, exec_lo, s74
	s_cbranch_execz .LBB4_3042
; %bb.2005:                             ;   in Loop: Header=BB4_1940 Depth=4
	v_cmp_eq_u16_sdwa s75, v9, v101 src0_sel:BYTE_0 src1_sel:DWORD
	s_mov_b32 s16, -1
	s_and_saveexec_b32 s74, s75
; %bb.2006:                             ;   in Loop: Header=BB4_1940 Depth=4
	s_xor_b32 s16, exec_lo, -1
; %bb.2007:                             ;   in Loop: Header=BB4_1940 Depth=4
	s_or_b32 exec_lo, exec_lo, s74
	s_and_b32 s16, s16, exec_lo
	s_or_saveexec_b32 s73, s73
	v_mov_b32_e32 v1, 0x7f800001
	s_xor_b32 exec_lo, exec_lo, s73
	s_cbranch_execnz .LBB4_3043
.LBB4_2008:                             ;   in Loop: Header=BB4_1940 Depth=4
	s_or_b32 exec_lo, exec_lo, s73
	s_and_saveexec_b32 s73, s16
	s_cbranch_execz .LBB4_2010
.LBB4_2009:                             ;   in Loop: Header=BB4_1940 Depth=4
	v_and_b32_e32 v1, 3, v9
	v_bfe_u32 v8, v9, 2, 5
	v_lshlrev_b32_e32 v12, 24, v9
	v_ffbh_u32_e32 v4, v1
	v_cmp_eq_u32_e32 vcc_lo, 0, v8
	v_min_u32_e32 v4, 32, v4
	v_subrev_nc_u32_e32 v5, 29, v4
	v_sub_nc_u32_e32 v4, 30, v4
	v_lshlrev_b32_e32 v5, v5, v9
	v_cndmask_b32_e32 v4, v8, v4, vcc_lo
	v_and_b32_e32 v5, 3, v5
	v_lshl_add_u32 v4, v4, 23, 0x37800000
	v_cndmask_b32_e32 v1, v1, v5, vcc_lo
	v_and_b32_e32 v5, 0x80000000, v12
	v_lshlrev_b32_e32 v1, 21, v1
	v_or3_b32 v1, v5, v4, v1
.LBB4_2010:                             ;   in Loop: Header=BB4_1940 Depth=4
	s_or_b32 exec_lo, exec_lo, s73
	v_mul_f32_e32 v1, s72, v1
	v_mov_b32_e32 v18, 0x80
	s_mov_b32 s73, exec_lo
	v_and_b32_e32 v4, 0x7f800000, v1
	v_cmpx_ne_u32_e32 0x7f800000, v4
	s_cbranch_execz .LBB4_2018
; %bb.2011:                             ;   in Loop: Header=BB4_1940 Depth=4
	v_mov_b32_e32 v18, 0
	s_mov_b32 s74, exec_lo
	v_cmpx_ne_u32_e32 0, v1
	s_cbranch_execz .LBB4_2017
; %bb.2012:                             ;   in Loop: Header=BB4_1940 Depth=4
	v_bfe_u32 v4, v1, 23, 8
	v_and_b32_e32 v5, 0x7fffff, v1
	v_sub_nc_u32_e32 v8, 0x70, v4
	v_cmp_gt_u32_e32 vcc_lo, 0x71, v4
	v_or_b32_e32 v12, 0x800000, v5
	v_cndmask_b32_e32 v8, 0, v8, vcc_lo
	v_cmp_eq_u32_e32 vcc_lo, 0, v4
	v_add_nc_u32_e32 v4, 0xffffff91, v4
	v_cndmask_b32_e64 v8, v8, 0x6f, vcc_lo
	v_cndmask_b32_e32 v5, v12, v5, vcc_lo
	v_cndmask_b32_e64 v4, v4, 0xffffff92, vcc_lo
	v_lshl_add_u32 v12, 0x200000, v8, -1
	v_lshrrev_b32_e32 v13, v8, v5
	v_lshlrev_b32_e64 v15, v8, 0x100000
	v_add_nc_u32_e32 v8, v8, v4
	v_and_b32_e32 v5, v12, v5
	v_bfe_u32 v14, v13, 21, 1
	v_cmp_eq_u32_e64 s16, v5, v15
	v_add_nc_u32_e32 v12, -1, v14
	v_cndmask_b32_e64 v5, 0, v12, s16
	v_lshrrev_b32_e32 v12, 23, v13
	s_mov_b32 s16, exec_lo
	v_add_nc_u32_e32 v5, v5, v13
	v_xor_b32_e32 v12, 1, v12
	v_and_b32_e32 v4, 0x1fffff, v5
	v_add_nc_u32_e32 v5, v4, v13
                                        ; implicit-def: $vgpr4
	v_cmpx_ne_u32_e64 v8, v12
	s_xor_b32 s16, exec_lo, s16
; %bb.2013:                             ;   in Loop: Header=BB4_1940 Depth=4
	v_cmp_lt_u32_e32 vcc_lo, 0xffffff, v5
	v_sub_nc_u32_e32 v4, v8, v12
	v_cndmask_b32_e64 v8, 0, 1, vcc_lo
	v_add_co_ci_u32_e64 v4, null, 0, v4, vcc_lo
	v_lshrrev_b32_e32 v5, v8, v5
; %bb.2014:                             ;   in Loop: Header=BB4_1940 Depth=4
	s_andn2_saveexec_b32 s16, s16
; %bb.2015:                             ;   in Loop: Header=BB4_1940 Depth=4
	v_bfe_u32 v4, v5, 23, 1
; %bb.2016:                             ;   in Loop: Header=BB4_1940 Depth=4
	s_or_b32 exec_lo, exec_lo, s16
	v_lshrrev_b32_e32 v5, 21, v5
	v_min_i32_e32 v8, 31, v4
	v_cmp_gt_i32_e32 vcc_lo, 32, v4
	v_and_b32_sdwa v1, v1, v101 dst_sel:DWORD dst_unused:UNUSED_PAD src0_sel:BYTE_3 src1_sel:DWORD
	v_lshlrev_b32_e32 v8, 2, v8
	v_cndmask_b32_e32 v5, 3, v5, vcc_lo
	v_and_b32_e32 v8, 0xfc, v8
	v_and_b32_e32 v12, 3, v5
	v_or_b32_e32 v4, v4, v5
	v_or3_b32 v1, v8, v1, v12
	v_cmp_ne_u32_e32 vcc_lo, 0, v4
	v_cndmask_b32_e32 v18, 0, v1, vcc_lo
.LBB4_2017:                             ;   in Loop: Header=BB4_1940 Depth=4
	s_or_b32 exec_lo, exec_lo, s74
.LBB4_2018:                             ;   in Loop: Header=BB4_1940 Depth=4
	s_or_b32 exec_lo, exec_lo, s73
	v_cmp_gt_i16_sdwa s73, v9, v100 src0_sel:BYTE_1 src1_sel:DWORD
	s_mov_b32 s16, 0
	s_and_saveexec_b32 s74, s73
	s_xor_b32 s73, exec_lo, s74
	s_cbranch_execz .LBB4_3044
; %bb.2019:                             ;   in Loop: Header=BB4_1940 Depth=4
	v_cmp_eq_u16_sdwa s75, v9, v101 src0_sel:BYTE_1 src1_sel:DWORD
	s_mov_b32 s16, -1
	s_and_saveexec_b32 s74, s75
; %bb.2020:                             ;   in Loop: Header=BB4_1940 Depth=4
	s_xor_b32 s16, exec_lo, -1
; %bb.2021:                             ;   in Loop: Header=BB4_1940 Depth=4
	s_or_b32 exec_lo, exec_lo, s74
	s_and_b32 s16, s16, exec_lo
	s_or_saveexec_b32 s73, s73
	v_mov_b32_e32 v1, 0x7f800001
	s_xor_b32 exec_lo, exec_lo, s73
	s_cbranch_execnz .LBB4_3045
.LBB4_2022:                             ;   in Loop: Header=BB4_1940 Depth=4
	s_or_b32 exec_lo, exec_lo, s73
	s_and_saveexec_b32 s73, s16
	s_cbranch_execz .LBB4_2024
.LBB4_2023:                             ;   in Loop: Header=BB4_1940 Depth=4
	v_and_b32_sdwa v1, v102, v9 dst_sel:DWORD dst_unused:UNUSED_PAD src0_sel:DWORD src1_sel:BYTE_1
	v_and_b32_e32 v4, 3, v1
	v_bfe_u32 v12, v1, 2, 5
	v_ffbh_u32_e32 v5, v4
	v_cmp_eq_u32_e32 vcc_lo, 0, v12
	v_min_u32_e32 v5, 32, v5
	v_subrev_nc_u32_e32 v8, 29, v5
	v_sub_nc_u32_e32 v5, 30, v5
	v_lshlrev_b32_e32 v1, v8, v1
	v_lshlrev_b32_sdwa v8, v103, v9 dst_sel:DWORD dst_unused:UNUSED_PAD src0_sel:DWORD src1_sel:BYTE_1
	v_cndmask_b32_e32 v5, v12, v5, vcc_lo
	v_and_b32_e32 v1, 3, v1
	v_lshl_add_u32 v5, v5, 23, 0x37800000
	v_cndmask_b32_e32 v1, v4, v1, vcc_lo
	v_and_b32_e32 v4, 0x80000000, v8
	v_lshlrev_b32_e32 v1, 21, v1
	v_or3_b32 v1, v4, v5, v1
.LBB4_2024:                             ;   in Loop: Header=BB4_1940 Depth=4
	s_or_b32 exec_lo, exec_lo, s73
	v_mul_f32_e32 v1, s72, v1
	v_mov_b32_e32 v19, 0x8000
	s_mov_b32 s73, exec_lo
	v_and_b32_e32 v4, 0x7f800000, v1
	v_cmpx_ne_u32_e32 0x7f800000, v4
	s_cbranch_execz .LBB4_2032
; %bb.2025:                             ;   in Loop: Header=BB4_1940 Depth=4
	v_mov_b32_e32 v19, 0
	s_mov_b32 s74, exec_lo
	v_cmpx_ne_u32_e32 0, v1
	s_cbranch_execz .LBB4_2031
; %bb.2026:                             ;   in Loop: Header=BB4_1940 Depth=4
	v_bfe_u32 v4, v1, 23, 8
	v_and_b32_e32 v5, 0x7fffff, v1
	v_sub_nc_u32_e32 v8, 0x70, v4
	v_cmp_gt_u32_e32 vcc_lo, 0x71, v4
	v_or_b32_e32 v12, 0x800000, v5
	v_cndmask_b32_e32 v8, 0, v8, vcc_lo
	v_cmp_eq_u32_e32 vcc_lo, 0, v4
	v_add_nc_u32_e32 v4, 0xffffff91, v4
	v_cndmask_b32_e64 v8, v8, 0x6f, vcc_lo
	v_cndmask_b32_e32 v5, v12, v5, vcc_lo
	v_cndmask_b32_e64 v4, v4, 0xffffff92, vcc_lo
	v_lshl_add_u32 v12, 0x200000, v8, -1
	v_lshrrev_b32_e32 v13, v8, v5
	v_lshlrev_b32_e64 v15, v8, 0x100000
	v_add_nc_u32_e32 v8, v8, v4
	v_and_b32_e32 v5, v12, v5
	v_bfe_u32 v14, v13, 21, 1
	v_cmp_eq_u32_e64 s16, v5, v15
	v_add_nc_u32_e32 v12, -1, v14
	v_cndmask_b32_e64 v5, 0, v12, s16
	v_lshrrev_b32_e32 v12, 23, v13
	s_mov_b32 s16, exec_lo
	v_add_nc_u32_e32 v5, v5, v13
	v_xor_b32_e32 v12, 1, v12
	v_and_b32_e32 v4, 0x1fffff, v5
	v_add_nc_u32_e32 v5, v4, v13
                                        ; implicit-def: $vgpr4
	v_cmpx_ne_u32_e64 v8, v12
	s_xor_b32 s16, exec_lo, s16
; %bb.2027:                             ;   in Loop: Header=BB4_1940 Depth=4
	v_cmp_lt_u32_e32 vcc_lo, 0xffffff, v5
	v_sub_nc_u32_e32 v4, v8, v12
	v_cndmask_b32_e64 v8, 0, 1, vcc_lo
	v_add_co_ci_u32_e64 v4, null, 0, v4, vcc_lo
	v_lshrrev_b32_e32 v5, v8, v5
; %bb.2028:                             ;   in Loop: Header=BB4_1940 Depth=4
	s_andn2_saveexec_b32 s16, s16
; %bb.2029:                             ;   in Loop: Header=BB4_1940 Depth=4
	v_bfe_u32 v4, v5, 23, 1
; %bb.2030:                             ;   in Loop: Header=BB4_1940 Depth=4
	s_or_b32 exec_lo, exec_lo, s16
	v_lshrrev_b32_e32 v5, 21, v5
	v_min_i32_e32 v8, 31, v4
	v_cmp_gt_i32_e32 vcc_lo, 32, v4
	v_and_b32_sdwa v1, v1, v101 dst_sel:DWORD dst_unused:UNUSED_PAD src0_sel:BYTE_3 src1_sel:DWORD
	v_lshlrev_b32_e32 v8, 2, v8
	v_cndmask_b32_e32 v5, 3, v5, vcc_lo
	v_and_b32_e32 v8, 0xfc, v8
	v_and_b32_e32 v12, 3, v5
	v_or_b32_e32 v4, v4, v5
	v_or3_b32 v1, v1, v8, v12
	v_cmp_ne_u32_e32 vcc_lo, 0, v4
	v_lshlrev_b32_e32 v1, 8, v1
	v_cndmask_b32_e32 v19, 0, v1, vcc_lo
.LBB4_2031:                             ;   in Loop: Header=BB4_1940 Depth=4
	s_or_b32 exec_lo, exec_lo, s74
.LBB4_2032:                             ;   in Loop: Header=BB4_1940 Depth=4
	s_or_b32 exec_lo, exec_lo, s73
	v_and_b32_sdwa v4, v9, v112 dst_sel:DWORD dst_unused:UNUSED_PAD src0_sel:WORD_1 src1_sel:DWORD
	s_mov_b32 s16, 0
	s_mov_b32 s73, exec_lo
	v_cmpx_lt_i16_e32 0x7f, v4
	s_xor_b32 s73, exec_lo, s73
	s_cbranch_execz .LBB4_3046
; %bb.2033:                             ;   in Loop: Header=BB4_1940 Depth=4
	s_mov_b32 s16, -1
	s_mov_b32 s74, exec_lo
	v_cmpx_eq_u16_e32 0x80, v4
; %bb.2034:                             ;   in Loop: Header=BB4_1940 Depth=4
	s_xor_b32 s16, exec_lo, -1
; %bb.2035:                             ;   in Loop: Header=BB4_1940 Depth=4
	s_or_b32 exec_lo, exec_lo, s74
	s_and_b32 s16, s16, exec_lo
                                        ; implicit-def: $vgpr4
	s_or_saveexec_b32 s73, s73
	v_mov_b32_e32 v1, 0x7f800001
	s_xor_b32 exec_lo, exec_lo, s73
	s_cbranch_execnz .LBB4_3047
.LBB4_2036:                             ;   in Loop: Header=BB4_1940 Depth=4
	s_or_b32 exec_lo, exec_lo, s73
	s_and_saveexec_b32 s73, s16
	s_cbranch_execz .LBB4_2038
.LBB4_2037:                             ;   in Loop: Header=BB4_1940 Depth=4
	v_bfe_u32 v1, v9, 16, 2
	v_bfe_u32 v8, v9, 18, 5
	v_lshlrev_b32_e32 v12, 8, v9
	v_ffbh_u32_e32 v4, v1
	v_cmp_eq_u32_e32 vcc_lo, 0, v8
	v_min_u32_e32 v4, 32, v4
	v_subrev_nc_u32_e32 v5, 29, v4
	v_sub_nc_u32_e32 v4, 30, v4
	v_lshlrev_b32_sdwa v5, v5, v9 dst_sel:DWORD dst_unused:UNUSED_PAD src0_sel:DWORD src1_sel:WORD_1
	v_cndmask_b32_e32 v4, v8, v4, vcc_lo
	v_and_b32_e32 v5, 3, v5
	v_lshl_add_u32 v4, v4, 23, 0x37800000
	v_cndmask_b32_e32 v1, v1, v5, vcc_lo
	v_and_b32_e32 v5, 0x80000000, v12
	v_lshlrev_b32_e32 v1, 21, v1
	v_or3_b32 v1, v5, v4, v1
.LBB4_2038:                             ;   in Loop: Header=BB4_1940 Depth=4
	s_or_b32 exec_lo, exec_lo, s73
	v_mul_f32_e32 v1, s72, v1
	v_mov_b32_e32 v110, 0x80
	s_mov_b32 s73, exec_lo
	v_and_b32_e32 v4, 0x7f800000, v1
	v_cmpx_ne_u32_e32 0x7f800000, v4
	s_cbranch_execz .LBB4_2046
; %bb.2039:                             ;   in Loop: Header=BB4_1940 Depth=4
	v_mov_b32_e32 v110, 0
	s_mov_b32 s74, exec_lo
	v_cmpx_ne_u32_e32 0, v1
	s_cbranch_execz .LBB4_2045
; %bb.2040:                             ;   in Loop: Header=BB4_1940 Depth=4
	v_bfe_u32 v4, v1, 23, 8
	v_and_b32_e32 v5, 0x7fffff, v1
	v_sub_nc_u32_e32 v8, 0x70, v4
	v_cmp_gt_u32_e32 vcc_lo, 0x71, v4
	v_or_b32_e32 v12, 0x800000, v5
	v_cndmask_b32_e32 v8, 0, v8, vcc_lo
	v_cmp_eq_u32_e32 vcc_lo, 0, v4
	v_add_nc_u32_e32 v4, 0xffffff91, v4
	v_cndmask_b32_e64 v8, v8, 0x6f, vcc_lo
	v_cndmask_b32_e32 v5, v12, v5, vcc_lo
	v_cndmask_b32_e64 v4, v4, 0xffffff92, vcc_lo
	v_lshl_add_u32 v12, 0x200000, v8, -1
	v_lshrrev_b32_e32 v13, v8, v5
	v_lshlrev_b32_e64 v15, v8, 0x100000
	v_add_nc_u32_e32 v8, v8, v4
	v_and_b32_e32 v5, v12, v5
	v_bfe_u32 v14, v13, 21, 1
	v_cmp_eq_u32_e64 s16, v5, v15
	v_add_nc_u32_e32 v12, -1, v14
	v_cndmask_b32_e64 v5, 0, v12, s16
	v_lshrrev_b32_e32 v12, 23, v13
	s_mov_b32 s16, exec_lo
	v_add_nc_u32_e32 v5, v5, v13
	v_xor_b32_e32 v12, 1, v12
	v_and_b32_e32 v4, 0x1fffff, v5
	v_add_nc_u32_e32 v5, v4, v13
                                        ; implicit-def: $vgpr4
	v_cmpx_ne_u32_e64 v8, v12
	s_xor_b32 s16, exec_lo, s16
; %bb.2041:                             ;   in Loop: Header=BB4_1940 Depth=4
	v_cmp_lt_u32_e32 vcc_lo, 0xffffff, v5
	v_sub_nc_u32_e32 v4, v8, v12
	v_cndmask_b32_e64 v8, 0, 1, vcc_lo
	v_add_co_ci_u32_e64 v4, null, 0, v4, vcc_lo
	v_lshrrev_b32_e32 v5, v8, v5
; %bb.2042:                             ;   in Loop: Header=BB4_1940 Depth=4
	s_andn2_saveexec_b32 s16, s16
; %bb.2043:                             ;   in Loop: Header=BB4_1940 Depth=4
	v_bfe_u32 v4, v5, 23, 1
; %bb.2044:                             ;   in Loop: Header=BB4_1940 Depth=4
	s_or_b32 exec_lo, exec_lo, s16
	v_lshrrev_b32_e32 v5, 21, v5
	v_min_i32_e32 v8, 31, v4
	v_cmp_gt_i32_e32 vcc_lo, 32, v4
	v_and_b32_sdwa v1, v1, v101 dst_sel:DWORD dst_unused:UNUSED_PAD src0_sel:BYTE_3 src1_sel:DWORD
	v_lshlrev_b32_e32 v8, 2, v8
	v_cndmask_b32_e32 v5, 3, v5, vcc_lo
	v_and_b32_e32 v8, 0xfc, v8
	v_and_b32_e32 v12, 3, v5
	v_or_b32_e32 v4, v4, v5
	v_or3_b32 v1, v8, v1, v12
	v_cmp_ne_u32_e32 vcc_lo, 0, v4
	v_cndmask_b32_e32 v110, 0, v1, vcc_lo
.LBB4_2045:                             ;   in Loop: Header=BB4_1940 Depth=4
	s_or_b32 exec_lo, exec_lo, s74
.LBB4_2046:                             ;   in Loop: Header=BB4_1940 Depth=4
	s_or_b32 exec_lo, exec_lo, s73
	v_cmp_gt_i16_sdwa s73, v9, v100 src0_sel:BYTE_3 src1_sel:DWORD
	s_mov_b32 s16, 0
	s_and_saveexec_b32 s74, s73
	s_xor_b32 s73, exec_lo, s74
	s_cbranch_execz .LBB4_3048
; %bb.2047:                             ;   in Loop: Header=BB4_1940 Depth=4
	v_cmp_eq_u16_sdwa s75, v9, v101 src0_sel:BYTE_3 src1_sel:DWORD
	s_mov_b32 s16, -1
	s_and_saveexec_b32 s74, s75
; %bb.2048:                             ;   in Loop: Header=BB4_1940 Depth=4
	s_xor_b32 s16, exec_lo, -1
; %bb.2049:                             ;   in Loop: Header=BB4_1940 Depth=4
	s_or_b32 exec_lo, exec_lo, s74
	s_and_b32 s16, s16, exec_lo
	s_or_saveexec_b32 s73, s73
	v_mov_b32_e32 v1, 0x7f800001
	s_xor_b32 exec_lo, exec_lo, s73
	s_cbranch_execnz .LBB4_3049
.LBB4_2050:                             ;   in Loop: Header=BB4_1940 Depth=4
	s_or_b32 exec_lo, exec_lo, s73
	s_and_saveexec_b32 s73, s16
	s_cbranch_execz .LBB4_2052
.LBB4_2051:                             ;   in Loop: Header=BB4_1940 Depth=4
	v_bfe_u32 v1, v9, 24, 2
	v_bfe_u32 v8, v9, 26, 5
	v_ffbh_u32_e32 v4, v1
	v_cmp_eq_u32_e32 vcc_lo, 0, v8
	v_min_u32_e32 v4, 32, v4
	v_subrev_nc_u32_e32 v5, 29, v4
	v_sub_nc_u32_e32 v4, 30, v4
	v_lshlrev_b32_sdwa v5, v5, v9 dst_sel:DWORD dst_unused:UNUSED_PAD src0_sel:DWORD src1_sel:BYTE_3
	v_cndmask_b32_e32 v4, v8, v4, vcc_lo
	v_and_b32_e32 v5, 3, v5
	v_lshl_add_u32 v4, v4, 23, 0x37800000
	v_cndmask_b32_e32 v1, v1, v5, vcc_lo
	v_and_b32_e32 v5, 0x80000000, v9
	v_lshlrev_b32_e32 v1, 21, v1
	v_or3_b32 v1, v5, v4, v1
.LBB4_2052:                             ;   in Loop: Header=BB4_1940 Depth=4
	s_or_b32 exec_lo, exec_lo, s73
	v_mul_f32_e32 v1, s72, v1
	v_mov_b32_e32 v122, 0x8000
	s_mov_b32 s73, exec_lo
	v_and_b32_e32 v4, 0x7f800000, v1
	v_cmpx_ne_u32_e32 0x7f800000, v4
	s_cbranch_execz .LBB4_2060
; %bb.2053:                             ;   in Loop: Header=BB4_1940 Depth=4
	v_mov_b32_e32 v122, 0
	s_mov_b32 s74, exec_lo
	v_cmpx_ne_u32_e32 0, v1
	s_cbranch_execz .LBB4_2059
; %bb.2054:                             ;   in Loop: Header=BB4_1940 Depth=4
	v_bfe_u32 v4, v1, 23, 8
	v_and_b32_e32 v5, 0x7fffff, v1
	v_sub_nc_u32_e32 v8, 0x70, v4
	v_cmp_gt_u32_e32 vcc_lo, 0x71, v4
	v_or_b32_e32 v9, 0x800000, v5
	v_cndmask_b32_e32 v8, 0, v8, vcc_lo
	v_cmp_eq_u32_e32 vcc_lo, 0, v4
	v_add_nc_u32_e32 v4, 0xffffff91, v4
	v_cndmask_b32_e64 v8, v8, 0x6f, vcc_lo
	v_cndmask_b32_e32 v5, v9, v5, vcc_lo
	v_cndmask_b32_e64 v4, v4, 0xffffff92, vcc_lo
	v_lshl_add_u32 v9, 0x200000, v8, -1
	v_lshrrev_b32_e32 v12, v8, v5
	v_lshlrev_b32_e64 v14, v8, 0x100000
	v_add_nc_u32_e32 v8, v8, v4
	v_and_b32_e32 v5, v9, v5
	v_bfe_u32 v13, v12, 21, 1
	v_cmp_eq_u32_e64 s16, v5, v14
	v_add_nc_u32_e32 v9, -1, v13
	v_cndmask_b32_e64 v5, 0, v9, s16
	v_lshrrev_b32_e32 v9, 23, v12
	s_mov_b32 s16, exec_lo
	v_add_nc_u32_e32 v5, v5, v12
	v_xor_b32_e32 v9, 1, v9
	v_and_b32_e32 v4, 0x1fffff, v5
	v_add_nc_u32_e32 v5, v4, v12
                                        ; implicit-def: $vgpr4
	v_cmpx_ne_u32_e64 v8, v9
	s_xor_b32 s16, exec_lo, s16
; %bb.2055:                             ;   in Loop: Header=BB4_1940 Depth=4
	v_cmp_lt_u32_e32 vcc_lo, 0xffffff, v5
	v_sub_nc_u32_e32 v4, v8, v9
	v_cndmask_b32_e64 v8, 0, 1, vcc_lo
	v_add_co_ci_u32_e64 v4, null, 0, v4, vcc_lo
	v_lshrrev_b32_e32 v5, v8, v5
; %bb.2056:                             ;   in Loop: Header=BB4_1940 Depth=4
	s_andn2_saveexec_b32 s16, s16
; %bb.2057:                             ;   in Loop: Header=BB4_1940 Depth=4
	v_bfe_u32 v4, v5, 23, 1
; %bb.2058:                             ;   in Loop: Header=BB4_1940 Depth=4
	s_or_b32 exec_lo, exec_lo, s16
	v_lshrrev_b32_e32 v5, 21, v5
	v_min_i32_e32 v8, 31, v4
	v_cmp_gt_i32_e32 vcc_lo, 32, v4
	v_and_b32_sdwa v1, v1, v101 dst_sel:DWORD dst_unused:UNUSED_PAD src0_sel:BYTE_3 src1_sel:DWORD
	v_lshlrev_b32_e32 v8, 2, v8
	v_cndmask_b32_e32 v5, 3, v5, vcc_lo
	v_and_b32_e32 v8, 0xfc, v8
	v_and_b32_e32 v9, 3, v5
	v_or_b32_e32 v4, v4, v5
	v_or3_b32 v1, v1, v8, v9
	v_cmp_ne_u32_e32 vcc_lo, 0, v4
	v_lshlrev_b32_e32 v1, 8, v1
	v_cndmask_b32_e32 v122, 0, v1, vcc_lo
.LBB4_2059:                             ;   in Loop: Header=BB4_1940 Depth=4
	s_or_b32 exec_lo, exec_lo, s74
.LBB4_2060:                             ;   in Loop: Header=BB4_1940 Depth=4
	s_or_b32 exec_lo, exec_lo, s73
	v_cmp_gt_i16_sdwa s73, v10, v100 src0_sel:BYTE_0 src1_sel:DWORD
	s_mov_b32 s16, 0
	s_and_saveexec_b32 s74, s73
	s_xor_b32 s73, exec_lo, s74
	s_cbranch_execz .LBB4_3050
; %bb.2061:                             ;   in Loop: Header=BB4_1940 Depth=4
	v_cmp_eq_u16_sdwa s75, v10, v101 src0_sel:BYTE_0 src1_sel:DWORD
	s_mov_b32 s16, -1
	s_and_saveexec_b32 s74, s75
; %bb.2062:                             ;   in Loop: Header=BB4_1940 Depth=4
	s_xor_b32 s16, exec_lo, -1
; %bb.2063:                             ;   in Loop: Header=BB4_1940 Depth=4
	s_or_b32 exec_lo, exec_lo, s74
	s_and_b32 s16, s16, exec_lo
	s_or_saveexec_b32 s73, s73
	v_mov_b32_e32 v1, 0x7f800001
	s_xor_b32 exec_lo, exec_lo, s73
	s_cbranch_execnz .LBB4_3051
.LBB4_2064:                             ;   in Loop: Header=BB4_1940 Depth=4
	s_or_b32 exec_lo, exec_lo, s73
	s_and_saveexec_b32 s73, s16
	s_cbranch_execz .LBB4_2066
.LBB4_2065:                             ;   in Loop: Header=BB4_1940 Depth=4
	v_and_b32_e32 v1, 3, v10
	v_bfe_u32 v8, v10, 2, 5
	v_lshlrev_b32_e32 v9, 24, v10
	v_ffbh_u32_e32 v4, v1
	v_cmp_eq_u32_e32 vcc_lo, 0, v8
	v_min_u32_e32 v4, 32, v4
	v_subrev_nc_u32_e32 v5, 29, v4
	v_sub_nc_u32_e32 v4, 30, v4
	v_lshlrev_b32_e32 v5, v5, v10
	v_cndmask_b32_e32 v4, v8, v4, vcc_lo
	v_and_b32_e32 v5, 3, v5
	v_lshl_add_u32 v4, v4, 23, 0x37800000
	v_cndmask_b32_e32 v1, v1, v5, vcc_lo
	v_and_b32_e32 v5, 0x80000000, v9
	v_lshlrev_b32_e32 v1, 21, v1
	v_or3_b32 v1, v5, v4, v1
.LBB4_2066:                             ;   in Loop: Header=BB4_1940 Depth=4
	s_or_b32 exec_lo, exec_lo, s73
	v_mul_f32_e32 v1, s72, v1
	v_mov_b32_e32 v120, 0x80
	s_mov_b32 s73, exec_lo
	v_and_b32_e32 v4, 0x7f800000, v1
	v_cmpx_ne_u32_e32 0x7f800000, v4
	s_cbranch_execz .LBB4_2074
; %bb.2067:                             ;   in Loop: Header=BB4_1940 Depth=4
	v_mov_b32_e32 v120, 0
	s_mov_b32 s74, exec_lo
	v_cmpx_ne_u32_e32 0, v1
	s_cbranch_execz .LBB4_2073
; %bb.2068:                             ;   in Loop: Header=BB4_1940 Depth=4
	v_bfe_u32 v4, v1, 23, 8
	v_and_b32_e32 v5, 0x7fffff, v1
	v_sub_nc_u32_e32 v8, 0x70, v4
	v_cmp_gt_u32_e32 vcc_lo, 0x71, v4
	v_or_b32_e32 v9, 0x800000, v5
	v_cndmask_b32_e32 v8, 0, v8, vcc_lo
	v_cmp_eq_u32_e32 vcc_lo, 0, v4
	v_add_nc_u32_e32 v4, 0xffffff91, v4
	v_cndmask_b32_e64 v8, v8, 0x6f, vcc_lo
	v_cndmask_b32_e32 v5, v9, v5, vcc_lo
	v_cndmask_b32_e64 v4, v4, 0xffffff92, vcc_lo
	v_lshl_add_u32 v9, 0x200000, v8, -1
	v_lshrrev_b32_e32 v12, v8, v5
	v_lshlrev_b32_e64 v14, v8, 0x100000
	v_add_nc_u32_e32 v8, v8, v4
	v_and_b32_e32 v5, v9, v5
	v_bfe_u32 v13, v12, 21, 1
	v_cmp_eq_u32_e64 s16, v5, v14
	v_add_nc_u32_e32 v9, -1, v13
	v_cndmask_b32_e64 v5, 0, v9, s16
	v_lshrrev_b32_e32 v9, 23, v12
	s_mov_b32 s16, exec_lo
	v_add_nc_u32_e32 v5, v5, v12
	v_xor_b32_e32 v9, 1, v9
	v_and_b32_e32 v4, 0x1fffff, v5
	v_add_nc_u32_e32 v5, v4, v12
                                        ; implicit-def: $vgpr4
	v_cmpx_ne_u32_e64 v8, v9
	s_xor_b32 s16, exec_lo, s16
; %bb.2069:                             ;   in Loop: Header=BB4_1940 Depth=4
	v_cmp_lt_u32_e32 vcc_lo, 0xffffff, v5
	v_sub_nc_u32_e32 v4, v8, v9
	v_cndmask_b32_e64 v8, 0, 1, vcc_lo
	v_add_co_ci_u32_e64 v4, null, 0, v4, vcc_lo
	v_lshrrev_b32_e32 v5, v8, v5
; %bb.2070:                             ;   in Loop: Header=BB4_1940 Depth=4
	s_andn2_saveexec_b32 s16, s16
; %bb.2071:                             ;   in Loop: Header=BB4_1940 Depth=4
	v_bfe_u32 v4, v5, 23, 1
; %bb.2072:                             ;   in Loop: Header=BB4_1940 Depth=4
	s_or_b32 exec_lo, exec_lo, s16
	v_lshrrev_b32_e32 v5, 21, v5
	v_min_i32_e32 v8, 31, v4
	v_cmp_gt_i32_e32 vcc_lo, 32, v4
	v_and_b32_sdwa v1, v1, v101 dst_sel:DWORD dst_unused:UNUSED_PAD src0_sel:BYTE_3 src1_sel:DWORD
	v_lshlrev_b32_e32 v8, 2, v8
	v_cndmask_b32_e32 v5, 3, v5, vcc_lo
	v_and_b32_e32 v8, 0xfc, v8
	v_and_b32_e32 v9, 3, v5
	v_or_b32_e32 v4, v4, v5
	v_or3_b32 v1, v8, v1, v9
	v_cmp_ne_u32_e32 vcc_lo, 0, v4
	v_cndmask_b32_e32 v120, 0, v1, vcc_lo
.LBB4_2073:                             ;   in Loop: Header=BB4_1940 Depth=4
	s_or_b32 exec_lo, exec_lo, s74
.LBB4_2074:                             ;   in Loop: Header=BB4_1940 Depth=4
	s_or_b32 exec_lo, exec_lo, s73
	v_cmp_gt_i16_sdwa s73, v10, v100 src0_sel:BYTE_1 src1_sel:DWORD
	s_mov_b32 s16, 0
	s_and_saveexec_b32 s74, s73
	s_xor_b32 s73, exec_lo, s74
	s_cbranch_execz .LBB4_3052
; %bb.2075:                             ;   in Loop: Header=BB4_1940 Depth=4
	v_cmp_eq_u16_sdwa s75, v10, v101 src0_sel:BYTE_1 src1_sel:DWORD
	s_mov_b32 s16, -1
	s_and_saveexec_b32 s74, s75
; %bb.2076:                             ;   in Loop: Header=BB4_1940 Depth=4
	s_xor_b32 s16, exec_lo, -1
; %bb.2077:                             ;   in Loop: Header=BB4_1940 Depth=4
	s_or_b32 exec_lo, exec_lo, s74
	s_and_b32 s16, s16, exec_lo
	s_or_saveexec_b32 s73, s73
	v_mov_b32_e32 v1, 0x7f800001
	s_xor_b32 exec_lo, exec_lo, s73
	s_cbranch_execnz .LBB4_3053
.LBB4_2078:                             ;   in Loop: Header=BB4_1940 Depth=4
	s_or_b32 exec_lo, exec_lo, s73
	s_and_saveexec_b32 s73, s16
	s_cbranch_execz .LBB4_2080
.LBB4_2079:                             ;   in Loop: Header=BB4_1940 Depth=4
	v_and_b32_sdwa v1, v102, v10 dst_sel:DWORD dst_unused:UNUSED_PAD src0_sel:DWORD src1_sel:BYTE_1
	v_and_b32_e32 v4, 3, v1
	v_bfe_u32 v9, v1, 2, 5
	v_ffbh_u32_e32 v5, v4
	v_cmp_eq_u32_e32 vcc_lo, 0, v9
	v_min_u32_e32 v5, 32, v5
	v_subrev_nc_u32_e32 v8, 29, v5
	v_sub_nc_u32_e32 v5, 30, v5
	v_lshlrev_b32_e32 v1, v8, v1
	v_lshlrev_b32_sdwa v8, v103, v10 dst_sel:DWORD dst_unused:UNUSED_PAD src0_sel:DWORD src1_sel:BYTE_1
	v_cndmask_b32_e32 v5, v9, v5, vcc_lo
	v_and_b32_e32 v1, 3, v1
	v_lshl_add_u32 v5, v5, 23, 0x37800000
	v_cndmask_b32_e32 v1, v4, v1, vcc_lo
	v_and_b32_e32 v4, 0x80000000, v8
	v_lshlrev_b32_e32 v1, 21, v1
	v_or3_b32 v1, v4, v5, v1
.LBB4_2080:                             ;   in Loop: Header=BB4_1940 Depth=4
	s_or_b32 exec_lo, exec_lo, s73
	v_mul_f32_e32 v1, s72, v1
	v_mov_b32_e32 v121, 0x8000
	s_mov_b32 s73, exec_lo
	v_and_b32_e32 v4, 0x7f800000, v1
	v_cmpx_ne_u32_e32 0x7f800000, v4
	s_cbranch_execz .LBB4_2088
; %bb.2081:                             ;   in Loop: Header=BB4_1940 Depth=4
	v_mov_b32_e32 v121, 0
	s_mov_b32 s74, exec_lo
	v_cmpx_ne_u32_e32 0, v1
	s_cbranch_execz .LBB4_2087
; %bb.2082:                             ;   in Loop: Header=BB4_1940 Depth=4
	v_bfe_u32 v4, v1, 23, 8
	v_and_b32_e32 v5, 0x7fffff, v1
	v_sub_nc_u32_e32 v8, 0x70, v4
	v_cmp_gt_u32_e32 vcc_lo, 0x71, v4
	v_or_b32_e32 v9, 0x800000, v5
	v_cndmask_b32_e32 v8, 0, v8, vcc_lo
	v_cmp_eq_u32_e32 vcc_lo, 0, v4
	v_add_nc_u32_e32 v4, 0xffffff91, v4
	v_cndmask_b32_e64 v8, v8, 0x6f, vcc_lo
	v_cndmask_b32_e32 v5, v9, v5, vcc_lo
	v_cndmask_b32_e64 v4, v4, 0xffffff92, vcc_lo
	v_lshl_add_u32 v9, 0x200000, v8, -1
	v_lshrrev_b32_e32 v12, v8, v5
	v_lshlrev_b32_e64 v14, v8, 0x100000
	v_add_nc_u32_e32 v8, v8, v4
	v_and_b32_e32 v5, v9, v5
	v_bfe_u32 v13, v12, 21, 1
	v_cmp_eq_u32_e64 s16, v5, v14
	v_add_nc_u32_e32 v9, -1, v13
	v_cndmask_b32_e64 v5, 0, v9, s16
	v_lshrrev_b32_e32 v9, 23, v12
	s_mov_b32 s16, exec_lo
	v_add_nc_u32_e32 v5, v5, v12
	v_xor_b32_e32 v9, 1, v9
	v_and_b32_e32 v4, 0x1fffff, v5
	v_add_nc_u32_e32 v5, v4, v12
                                        ; implicit-def: $vgpr4
	v_cmpx_ne_u32_e64 v8, v9
	s_xor_b32 s16, exec_lo, s16
; %bb.2083:                             ;   in Loop: Header=BB4_1940 Depth=4
	v_cmp_lt_u32_e32 vcc_lo, 0xffffff, v5
	v_sub_nc_u32_e32 v4, v8, v9
	v_cndmask_b32_e64 v8, 0, 1, vcc_lo
	v_add_co_ci_u32_e64 v4, null, 0, v4, vcc_lo
	v_lshrrev_b32_e32 v5, v8, v5
; %bb.2084:                             ;   in Loop: Header=BB4_1940 Depth=4
	s_andn2_saveexec_b32 s16, s16
; %bb.2085:                             ;   in Loop: Header=BB4_1940 Depth=4
	v_bfe_u32 v4, v5, 23, 1
; %bb.2086:                             ;   in Loop: Header=BB4_1940 Depth=4
	s_or_b32 exec_lo, exec_lo, s16
	v_lshrrev_b32_e32 v5, 21, v5
	v_min_i32_e32 v8, 31, v4
	v_cmp_gt_i32_e32 vcc_lo, 32, v4
	v_and_b32_sdwa v1, v1, v101 dst_sel:DWORD dst_unused:UNUSED_PAD src0_sel:BYTE_3 src1_sel:DWORD
	v_lshlrev_b32_e32 v8, 2, v8
	v_cndmask_b32_e32 v5, 3, v5, vcc_lo
	v_and_b32_e32 v8, 0xfc, v8
	v_and_b32_e32 v9, 3, v5
	v_or_b32_e32 v4, v4, v5
	v_or3_b32 v1, v1, v8, v9
	v_cmp_ne_u32_e32 vcc_lo, 0, v4
	v_lshlrev_b32_e32 v1, 8, v1
	v_cndmask_b32_e32 v121, 0, v1, vcc_lo
.LBB4_2087:                             ;   in Loop: Header=BB4_1940 Depth=4
	s_or_b32 exec_lo, exec_lo, s74
.LBB4_2088:                             ;   in Loop: Header=BB4_1940 Depth=4
	s_or_b32 exec_lo, exec_lo, s73
	v_and_b32_sdwa v4, v10, v112 dst_sel:DWORD dst_unused:UNUSED_PAD src0_sel:WORD_1 src1_sel:DWORD
	s_mov_b32 s16, 0
	s_mov_b32 s73, exec_lo
	v_cmpx_lt_i16_e32 0x7f, v4
	s_xor_b32 s73, exec_lo, s73
	s_cbranch_execz .LBB4_3054
; %bb.2089:                             ;   in Loop: Header=BB4_1940 Depth=4
	s_mov_b32 s16, -1
	s_mov_b32 s74, exec_lo
	v_cmpx_eq_u16_e32 0x80, v4
; %bb.2090:                             ;   in Loop: Header=BB4_1940 Depth=4
	s_xor_b32 s16, exec_lo, -1
; %bb.2091:                             ;   in Loop: Header=BB4_1940 Depth=4
	s_or_b32 exec_lo, exec_lo, s74
	s_and_b32 s16, s16, exec_lo
                                        ; implicit-def: $vgpr4
	s_or_saveexec_b32 s73, s73
	v_mov_b32_e32 v1, 0x7f800001
	s_xor_b32 exec_lo, exec_lo, s73
	s_cbranch_execnz .LBB4_3055
.LBB4_2092:                             ;   in Loop: Header=BB4_1940 Depth=4
	s_or_b32 exec_lo, exec_lo, s73
	s_and_saveexec_b32 s73, s16
	s_cbranch_execz .LBB4_2094
.LBB4_2093:                             ;   in Loop: Header=BB4_1940 Depth=4
	v_bfe_u32 v1, v10, 16, 2
	v_bfe_u32 v8, v10, 18, 5
	v_lshlrev_b32_e32 v9, 8, v10
	v_ffbh_u32_e32 v4, v1
	v_cmp_eq_u32_e32 vcc_lo, 0, v8
	v_min_u32_e32 v4, 32, v4
	v_subrev_nc_u32_e32 v5, 29, v4
	v_sub_nc_u32_e32 v4, 30, v4
	v_lshlrev_b32_sdwa v5, v5, v10 dst_sel:DWORD dst_unused:UNUSED_PAD src0_sel:DWORD src1_sel:WORD_1
	v_cndmask_b32_e32 v4, v8, v4, vcc_lo
	v_and_b32_e32 v5, 3, v5
	v_lshl_add_u32 v4, v4, 23, 0x37800000
	v_cndmask_b32_e32 v1, v1, v5, vcc_lo
	v_and_b32_e32 v5, 0x80000000, v9
	v_lshlrev_b32_e32 v1, 21, v1
	v_or3_b32 v1, v5, v4, v1
.LBB4_2094:                             ;   in Loop: Header=BB4_1940 Depth=4
	s_or_b32 exec_lo, exec_lo, s73
	v_mul_f32_e32 v1, s72, v1
	v_mov_b32_e32 v109, 0x80
	s_mov_b32 s73, exec_lo
	v_and_b32_e32 v4, 0x7f800000, v1
	v_cmpx_ne_u32_e32 0x7f800000, v4
	s_cbranch_execz .LBB4_2102
; %bb.2095:                             ;   in Loop: Header=BB4_1940 Depth=4
	v_mov_b32_e32 v109, 0
	s_mov_b32 s74, exec_lo
	v_cmpx_ne_u32_e32 0, v1
	s_cbranch_execz .LBB4_2101
; %bb.2096:                             ;   in Loop: Header=BB4_1940 Depth=4
	v_bfe_u32 v4, v1, 23, 8
	v_and_b32_e32 v5, 0x7fffff, v1
	v_sub_nc_u32_e32 v8, 0x70, v4
	v_cmp_gt_u32_e32 vcc_lo, 0x71, v4
	v_or_b32_e32 v9, 0x800000, v5
	v_cndmask_b32_e32 v8, 0, v8, vcc_lo
	v_cmp_eq_u32_e32 vcc_lo, 0, v4
	v_add_nc_u32_e32 v4, 0xffffff91, v4
	v_cndmask_b32_e64 v8, v8, 0x6f, vcc_lo
	v_cndmask_b32_e32 v5, v9, v5, vcc_lo
	v_cndmask_b32_e64 v4, v4, 0xffffff92, vcc_lo
	v_lshl_add_u32 v9, 0x200000, v8, -1
	v_lshrrev_b32_e32 v12, v8, v5
	v_lshlrev_b32_e64 v14, v8, 0x100000
	v_add_nc_u32_e32 v8, v8, v4
	v_and_b32_e32 v5, v9, v5
	v_bfe_u32 v13, v12, 21, 1
	v_cmp_eq_u32_e64 s16, v5, v14
	v_add_nc_u32_e32 v9, -1, v13
	v_cndmask_b32_e64 v5, 0, v9, s16
	v_lshrrev_b32_e32 v9, 23, v12
	s_mov_b32 s16, exec_lo
	v_add_nc_u32_e32 v5, v5, v12
	v_xor_b32_e32 v9, 1, v9
	v_and_b32_e32 v4, 0x1fffff, v5
	v_add_nc_u32_e32 v5, v4, v12
                                        ; implicit-def: $vgpr4
	v_cmpx_ne_u32_e64 v8, v9
	s_xor_b32 s16, exec_lo, s16
; %bb.2097:                             ;   in Loop: Header=BB4_1940 Depth=4
	v_cmp_lt_u32_e32 vcc_lo, 0xffffff, v5
	v_sub_nc_u32_e32 v4, v8, v9
	v_cndmask_b32_e64 v8, 0, 1, vcc_lo
	v_add_co_ci_u32_e64 v4, null, 0, v4, vcc_lo
	v_lshrrev_b32_e32 v5, v8, v5
; %bb.2098:                             ;   in Loop: Header=BB4_1940 Depth=4
	s_andn2_saveexec_b32 s16, s16
; %bb.2099:                             ;   in Loop: Header=BB4_1940 Depth=4
	v_bfe_u32 v4, v5, 23, 1
; %bb.2100:                             ;   in Loop: Header=BB4_1940 Depth=4
	s_or_b32 exec_lo, exec_lo, s16
	v_lshrrev_b32_e32 v5, 21, v5
	v_min_i32_e32 v8, 31, v4
	v_cmp_gt_i32_e32 vcc_lo, 32, v4
	v_and_b32_sdwa v1, v1, v101 dst_sel:DWORD dst_unused:UNUSED_PAD src0_sel:BYTE_3 src1_sel:DWORD
	v_lshlrev_b32_e32 v8, 2, v8
	v_cndmask_b32_e32 v5, 3, v5, vcc_lo
	v_and_b32_e32 v8, 0xfc, v8
	v_and_b32_e32 v9, 3, v5
	v_or_b32_e32 v4, v4, v5
	v_or3_b32 v1, v8, v1, v9
	v_cmp_ne_u32_e32 vcc_lo, 0, v4
	v_cndmask_b32_e32 v109, 0, v1, vcc_lo
.LBB4_2101:                             ;   in Loop: Header=BB4_1940 Depth=4
	s_or_b32 exec_lo, exec_lo, s74
.LBB4_2102:                             ;   in Loop: Header=BB4_1940 Depth=4
	s_or_b32 exec_lo, exec_lo, s73
	v_cmp_gt_i16_sdwa s73, v10, v100 src0_sel:BYTE_3 src1_sel:DWORD
	s_mov_b32 s16, 0
	s_and_saveexec_b32 s74, s73
	s_xor_b32 s73, exec_lo, s74
	s_cbranch_execz .LBB4_3056
; %bb.2103:                             ;   in Loop: Header=BB4_1940 Depth=4
	v_cmp_eq_u16_sdwa s75, v10, v101 src0_sel:BYTE_3 src1_sel:DWORD
	s_mov_b32 s16, -1
	s_and_saveexec_b32 s74, s75
; %bb.2104:                             ;   in Loop: Header=BB4_1940 Depth=4
	s_xor_b32 s16, exec_lo, -1
; %bb.2105:                             ;   in Loop: Header=BB4_1940 Depth=4
	s_or_b32 exec_lo, exec_lo, s74
	s_and_b32 s16, s16, exec_lo
	s_or_saveexec_b32 s73, s73
	v_mov_b32_e32 v1, 0x7f800001
	s_xor_b32 exec_lo, exec_lo, s73
	s_cbranch_execnz .LBB4_3057
.LBB4_2106:                             ;   in Loop: Header=BB4_1940 Depth=4
	s_or_b32 exec_lo, exec_lo, s73
	s_and_saveexec_b32 s73, s16
	s_cbranch_execz .LBB4_2108
.LBB4_2107:                             ;   in Loop: Header=BB4_1940 Depth=4
	v_bfe_u32 v1, v10, 24, 2
	v_bfe_u32 v8, v10, 26, 5
	v_ffbh_u32_e32 v4, v1
	v_cmp_eq_u32_e32 vcc_lo, 0, v8
	v_min_u32_e32 v4, 32, v4
	v_subrev_nc_u32_e32 v5, 29, v4
	v_sub_nc_u32_e32 v4, 30, v4
	v_lshlrev_b32_sdwa v5, v5, v10 dst_sel:DWORD dst_unused:UNUSED_PAD src0_sel:DWORD src1_sel:BYTE_3
	v_cndmask_b32_e32 v4, v8, v4, vcc_lo
	v_and_b32_e32 v5, 3, v5
	v_lshl_add_u32 v4, v4, 23, 0x37800000
	v_cndmask_b32_e32 v1, v1, v5, vcc_lo
	v_and_b32_e32 v5, 0x80000000, v10
	v_lshlrev_b32_e32 v1, 21, v1
	v_or3_b32 v1, v5, v4, v1
.LBB4_2108:                             ;   in Loop: Header=BB4_1940 Depth=4
	s_or_b32 exec_lo, exec_lo, s73
	v_mul_f32_e32 v1, s72, v1
	v_mov_b32_e32 v111, 0x8000
	s_mov_b32 s73, exec_lo
	v_and_b32_e32 v4, 0x7f800000, v1
	v_cmpx_ne_u32_e32 0x7f800000, v4
	s_cbranch_execz .LBB4_2116
; %bb.2109:                             ;   in Loop: Header=BB4_1940 Depth=4
	v_mov_b32_e32 v111, 0
	s_mov_b32 s74, exec_lo
	v_cmpx_ne_u32_e32 0, v1
	s_cbranch_execz .LBB4_2115
; %bb.2110:                             ;   in Loop: Header=BB4_1940 Depth=4
	v_bfe_u32 v4, v1, 23, 8
	v_and_b32_e32 v5, 0x7fffff, v1
	v_sub_nc_u32_e32 v8, 0x70, v4
	v_cmp_gt_u32_e32 vcc_lo, 0x71, v4
	v_or_b32_e32 v9, 0x800000, v5
	v_cndmask_b32_e32 v8, 0, v8, vcc_lo
	v_cmp_eq_u32_e32 vcc_lo, 0, v4
	v_add_nc_u32_e32 v4, 0xffffff91, v4
	v_cndmask_b32_e64 v8, v8, 0x6f, vcc_lo
	v_cndmask_b32_e32 v5, v9, v5, vcc_lo
	v_cndmask_b32_e64 v4, v4, 0xffffff92, vcc_lo
	v_lshl_add_u32 v9, 0x200000, v8, -1
	v_lshrrev_b32_e32 v10, v8, v5
	v_lshlrev_b32_e64 v13, v8, 0x100000
	v_add_nc_u32_e32 v8, v8, v4
	v_and_b32_e32 v5, v9, v5
	v_bfe_u32 v12, v10, 21, 1
	v_cmp_eq_u32_e64 s16, v5, v13
	v_add_nc_u32_e32 v9, -1, v12
	v_cndmask_b32_e64 v5, 0, v9, s16
	v_lshrrev_b32_e32 v9, 23, v10
	s_mov_b32 s16, exec_lo
	v_add_nc_u32_e32 v5, v5, v10
	v_xor_b32_e32 v9, 1, v9
	v_and_b32_e32 v4, 0x1fffff, v5
	v_add_nc_u32_e32 v5, v4, v10
                                        ; implicit-def: $vgpr4
	v_cmpx_ne_u32_e64 v8, v9
	s_xor_b32 s16, exec_lo, s16
; %bb.2111:                             ;   in Loop: Header=BB4_1940 Depth=4
	v_cmp_lt_u32_e32 vcc_lo, 0xffffff, v5
	v_sub_nc_u32_e32 v4, v8, v9
	v_cndmask_b32_e64 v8, 0, 1, vcc_lo
	v_add_co_ci_u32_e64 v4, null, 0, v4, vcc_lo
	v_lshrrev_b32_e32 v5, v8, v5
; %bb.2112:                             ;   in Loop: Header=BB4_1940 Depth=4
	s_andn2_saveexec_b32 s16, s16
; %bb.2113:                             ;   in Loop: Header=BB4_1940 Depth=4
	v_bfe_u32 v4, v5, 23, 1
; %bb.2114:                             ;   in Loop: Header=BB4_1940 Depth=4
	s_or_b32 exec_lo, exec_lo, s16
	v_lshrrev_b32_e32 v5, 21, v5
	v_min_i32_e32 v8, 31, v4
	v_cmp_gt_i32_e32 vcc_lo, 32, v4
	v_and_b32_sdwa v1, v1, v101 dst_sel:DWORD dst_unused:UNUSED_PAD src0_sel:BYTE_3 src1_sel:DWORD
	v_lshlrev_b32_e32 v8, 2, v8
	v_cndmask_b32_e32 v5, 3, v5, vcc_lo
	v_and_b32_e32 v8, 0xfc, v8
	v_and_b32_e32 v9, 3, v5
	v_or_b32_e32 v4, v4, v5
	v_or3_b32 v1, v1, v8, v9
	v_cmp_ne_u32_e32 vcc_lo, 0, v4
	v_lshlrev_b32_e32 v1, 8, v1
	v_cndmask_b32_e32 v111, 0, v1, vcc_lo
.LBB4_2115:                             ;   in Loop: Header=BB4_1940 Depth=4
	s_or_b32 exec_lo, exec_lo, s74
.LBB4_2116:                             ;   in Loop: Header=BB4_1940 Depth=4
	s_or_b32 exec_lo, exec_lo, s73
	v_cmp_gt_i16_sdwa s73, v11, v100 src0_sel:BYTE_0 src1_sel:DWORD
	s_mov_b32 s16, 0
	s_and_saveexec_b32 s74, s73
	s_xor_b32 s73, exec_lo, s74
	s_cbranch_execz .LBB4_3058
; %bb.2117:                             ;   in Loop: Header=BB4_1940 Depth=4
	v_cmp_eq_u16_sdwa s75, v11, v101 src0_sel:BYTE_0 src1_sel:DWORD
	s_mov_b32 s16, -1
	s_and_saveexec_b32 s74, s75
; %bb.2118:                             ;   in Loop: Header=BB4_1940 Depth=4
	s_xor_b32 s16, exec_lo, -1
; %bb.2119:                             ;   in Loop: Header=BB4_1940 Depth=4
	s_or_b32 exec_lo, exec_lo, s74
	s_and_b32 s16, s16, exec_lo
	s_or_saveexec_b32 s73, s73
	v_mov_b32_e32 v1, 0x7f800001
	s_xor_b32 exec_lo, exec_lo, s73
	s_cbranch_execnz .LBB4_3059
.LBB4_2120:                             ;   in Loop: Header=BB4_1940 Depth=4
	s_or_b32 exec_lo, exec_lo, s73
	s_and_saveexec_b32 s73, s16
	s_cbranch_execz .LBB4_2122
.LBB4_2121:                             ;   in Loop: Header=BB4_1940 Depth=4
	v_and_b32_e32 v1, 3, v11
	v_bfe_u32 v8, v11, 2, 5
	v_lshlrev_b32_e32 v9, 24, v11
	v_ffbh_u32_e32 v4, v1
	v_cmp_eq_u32_e32 vcc_lo, 0, v8
	v_min_u32_e32 v4, 32, v4
	v_subrev_nc_u32_e32 v5, 29, v4
	v_sub_nc_u32_e32 v4, 30, v4
	v_lshlrev_b32_e32 v5, v5, v11
	v_cndmask_b32_e32 v4, v8, v4, vcc_lo
	v_and_b32_e32 v5, 3, v5
	v_lshl_add_u32 v4, v4, 23, 0x37800000
	v_cndmask_b32_e32 v1, v1, v5, vcc_lo
	v_and_b32_e32 v5, 0x80000000, v9
	v_lshlrev_b32_e32 v1, 21, v1
	v_or3_b32 v1, v5, v4, v1
.LBB4_2122:                             ;   in Loop: Header=BB4_1940 Depth=4
	s_or_b32 exec_lo, exec_lo, s73
	v_mul_f32_e32 v1, s72, v1
	v_mov_b32_e32 v106, 0x80
	s_mov_b32 s73, exec_lo
	v_and_b32_e32 v4, 0x7f800000, v1
	v_cmpx_ne_u32_e32 0x7f800000, v4
	s_cbranch_execz .LBB4_2130
; %bb.2123:                             ;   in Loop: Header=BB4_1940 Depth=4
	v_mov_b32_e32 v106, 0
	s_mov_b32 s74, exec_lo
	v_cmpx_ne_u32_e32 0, v1
	s_cbranch_execz .LBB4_2129
; %bb.2124:                             ;   in Loop: Header=BB4_1940 Depth=4
	v_bfe_u32 v4, v1, 23, 8
	v_and_b32_e32 v5, 0x7fffff, v1
	v_sub_nc_u32_e32 v8, 0x70, v4
	v_cmp_gt_u32_e32 vcc_lo, 0x71, v4
	v_or_b32_e32 v9, 0x800000, v5
	v_cndmask_b32_e32 v8, 0, v8, vcc_lo
	v_cmp_eq_u32_e32 vcc_lo, 0, v4
	v_add_nc_u32_e32 v4, 0xffffff91, v4
	v_cndmask_b32_e64 v8, v8, 0x6f, vcc_lo
	v_cndmask_b32_e32 v5, v9, v5, vcc_lo
	v_cndmask_b32_e64 v4, v4, 0xffffff92, vcc_lo
	v_lshl_add_u32 v9, 0x200000, v8, -1
	v_lshrrev_b32_e32 v10, v8, v5
	v_lshlrev_b32_e64 v13, v8, 0x100000
	v_add_nc_u32_e32 v8, v8, v4
	v_and_b32_e32 v5, v9, v5
	v_bfe_u32 v12, v10, 21, 1
	v_cmp_eq_u32_e64 s16, v5, v13
	v_add_nc_u32_e32 v9, -1, v12
	v_cndmask_b32_e64 v5, 0, v9, s16
	v_lshrrev_b32_e32 v9, 23, v10
	s_mov_b32 s16, exec_lo
	v_add_nc_u32_e32 v5, v5, v10
	v_xor_b32_e32 v9, 1, v9
	v_and_b32_e32 v4, 0x1fffff, v5
	v_add_nc_u32_e32 v5, v4, v10
                                        ; implicit-def: $vgpr4
	v_cmpx_ne_u32_e64 v8, v9
	s_xor_b32 s16, exec_lo, s16
; %bb.2125:                             ;   in Loop: Header=BB4_1940 Depth=4
	v_cmp_lt_u32_e32 vcc_lo, 0xffffff, v5
	v_sub_nc_u32_e32 v4, v8, v9
	v_cndmask_b32_e64 v8, 0, 1, vcc_lo
	v_add_co_ci_u32_e64 v4, null, 0, v4, vcc_lo
	v_lshrrev_b32_e32 v5, v8, v5
; %bb.2126:                             ;   in Loop: Header=BB4_1940 Depth=4
	s_andn2_saveexec_b32 s16, s16
; %bb.2127:                             ;   in Loop: Header=BB4_1940 Depth=4
	v_bfe_u32 v4, v5, 23, 1
; %bb.2128:                             ;   in Loop: Header=BB4_1940 Depth=4
	s_or_b32 exec_lo, exec_lo, s16
	v_lshrrev_b32_e32 v5, 21, v5
	v_min_i32_e32 v8, 31, v4
	v_cmp_gt_i32_e32 vcc_lo, 32, v4
	v_and_b32_sdwa v1, v1, v101 dst_sel:DWORD dst_unused:UNUSED_PAD src0_sel:BYTE_3 src1_sel:DWORD
	v_lshlrev_b32_e32 v8, 2, v8
	v_cndmask_b32_e32 v5, 3, v5, vcc_lo
	v_and_b32_e32 v8, 0xfc, v8
	v_and_b32_e32 v9, 3, v5
	v_or_b32_e32 v4, v4, v5
	v_or3_b32 v1, v8, v1, v9
	v_cmp_ne_u32_e32 vcc_lo, 0, v4
	v_cndmask_b32_e32 v106, 0, v1, vcc_lo
.LBB4_2129:                             ;   in Loop: Header=BB4_1940 Depth=4
	s_or_b32 exec_lo, exec_lo, s74
.LBB4_2130:                             ;   in Loop: Header=BB4_1940 Depth=4
	s_or_b32 exec_lo, exec_lo, s73
	v_cmp_gt_i16_sdwa s73, v11, v100 src0_sel:BYTE_1 src1_sel:DWORD
	s_mov_b32 s16, 0
	s_and_saveexec_b32 s74, s73
	s_xor_b32 s73, exec_lo, s74
	s_cbranch_execz .LBB4_3060
; %bb.2131:                             ;   in Loop: Header=BB4_1940 Depth=4
	v_cmp_eq_u16_sdwa s75, v11, v101 src0_sel:BYTE_1 src1_sel:DWORD
	s_mov_b32 s16, -1
	s_and_saveexec_b32 s74, s75
; %bb.2132:                             ;   in Loop: Header=BB4_1940 Depth=4
	s_xor_b32 s16, exec_lo, -1
; %bb.2133:                             ;   in Loop: Header=BB4_1940 Depth=4
	s_or_b32 exec_lo, exec_lo, s74
	s_and_b32 s16, s16, exec_lo
	s_or_saveexec_b32 s73, s73
	v_mov_b32_e32 v1, 0x7f800001
	s_xor_b32 exec_lo, exec_lo, s73
	s_cbranch_execnz .LBB4_3061
.LBB4_2134:                             ;   in Loop: Header=BB4_1940 Depth=4
	s_or_b32 exec_lo, exec_lo, s73
	s_and_saveexec_b32 s73, s16
	s_cbranch_execz .LBB4_2136
.LBB4_2135:                             ;   in Loop: Header=BB4_1940 Depth=4
	v_and_b32_sdwa v1, v102, v11 dst_sel:DWORD dst_unused:UNUSED_PAD src0_sel:DWORD src1_sel:BYTE_1
	v_and_b32_e32 v4, 3, v1
	v_bfe_u32 v9, v1, 2, 5
	v_ffbh_u32_e32 v5, v4
	v_cmp_eq_u32_e32 vcc_lo, 0, v9
	v_min_u32_e32 v5, 32, v5
	v_subrev_nc_u32_e32 v8, 29, v5
	v_sub_nc_u32_e32 v5, 30, v5
	v_lshlrev_b32_e32 v1, v8, v1
	v_lshlrev_b32_sdwa v8, v103, v11 dst_sel:DWORD dst_unused:UNUSED_PAD src0_sel:DWORD src1_sel:BYTE_1
	v_cndmask_b32_e32 v5, v9, v5, vcc_lo
	v_and_b32_e32 v1, 3, v1
	v_lshl_add_u32 v5, v5, 23, 0x37800000
	v_cndmask_b32_e32 v1, v4, v1, vcc_lo
	v_and_b32_e32 v4, 0x80000000, v8
	v_lshlrev_b32_e32 v1, 21, v1
	v_or3_b32 v1, v4, v5, v1
.LBB4_2136:                             ;   in Loop: Header=BB4_1940 Depth=4
	s_or_b32 exec_lo, exec_lo, s73
	v_mul_f32_e32 v1, s72, v1
	v_mov_b32_e32 v108, 0x8000
	s_mov_b32 s73, exec_lo
	v_and_b32_e32 v4, 0x7f800000, v1
	v_cmpx_ne_u32_e32 0x7f800000, v4
	s_cbranch_execz .LBB4_2144
; %bb.2137:                             ;   in Loop: Header=BB4_1940 Depth=4
	v_mov_b32_e32 v108, 0
	s_mov_b32 s74, exec_lo
	v_cmpx_ne_u32_e32 0, v1
	s_cbranch_execz .LBB4_2143
; %bb.2138:                             ;   in Loop: Header=BB4_1940 Depth=4
	v_bfe_u32 v4, v1, 23, 8
	v_and_b32_e32 v5, 0x7fffff, v1
	v_sub_nc_u32_e32 v8, 0x70, v4
	v_cmp_gt_u32_e32 vcc_lo, 0x71, v4
	v_or_b32_e32 v9, 0x800000, v5
	v_cndmask_b32_e32 v8, 0, v8, vcc_lo
	v_cmp_eq_u32_e32 vcc_lo, 0, v4
	v_add_nc_u32_e32 v4, 0xffffff91, v4
	v_cndmask_b32_e64 v8, v8, 0x6f, vcc_lo
	v_cndmask_b32_e32 v5, v9, v5, vcc_lo
	v_cndmask_b32_e64 v4, v4, 0xffffff92, vcc_lo
	v_lshl_add_u32 v9, 0x200000, v8, -1
	v_lshrrev_b32_e32 v10, v8, v5
	v_lshlrev_b32_e64 v13, v8, 0x100000
	v_add_nc_u32_e32 v8, v8, v4
	v_and_b32_e32 v5, v9, v5
	v_bfe_u32 v12, v10, 21, 1
	v_cmp_eq_u32_e64 s16, v5, v13
	v_add_nc_u32_e32 v9, -1, v12
	v_cndmask_b32_e64 v5, 0, v9, s16
	v_lshrrev_b32_e32 v9, 23, v10
	s_mov_b32 s16, exec_lo
	v_add_nc_u32_e32 v5, v5, v10
	v_xor_b32_e32 v9, 1, v9
	v_and_b32_e32 v4, 0x1fffff, v5
	v_add_nc_u32_e32 v5, v4, v10
                                        ; implicit-def: $vgpr4
	v_cmpx_ne_u32_e64 v8, v9
	s_xor_b32 s16, exec_lo, s16
; %bb.2139:                             ;   in Loop: Header=BB4_1940 Depth=4
	v_cmp_lt_u32_e32 vcc_lo, 0xffffff, v5
	v_sub_nc_u32_e32 v4, v8, v9
	v_cndmask_b32_e64 v8, 0, 1, vcc_lo
	v_add_co_ci_u32_e64 v4, null, 0, v4, vcc_lo
	v_lshrrev_b32_e32 v5, v8, v5
; %bb.2140:                             ;   in Loop: Header=BB4_1940 Depth=4
	s_andn2_saveexec_b32 s16, s16
; %bb.2141:                             ;   in Loop: Header=BB4_1940 Depth=4
	v_bfe_u32 v4, v5, 23, 1
; %bb.2142:                             ;   in Loop: Header=BB4_1940 Depth=4
	s_or_b32 exec_lo, exec_lo, s16
	v_lshrrev_b32_e32 v5, 21, v5
	v_min_i32_e32 v8, 31, v4
	v_cmp_gt_i32_e32 vcc_lo, 32, v4
	v_and_b32_sdwa v1, v1, v101 dst_sel:DWORD dst_unused:UNUSED_PAD src0_sel:BYTE_3 src1_sel:DWORD
	v_lshlrev_b32_e32 v8, 2, v8
	v_cndmask_b32_e32 v5, 3, v5, vcc_lo
	v_and_b32_e32 v8, 0xfc, v8
	v_and_b32_e32 v9, 3, v5
	v_or_b32_e32 v4, v4, v5
	v_or3_b32 v1, v1, v8, v9
	v_cmp_ne_u32_e32 vcc_lo, 0, v4
	v_lshlrev_b32_e32 v1, 8, v1
	v_cndmask_b32_e32 v108, 0, v1, vcc_lo
.LBB4_2143:                             ;   in Loop: Header=BB4_1940 Depth=4
	s_or_b32 exec_lo, exec_lo, s74
.LBB4_2144:                             ;   in Loop: Header=BB4_1940 Depth=4
	s_or_b32 exec_lo, exec_lo, s73
	v_and_b32_sdwa v4, v11, v112 dst_sel:DWORD dst_unused:UNUSED_PAD src0_sel:WORD_1 src1_sel:DWORD
	s_mov_b32 s16, 0
	s_mov_b32 s73, exec_lo
	v_cmpx_lt_i16_e32 0x7f, v4
	s_xor_b32 s73, exec_lo, s73
	s_cbranch_execz .LBB4_3062
; %bb.2145:                             ;   in Loop: Header=BB4_1940 Depth=4
	s_mov_b32 s16, -1
	s_mov_b32 s74, exec_lo
	v_cmpx_eq_u16_e32 0x80, v4
; %bb.2146:                             ;   in Loop: Header=BB4_1940 Depth=4
	s_xor_b32 s16, exec_lo, -1
; %bb.2147:                             ;   in Loop: Header=BB4_1940 Depth=4
	s_or_b32 exec_lo, exec_lo, s74
	s_and_b32 s16, s16, exec_lo
                                        ; implicit-def: $vgpr4
	s_or_saveexec_b32 s73, s73
	v_mov_b32_e32 v1, 0x7f800001
	s_xor_b32 exec_lo, exec_lo, s73
	s_cbranch_execnz .LBB4_3063
.LBB4_2148:                             ;   in Loop: Header=BB4_1940 Depth=4
	s_or_b32 exec_lo, exec_lo, s73
	s_and_saveexec_b32 s73, s16
	s_cbranch_execz .LBB4_2150
.LBB4_2149:                             ;   in Loop: Header=BB4_1940 Depth=4
	v_bfe_u32 v1, v11, 16, 2
	v_bfe_u32 v8, v11, 18, 5
	v_lshlrev_b32_e32 v9, 8, v11
	v_ffbh_u32_e32 v4, v1
	v_cmp_eq_u32_e32 vcc_lo, 0, v8
	v_min_u32_e32 v4, 32, v4
	v_subrev_nc_u32_e32 v5, 29, v4
	v_sub_nc_u32_e32 v4, 30, v4
	v_lshlrev_b32_sdwa v5, v5, v11 dst_sel:DWORD dst_unused:UNUSED_PAD src0_sel:DWORD src1_sel:WORD_1
	v_cndmask_b32_e32 v4, v8, v4, vcc_lo
	v_and_b32_e32 v5, 3, v5
	v_lshl_add_u32 v4, v4, 23, 0x37800000
	v_cndmask_b32_e32 v1, v1, v5, vcc_lo
	v_and_b32_e32 v5, 0x80000000, v9
	v_lshlrev_b32_e32 v1, 21, v1
	v_or3_b32 v1, v5, v4, v1
.LBB4_2150:                             ;   in Loop: Header=BB4_1940 Depth=4
	s_or_b32 exec_lo, exec_lo, s73
	v_mul_f32_e32 v1, s72, v1
	v_mov_b32_e32 v104, 0x80
	s_mov_b32 s73, exec_lo
	v_and_b32_e32 v4, 0x7f800000, v1
	v_cmpx_ne_u32_e32 0x7f800000, v4
	s_cbranch_execz .LBB4_2158
; %bb.2151:                             ;   in Loop: Header=BB4_1940 Depth=4
	v_mov_b32_e32 v104, 0
	s_mov_b32 s74, exec_lo
	v_cmpx_ne_u32_e32 0, v1
	s_cbranch_execz .LBB4_2157
; %bb.2152:                             ;   in Loop: Header=BB4_1940 Depth=4
	v_bfe_u32 v4, v1, 23, 8
	v_and_b32_e32 v5, 0x7fffff, v1
	v_sub_nc_u32_e32 v8, 0x70, v4
	v_cmp_gt_u32_e32 vcc_lo, 0x71, v4
	v_or_b32_e32 v9, 0x800000, v5
	v_cndmask_b32_e32 v8, 0, v8, vcc_lo
	v_cmp_eq_u32_e32 vcc_lo, 0, v4
	v_add_nc_u32_e32 v4, 0xffffff91, v4
	v_cndmask_b32_e64 v8, v8, 0x6f, vcc_lo
	v_cndmask_b32_e32 v5, v9, v5, vcc_lo
	v_cndmask_b32_e64 v4, v4, 0xffffff92, vcc_lo
	v_lshl_add_u32 v9, 0x200000, v8, -1
	v_lshrrev_b32_e32 v10, v8, v5
	v_lshlrev_b32_e64 v13, v8, 0x100000
	v_add_nc_u32_e32 v8, v8, v4
	v_and_b32_e32 v5, v9, v5
	v_bfe_u32 v12, v10, 21, 1
	v_cmp_eq_u32_e64 s16, v5, v13
	v_add_nc_u32_e32 v9, -1, v12
	v_cndmask_b32_e64 v5, 0, v9, s16
	v_lshrrev_b32_e32 v9, 23, v10
	s_mov_b32 s16, exec_lo
	v_add_nc_u32_e32 v5, v5, v10
	v_xor_b32_e32 v9, 1, v9
	v_and_b32_e32 v4, 0x1fffff, v5
	v_add_nc_u32_e32 v5, v4, v10
                                        ; implicit-def: $vgpr4
	v_cmpx_ne_u32_e64 v8, v9
	s_xor_b32 s16, exec_lo, s16
; %bb.2153:                             ;   in Loop: Header=BB4_1940 Depth=4
	v_cmp_lt_u32_e32 vcc_lo, 0xffffff, v5
	v_sub_nc_u32_e32 v4, v8, v9
	v_cndmask_b32_e64 v8, 0, 1, vcc_lo
	v_add_co_ci_u32_e64 v4, null, 0, v4, vcc_lo
	v_lshrrev_b32_e32 v5, v8, v5
; %bb.2154:                             ;   in Loop: Header=BB4_1940 Depth=4
	s_andn2_saveexec_b32 s16, s16
; %bb.2155:                             ;   in Loop: Header=BB4_1940 Depth=4
	v_bfe_u32 v4, v5, 23, 1
; %bb.2156:                             ;   in Loop: Header=BB4_1940 Depth=4
	s_or_b32 exec_lo, exec_lo, s16
	v_lshrrev_b32_e32 v5, 21, v5
	v_min_i32_e32 v8, 31, v4
	v_cmp_gt_i32_e32 vcc_lo, 32, v4
	v_and_b32_sdwa v1, v1, v101 dst_sel:DWORD dst_unused:UNUSED_PAD src0_sel:BYTE_3 src1_sel:DWORD
	v_lshlrev_b32_e32 v8, 2, v8
	v_cndmask_b32_e32 v5, 3, v5, vcc_lo
	v_and_b32_e32 v8, 0xfc, v8
	v_and_b32_e32 v9, 3, v5
	v_or_b32_e32 v4, v4, v5
	v_or3_b32 v1, v8, v1, v9
	v_cmp_ne_u32_e32 vcc_lo, 0, v4
	v_cndmask_b32_e32 v104, 0, v1, vcc_lo
.LBB4_2157:                             ;   in Loop: Header=BB4_1940 Depth=4
	s_or_b32 exec_lo, exec_lo, s74
.LBB4_2158:                             ;   in Loop: Header=BB4_1940 Depth=4
	s_or_b32 exec_lo, exec_lo, s73
	v_cmp_gt_i16_sdwa s73, v11, v100 src0_sel:BYTE_3 src1_sel:DWORD
	s_mov_b32 s16, 0
	s_and_saveexec_b32 s74, s73
	s_xor_b32 s73, exec_lo, s74
	s_cbranch_execz .LBB4_3064
; %bb.2159:                             ;   in Loop: Header=BB4_1940 Depth=4
	v_cmp_eq_u16_sdwa s75, v11, v101 src0_sel:BYTE_3 src1_sel:DWORD
	s_mov_b32 s16, -1
	s_and_saveexec_b32 s74, s75
; %bb.2160:                             ;   in Loop: Header=BB4_1940 Depth=4
	s_xor_b32 s16, exec_lo, -1
; %bb.2161:                             ;   in Loop: Header=BB4_1940 Depth=4
	s_or_b32 exec_lo, exec_lo, s74
	s_and_b32 s16, s16, exec_lo
	s_or_saveexec_b32 s73, s73
	v_mov_b32_e32 v1, 0x7f800001
	s_xor_b32 exec_lo, exec_lo, s73
	s_cbranch_execnz .LBB4_3065
.LBB4_2162:                             ;   in Loop: Header=BB4_1940 Depth=4
	s_or_b32 exec_lo, exec_lo, s73
	s_and_saveexec_b32 s73, s16
	s_cbranch_execz .LBB4_2164
.LBB4_2163:                             ;   in Loop: Header=BB4_1940 Depth=4
	v_bfe_u32 v1, v11, 24, 2
	v_bfe_u32 v8, v11, 26, 5
	v_ffbh_u32_e32 v4, v1
	v_cmp_eq_u32_e32 vcc_lo, 0, v8
	v_min_u32_e32 v4, 32, v4
	v_subrev_nc_u32_e32 v5, 29, v4
	v_sub_nc_u32_e32 v4, 30, v4
	v_lshlrev_b32_sdwa v5, v5, v11 dst_sel:DWORD dst_unused:UNUSED_PAD src0_sel:DWORD src1_sel:BYTE_3
	v_cndmask_b32_e32 v4, v8, v4, vcc_lo
	v_and_b32_e32 v5, 3, v5
	v_lshl_add_u32 v4, v4, 23, 0x37800000
	v_cndmask_b32_e32 v1, v1, v5, vcc_lo
	v_and_b32_e32 v5, 0x80000000, v11
	v_lshlrev_b32_e32 v1, 21, v1
	v_or3_b32 v1, v5, v4, v1
.LBB4_2164:                             ;   in Loop: Header=BB4_1940 Depth=4
	s_or_b32 exec_lo, exec_lo, s73
	v_mul_f32_e32 v1, s72, v1
	v_mov_b32_e32 v105, 0x8000
	s_mov_b32 s73, exec_lo
	v_and_b32_e32 v4, 0x7f800000, v1
	v_cmpx_ne_u32_e32 0x7f800000, v4
	s_cbranch_execz .LBB4_2172
; %bb.2165:                             ;   in Loop: Header=BB4_1940 Depth=4
	v_mov_b32_e32 v105, 0
	s_mov_b32 s74, exec_lo
	v_cmpx_ne_u32_e32 0, v1
	s_cbranch_execz .LBB4_2171
; %bb.2166:                             ;   in Loop: Header=BB4_1940 Depth=4
	v_bfe_u32 v4, v1, 23, 8
	v_and_b32_e32 v5, 0x7fffff, v1
	v_sub_nc_u32_e32 v8, 0x70, v4
	v_cmp_gt_u32_e32 vcc_lo, 0x71, v4
	v_or_b32_e32 v9, 0x800000, v5
	v_cndmask_b32_e32 v8, 0, v8, vcc_lo
	v_cmp_eq_u32_e32 vcc_lo, 0, v4
	v_add_nc_u32_e32 v4, 0xffffff91, v4
	v_cndmask_b32_e64 v8, v8, 0x6f, vcc_lo
	v_cndmask_b32_e32 v5, v9, v5, vcc_lo
	v_cndmask_b32_e64 v4, v4, 0xffffff92, vcc_lo
	v_lshl_add_u32 v9, 0x200000, v8, -1
	v_lshrrev_b32_e32 v10, v8, v5
	v_lshlrev_b32_e64 v12, v8, 0x100000
	v_add_nc_u32_e32 v8, v8, v4
	v_and_b32_e32 v5, v9, v5
	v_bfe_u32 v11, v10, 21, 1
	v_cmp_eq_u32_e64 s16, v5, v12
	v_add_nc_u32_e32 v9, -1, v11
	v_cndmask_b32_e64 v5, 0, v9, s16
	v_lshrrev_b32_e32 v9, 23, v10
	s_mov_b32 s16, exec_lo
	v_add_nc_u32_e32 v5, v5, v10
	v_xor_b32_e32 v9, 1, v9
	v_and_b32_e32 v4, 0x1fffff, v5
	v_add_nc_u32_e32 v5, v4, v10
                                        ; implicit-def: $vgpr4
	v_cmpx_ne_u32_e64 v8, v9
	s_xor_b32 s16, exec_lo, s16
; %bb.2167:                             ;   in Loop: Header=BB4_1940 Depth=4
	v_cmp_lt_u32_e32 vcc_lo, 0xffffff, v5
	v_sub_nc_u32_e32 v4, v8, v9
	v_cndmask_b32_e64 v8, 0, 1, vcc_lo
	v_add_co_ci_u32_e64 v4, null, 0, v4, vcc_lo
	v_lshrrev_b32_e32 v5, v8, v5
; %bb.2168:                             ;   in Loop: Header=BB4_1940 Depth=4
	s_andn2_saveexec_b32 s16, s16
; %bb.2169:                             ;   in Loop: Header=BB4_1940 Depth=4
	v_bfe_u32 v4, v5, 23, 1
; %bb.2170:                             ;   in Loop: Header=BB4_1940 Depth=4
	s_or_b32 exec_lo, exec_lo, s16
	v_lshrrev_b32_e32 v5, 21, v5
	v_min_i32_e32 v8, 31, v4
	v_cmp_gt_i32_e32 vcc_lo, 32, v4
	v_and_b32_sdwa v1, v1, v101 dst_sel:DWORD dst_unused:UNUSED_PAD src0_sel:BYTE_3 src1_sel:DWORD
	v_lshlrev_b32_e32 v8, 2, v8
	v_cndmask_b32_e32 v5, 3, v5, vcc_lo
	v_and_b32_e32 v8, 0xfc, v8
	v_and_b32_e32 v9, 3, v5
	v_or_b32_e32 v4, v4, v5
	v_or3_b32 v1, v1, v8, v9
	v_cmp_ne_u32_e32 vcc_lo, 0, v4
	v_lshlrev_b32_e32 v1, 8, v1
	v_cndmask_b32_e32 v105, 0, v1, vcc_lo
.LBB4_2171:                             ;   in Loop: Header=BB4_1940 Depth=4
	s_or_b32 exec_lo, exec_lo, s74
.LBB4_2172:                             ;   in Loop: Header=BB4_1940 Depth=4
	s_or_b32 exec_lo, exec_lo, s73
	global_load_dwordx4 v[8:11], v[68:69], off offset:512 slc
	s_mov_b32 s16, 0
	s_waitcnt vmcnt(0)
	v_cmp_gt_i16_sdwa s73, v8, v100 src0_sel:BYTE_0 src1_sel:DWORD
	s_and_saveexec_b32 s74, s73
	s_xor_b32 s73, exec_lo, s74
	s_cbranch_execz .LBB4_3066
; %bb.2173:                             ;   in Loop: Header=BB4_1940 Depth=4
	v_cmp_eq_u16_sdwa s75, v8, v101 src0_sel:BYTE_0 src1_sel:DWORD
	s_mov_b32 s16, -1
	s_and_saveexec_b32 s74, s75
; %bb.2174:                             ;   in Loop: Header=BB4_1940 Depth=4
	s_xor_b32 s16, exec_lo, -1
; %bb.2175:                             ;   in Loop: Header=BB4_1940 Depth=4
	s_or_b32 exec_lo, exec_lo, s74
	s_and_b32 s16, s16, exec_lo
	s_or_saveexec_b32 s73, s73
	v_mov_b32_e32 v1, 0x7f800001
	s_xor_b32 exec_lo, exec_lo, s73
	s_cbranch_execnz .LBB4_3067
.LBB4_2176:                             ;   in Loop: Header=BB4_1940 Depth=4
	s_or_b32 exec_lo, exec_lo, s73
	s_and_saveexec_b32 s73, s16
	s_cbranch_execz .LBB4_2178
.LBB4_2177:                             ;   in Loop: Header=BB4_1940 Depth=4
	v_and_b32_e32 v1, 3, v8
	v_bfe_u32 v12, v8, 2, 5
	v_lshlrev_b32_e32 v13, 24, v8
	v_ffbh_u32_e32 v4, v1
	v_cmp_eq_u32_e32 vcc_lo, 0, v12
	v_min_u32_e32 v4, 32, v4
	v_subrev_nc_u32_e32 v5, 29, v4
	v_sub_nc_u32_e32 v4, 30, v4
	v_lshlrev_b32_e32 v5, v5, v8
	v_cndmask_b32_e32 v4, v12, v4, vcc_lo
	v_and_b32_e32 v5, 3, v5
	v_lshl_add_u32 v4, v4, 23, 0x37800000
	v_cndmask_b32_e32 v1, v1, v5, vcc_lo
	v_and_b32_e32 v5, 0x80000000, v13
	v_lshlrev_b32_e32 v1, 21, v1
	v_or3_b32 v1, v5, v4, v1
.LBB4_2178:                             ;   in Loop: Header=BB4_1940 Depth=4
	s_or_b32 exec_lo, exec_lo, s73
	v_mul_f32_e32 v1, s72, v1
	v_mov_b32_e32 v93, 0x80
	s_mov_b32 s73, exec_lo
	v_and_b32_e32 v4, 0x7f800000, v1
	v_cmpx_ne_u32_e32 0x7f800000, v4
	s_cbranch_execz .LBB4_2186
; %bb.2179:                             ;   in Loop: Header=BB4_1940 Depth=4
	v_mov_b32_e32 v93, 0
	s_mov_b32 s74, exec_lo
	v_cmpx_ne_u32_e32 0, v1
	s_cbranch_execz .LBB4_2185
; %bb.2180:                             ;   in Loop: Header=BB4_1940 Depth=4
	v_bfe_u32 v4, v1, 23, 8
	v_and_b32_e32 v5, 0x7fffff, v1
	v_sub_nc_u32_e32 v12, 0x70, v4
	v_cmp_gt_u32_e32 vcc_lo, 0x71, v4
	v_or_b32_e32 v13, 0x800000, v5
	v_cndmask_b32_e32 v12, 0, v12, vcc_lo
	v_cmp_eq_u32_e32 vcc_lo, 0, v4
	v_add_nc_u32_e32 v4, 0xffffff91, v4
	v_cndmask_b32_e64 v12, v12, 0x6f, vcc_lo
	v_cndmask_b32_e32 v5, v13, v5, vcc_lo
	v_cndmask_b32_e64 v4, v4, 0xffffff92, vcc_lo
	v_lshl_add_u32 v13, 0x200000, v12, -1
	v_lshrrev_b32_e32 v14, v12, v5
	v_lshlrev_b32_e64 v16, v12, 0x100000
	v_add_nc_u32_e32 v12, v12, v4
	v_and_b32_e32 v5, v13, v5
	v_bfe_u32 v15, v14, 21, 1
	v_cmp_eq_u32_e64 s16, v5, v16
	v_add_nc_u32_e32 v13, -1, v15
	v_cndmask_b32_e64 v5, 0, v13, s16
	v_lshrrev_b32_e32 v13, 23, v14
	s_mov_b32 s16, exec_lo
	v_add_nc_u32_e32 v5, v5, v14
	v_xor_b32_e32 v13, 1, v13
	v_and_b32_e32 v4, 0x1fffff, v5
	v_add_nc_u32_e32 v5, v4, v14
                                        ; implicit-def: $vgpr4
	v_cmpx_ne_u32_e64 v12, v13
	s_xor_b32 s16, exec_lo, s16
; %bb.2181:                             ;   in Loop: Header=BB4_1940 Depth=4
	v_cmp_lt_u32_e32 vcc_lo, 0xffffff, v5
	v_sub_nc_u32_e32 v4, v12, v13
	v_cndmask_b32_e64 v12, 0, 1, vcc_lo
	v_add_co_ci_u32_e64 v4, null, 0, v4, vcc_lo
	v_lshrrev_b32_e32 v5, v12, v5
; %bb.2182:                             ;   in Loop: Header=BB4_1940 Depth=4
	s_andn2_saveexec_b32 s16, s16
; %bb.2183:                             ;   in Loop: Header=BB4_1940 Depth=4
	v_bfe_u32 v4, v5, 23, 1
; %bb.2184:                             ;   in Loop: Header=BB4_1940 Depth=4
	s_or_b32 exec_lo, exec_lo, s16
	v_lshrrev_b32_e32 v5, 21, v5
	v_min_i32_e32 v12, 31, v4
	v_cmp_gt_i32_e32 vcc_lo, 32, v4
	v_and_b32_sdwa v1, v1, v101 dst_sel:DWORD dst_unused:UNUSED_PAD src0_sel:BYTE_3 src1_sel:DWORD
	v_lshlrev_b32_e32 v12, 2, v12
	v_cndmask_b32_e32 v5, 3, v5, vcc_lo
	v_and_b32_e32 v12, 0xfc, v12
	v_and_b32_e32 v13, 3, v5
	v_or_b32_e32 v4, v4, v5
	v_or3_b32 v1, v12, v1, v13
	v_cmp_ne_u32_e32 vcc_lo, 0, v4
	v_cndmask_b32_e32 v93, 0, v1, vcc_lo
.LBB4_2185:                             ;   in Loop: Header=BB4_1940 Depth=4
	s_or_b32 exec_lo, exec_lo, s74
.LBB4_2186:                             ;   in Loop: Header=BB4_1940 Depth=4
	s_or_b32 exec_lo, exec_lo, s73
	v_cmp_gt_i16_sdwa s73, v8, v100 src0_sel:BYTE_1 src1_sel:DWORD
	s_mov_b32 s16, 0
	s_and_saveexec_b32 s74, s73
	s_xor_b32 s73, exec_lo, s74
	s_cbranch_execz .LBB4_3068
; %bb.2187:                             ;   in Loop: Header=BB4_1940 Depth=4
	v_cmp_eq_u16_sdwa s75, v8, v101 src0_sel:BYTE_1 src1_sel:DWORD
	s_mov_b32 s16, -1
	s_and_saveexec_b32 s74, s75
; %bb.2188:                             ;   in Loop: Header=BB4_1940 Depth=4
	s_xor_b32 s16, exec_lo, -1
; %bb.2189:                             ;   in Loop: Header=BB4_1940 Depth=4
	s_or_b32 exec_lo, exec_lo, s74
	s_and_b32 s16, s16, exec_lo
	s_or_saveexec_b32 s73, s73
	v_mov_b32_e32 v1, 0x7f800001
	s_xor_b32 exec_lo, exec_lo, s73
	s_cbranch_execnz .LBB4_3069
.LBB4_2190:                             ;   in Loop: Header=BB4_1940 Depth=4
	s_or_b32 exec_lo, exec_lo, s73
	s_and_saveexec_b32 s73, s16
	s_cbranch_execz .LBB4_2192
.LBB4_2191:                             ;   in Loop: Header=BB4_1940 Depth=4
	v_and_b32_sdwa v1, v102, v8 dst_sel:DWORD dst_unused:UNUSED_PAD src0_sel:DWORD src1_sel:BYTE_1
	v_and_b32_e32 v4, 3, v1
	v_bfe_u32 v13, v1, 2, 5
	v_ffbh_u32_e32 v5, v4
	v_cmp_eq_u32_e32 vcc_lo, 0, v13
	v_min_u32_e32 v5, 32, v5
	v_subrev_nc_u32_e32 v12, 29, v5
	v_sub_nc_u32_e32 v5, 30, v5
	v_lshlrev_b32_e32 v1, v12, v1
	v_lshlrev_b32_sdwa v12, v103, v8 dst_sel:DWORD dst_unused:UNUSED_PAD src0_sel:DWORD src1_sel:BYTE_1
	v_cndmask_b32_e32 v5, v13, v5, vcc_lo
	v_and_b32_e32 v1, 3, v1
	v_lshl_add_u32 v5, v5, 23, 0x37800000
	v_cndmask_b32_e32 v1, v4, v1, vcc_lo
	v_and_b32_e32 v4, 0x80000000, v12
	v_lshlrev_b32_e32 v1, 21, v1
	v_or3_b32 v1, v4, v5, v1
.LBB4_2192:                             ;   in Loop: Header=BB4_1940 Depth=4
	s_or_b32 exec_lo, exec_lo, s73
	v_mul_f32_e32 v1, s72, v1
	v_mov_b32_e32 v94, 0x8000
	s_mov_b32 s73, exec_lo
	v_and_b32_e32 v4, 0x7f800000, v1
	v_cmpx_ne_u32_e32 0x7f800000, v4
	s_cbranch_execz .LBB4_2200
; %bb.2193:                             ;   in Loop: Header=BB4_1940 Depth=4
	v_mov_b32_e32 v94, 0
	s_mov_b32 s74, exec_lo
	v_cmpx_ne_u32_e32 0, v1
	s_cbranch_execz .LBB4_2199
; %bb.2194:                             ;   in Loop: Header=BB4_1940 Depth=4
	v_bfe_u32 v4, v1, 23, 8
	v_and_b32_e32 v5, 0x7fffff, v1
	v_sub_nc_u32_e32 v12, 0x70, v4
	v_cmp_gt_u32_e32 vcc_lo, 0x71, v4
	v_or_b32_e32 v13, 0x800000, v5
	v_cndmask_b32_e32 v12, 0, v12, vcc_lo
	v_cmp_eq_u32_e32 vcc_lo, 0, v4
	v_add_nc_u32_e32 v4, 0xffffff91, v4
	v_cndmask_b32_e64 v12, v12, 0x6f, vcc_lo
	v_cndmask_b32_e32 v5, v13, v5, vcc_lo
	v_cndmask_b32_e64 v4, v4, 0xffffff92, vcc_lo
	v_lshl_add_u32 v13, 0x200000, v12, -1
	v_lshrrev_b32_e32 v14, v12, v5
	v_lshlrev_b32_e64 v16, v12, 0x100000
	v_add_nc_u32_e32 v12, v12, v4
	v_and_b32_e32 v5, v13, v5
	v_bfe_u32 v15, v14, 21, 1
	v_cmp_eq_u32_e64 s16, v5, v16
	v_add_nc_u32_e32 v13, -1, v15
	v_cndmask_b32_e64 v5, 0, v13, s16
	v_lshrrev_b32_e32 v13, 23, v14
	s_mov_b32 s16, exec_lo
	v_add_nc_u32_e32 v5, v5, v14
	v_xor_b32_e32 v13, 1, v13
	v_and_b32_e32 v4, 0x1fffff, v5
	v_add_nc_u32_e32 v5, v4, v14
                                        ; implicit-def: $vgpr4
	v_cmpx_ne_u32_e64 v12, v13
	s_xor_b32 s16, exec_lo, s16
; %bb.2195:                             ;   in Loop: Header=BB4_1940 Depth=4
	v_cmp_lt_u32_e32 vcc_lo, 0xffffff, v5
	v_sub_nc_u32_e32 v4, v12, v13
	v_cndmask_b32_e64 v12, 0, 1, vcc_lo
	v_add_co_ci_u32_e64 v4, null, 0, v4, vcc_lo
	v_lshrrev_b32_e32 v5, v12, v5
; %bb.2196:                             ;   in Loop: Header=BB4_1940 Depth=4
	s_andn2_saveexec_b32 s16, s16
; %bb.2197:                             ;   in Loop: Header=BB4_1940 Depth=4
	v_bfe_u32 v4, v5, 23, 1
; %bb.2198:                             ;   in Loop: Header=BB4_1940 Depth=4
	s_or_b32 exec_lo, exec_lo, s16
	v_lshrrev_b32_e32 v5, 21, v5
	v_min_i32_e32 v12, 31, v4
	v_cmp_gt_i32_e32 vcc_lo, 32, v4
	v_and_b32_sdwa v1, v1, v101 dst_sel:DWORD dst_unused:UNUSED_PAD src0_sel:BYTE_3 src1_sel:DWORD
	v_lshlrev_b32_e32 v12, 2, v12
	v_cndmask_b32_e32 v5, 3, v5, vcc_lo
	v_and_b32_e32 v12, 0xfc, v12
	v_and_b32_e32 v13, 3, v5
	v_or_b32_e32 v4, v4, v5
	v_or3_b32 v1, v1, v12, v13
	v_cmp_ne_u32_e32 vcc_lo, 0, v4
	v_lshlrev_b32_e32 v1, 8, v1
	v_cndmask_b32_e32 v94, 0, v1, vcc_lo
.LBB4_2199:                             ;   in Loop: Header=BB4_1940 Depth=4
	s_or_b32 exec_lo, exec_lo, s74
.LBB4_2200:                             ;   in Loop: Header=BB4_1940 Depth=4
	s_or_b32 exec_lo, exec_lo, s73
	v_and_b32_sdwa v4, v8, v112 dst_sel:DWORD dst_unused:UNUSED_PAD src0_sel:WORD_1 src1_sel:DWORD
	s_mov_b32 s16, 0
	s_mov_b32 s73, exec_lo
	v_cmpx_lt_i16_e32 0x7f, v4
	s_xor_b32 s73, exec_lo, s73
	s_cbranch_execz .LBB4_3070
; %bb.2201:                             ;   in Loop: Header=BB4_1940 Depth=4
	s_mov_b32 s16, -1
	s_mov_b32 s74, exec_lo
	v_cmpx_eq_u16_e32 0x80, v4
; %bb.2202:                             ;   in Loop: Header=BB4_1940 Depth=4
	s_xor_b32 s16, exec_lo, -1
; %bb.2203:                             ;   in Loop: Header=BB4_1940 Depth=4
	s_or_b32 exec_lo, exec_lo, s74
	s_and_b32 s16, s16, exec_lo
                                        ; implicit-def: $vgpr4
	s_or_saveexec_b32 s73, s73
	v_mov_b32_e32 v1, 0x7f800001
	s_xor_b32 exec_lo, exec_lo, s73
	s_cbranch_execnz .LBB4_3071
.LBB4_2204:                             ;   in Loop: Header=BB4_1940 Depth=4
	s_or_b32 exec_lo, exec_lo, s73
	s_and_saveexec_b32 s73, s16
	s_cbranch_execz .LBB4_2206
.LBB4_2205:                             ;   in Loop: Header=BB4_1940 Depth=4
	v_bfe_u32 v1, v8, 16, 2
	v_bfe_u32 v12, v8, 18, 5
	v_lshlrev_b32_e32 v13, 8, v8
	v_ffbh_u32_e32 v4, v1
	v_cmp_eq_u32_e32 vcc_lo, 0, v12
	v_min_u32_e32 v4, 32, v4
	v_subrev_nc_u32_e32 v5, 29, v4
	v_sub_nc_u32_e32 v4, 30, v4
	v_lshlrev_b32_sdwa v5, v5, v8 dst_sel:DWORD dst_unused:UNUSED_PAD src0_sel:DWORD src1_sel:WORD_1
	v_cndmask_b32_e32 v4, v12, v4, vcc_lo
	v_and_b32_e32 v5, 3, v5
	v_lshl_add_u32 v4, v4, 23, 0x37800000
	v_cndmask_b32_e32 v1, v1, v5, vcc_lo
	v_and_b32_e32 v5, 0x80000000, v13
	v_lshlrev_b32_e32 v1, 21, v1
	v_or3_b32 v1, v5, v4, v1
.LBB4_2206:                             ;   in Loop: Header=BB4_1940 Depth=4
	s_or_b32 exec_lo, exec_lo, s73
	v_mul_f32_e32 v1, s72, v1
	v_mov_b32_e32 v91, 0x80
	s_mov_b32 s73, exec_lo
	v_and_b32_e32 v4, 0x7f800000, v1
	v_cmpx_ne_u32_e32 0x7f800000, v4
	s_cbranch_execz .LBB4_2214
; %bb.2207:                             ;   in Loop: Header=BB4_1940 Depth=4
	v_mov_b32_e32 v91, 0
	s_mov_b32 s74, exec_lo
	v_cmpx_ne_u32_e32 0, v1
	s_cbranch_execz .LBB4_2213
; %bb.2208:                             ;   in Loop: Header=BB4_1940 Depth=4
	v_bfe_u32 v4, v1, 23, 8
	v_and_b32_e32 v5, 0x7fffff, v1
	v_sub_nc_u32_e32 v12, 0x70, v4
	v_cmp_gt_u32_e32 vcc_lo, 0x71, v4
	v_or_b32_e32 v13, 0x800000, v5
	v_cndmask_b32_e32 v12, 0, v12, vcc_lo
	v_cmp_eq_u32_e32 vcc_lo, 0, v4
	v_add_nc_u32_e32 v4, 0xffffff91, v4
	v_cndmask_b32_e64 v12, v12, 0x6f, vcc_lo
	v_cndmask_b32_e32 v5, v13, v5, vcc_lo
	v_cndmask_b32_e64 v4, v4, 0xffffff92, vcc_lo
	v_lshl_add_u32 v13, 0x200000, v12, -1
	v_lshrrev_b32_e32 v14, v12, v5
	v_lshlrev_b32_e64 v16, v12, 0x100000
	v_add_nc_u32_e32 v12, v12, v4
	v_and_b32_e32 v5, v13, v5
	v_bfe_u32 v15, v14, 21, 1
	v_cmp_eq_u32_e64 s16, v5, v16
	v_add_nc_u32_e32 v13, -1, v15
	v_cndmask_b32_e64 v5, 0, v13, s16
	v_lshrrev_b32_e32 v13, 23, v14
	s_mov_b32 s16, exec_lo
	v_add_nc_u32_e32 v5, v5, v14
	v_xor_b32_e32 v13, 1, v13
	v_and_b32_e32 v4, 0x1fffff, v5
	v_add_nc_u32_e32 v5, v4, v14
                                        ; implicit-def: $vgpr4
	v_cmpx_ne_u32_e64 v12, v13
	s_xor_b32 s16, exec_lo, s16
; %bb.2209:                             ;   in Loop: Header=BB4_1940 Depth=4
	v_cmp_lt_u32_e32 vcc_lo, 0xffffff, v5
	v_sub_nc_u32_e32 v4, v12, v13
	v_cndmask_b32_e64 v12, 0, 1, vcc_lo
	v_add_co_ci_u32_e64 v4, null, 0, v4, vcc_lo
	v_lshrrev_b32_e32 v5, v12, v5
; %bb.2210:                             ;   in Loop: Header=BB4_1940 Depth=4
	s_andn2_saveexec_b32 s16, s16
; %bb.2211:                             ;   in Loop: Header=BB4_1940 Depth=4
	v_bfe_u32 v4, v5, 23, 1
; %bb.2212:                             ;   in Loop: Header=BB4_1940 Depth=4
	s_or_b32 exec_lo, exec_lo, s16
	v_lshrrev_b32_e32 v5, 21, v5
	v_min_i32_e32 v12, 31, v4
	v_cmp_gt_i32_e32 vcc_lo, 32, v4
	v_and_b32_sdwa v1, v1, v101 dst_sel:DWORD dst_unused:UNUSED_PAD src0_sel:BYTE_3 src1_sel:DWORD
	v_lshlrev_b32_e32 v12, 2, v12
	v_cndmask_b32_e32 v5, 3, v5, vcc_lo
	v_and_b32_e32 v12, 0xfc, v12
	v_and_b32_e32 v13, 3, v5
	v_or_b32_e32 v4, v4, v5
	v_or3_b32 v1, v12, v1, v13
	v_cmp_ne_u32_e32 vcc_lo, 0, v4
	v_cndmask_b32_e32 v91, 0, v1, vcc_lo
.LBB4_2213:                             ;   in Loop: Header=BB4_1940 Depth=4
	s_or_b32 exec_lo, exec_lo, s74
.LBB4_2214:                             ;   in Loop: Header=BB4_1940 Depth=4
	s_or_b32 exec_lo, exec_lo, s73
	v_cmp_gt_i16_sdwa s73, v8, v100 src0_sel:BYTE_3 src1_sel:DWORD
	s_mov_b32 s16, 0
	s_and_saveexec_b32 s74, s73
	s_xor_b32 s73, exec_lo, s74
	s_cbranch_execz .LBB4_3072
; %bb.2215:                             ;   in Loop: Header=BB4_1940 Depth=4
	v_cmp_eq_u16_sdwa s75, v8, v101 src0_sel:BYTE_3 src1_sel:DWORD
	s_mov_b32 s16, -1
	s_and_saveexec_b32 s74, s75
; %bb.2216:                             ;   in Loop: Header=BB4_1940 Depth=4
	s_xor_b32 s16, exec_lo, -1
; %bb.2217:                             ;   in Loop: Header=BB4_1940 Depth=4
	s_or_b32 exec_lo, exec_lo, s74
	s_and_b32 s16, s16, exec_lo
	s_or_saveexec_b32 s73, s73
	v_mov_b32_e32 v1, 0x7f800001
	s_xor_b32 exec_lo, exec_lo, s73
	s_cbranch_execnz .LBB4_3073
.LBB4_2218:                             ;   in Loop: Header=BB4_1940 Depth=4
	s_or_b32 exec_lo, exec_lo, s73
	s_and_saveexec_b32 s73, s16
	s_cbranch_execz .LBB4_2220
.LBB4_2219:                             ;   in Loop: Header=BB4_1940 Depth=4
	v_bfe_u32 v1, v8, 24, 2
	v_bfe_u32 v12, v8, 26, 5
	v_ffbh_u32_e32 v4, v1
	v_cmp_eq_u32_e32 vcc_lo, 0, v12
	v_min_u32_e32 v4, 32, v4
	v_subrev_nc_u32_e32 v5, 29, v4
	v_sub_nc_u32_e32 v4, 30, v4
	v_lshlrev_b32_sdwa v5, v5, v8 dst_sel:DWORD dst_unused:UNUSED_PAD src0_sel:DWORD src1_sel:BYTE_3
	v_cndmask_b32_e32 v4, v12, v4, vcc_lo
	v_and_b32_e32 v5, 3, v5
	v_lshl_add_u32 v4, v4, 23, 0x37800000
	v_cndmask_b32_e32 v1, v1, v5, vcc_lo
	v_and_b32_e32 v5, 0x80000000, v8
	v_lshlrev_b32_e32 v1, 21, v1
	v_or3_b32 v1, v5, v4, v1
.LBB4_2220:                             ;   in Loop: Header=BB4_1940 Depth=4
	s_or_b32 exec_lo, exec_lo, s73
	v_mul_f32_e32 v1, s72, v1
	v_mov_b32_e32 v92, 0x8000
	s_mov_b32 s73, exec_lo
	v_and_b32_e32 v4, 0x7f800000, v1
	v_cmpx_ne_u32_e32 0x7f800000, v4
	s_cbranch_execz .LBB4_2228
; %bb.2221:                             ;   in Loop: Header=BB4_1940 Depth=4
	v_mov_b32_e32 v92, 0
	s_mov_b32 s74, exec_lo
	v_cmpx_ne_u32_e32 0, v1
	s_cbranch_execz .LBB4_2227
; %bb.2222:                             ;   in Loop: Header=BB4_1940 Depth=4
	v_bfe_u32 v4, v1, 23, 8
	v_and_b32_e32 v5, 0x7fffff, v1
	v_sub_nc_u32_e32 v8, 0x70, v4
	v_cmp_gt_u32_e32 vcc_lo, 0x71, v4
	v_or_b32_e32 v12, 0x800000, v5
	v_cndmask_b32_e32 v8, 0, v8, vcc_lo
	v_cmp_eq_u32_e32 vcc_lo, 0, v4
	v_add_nc_u32_e32 v4, 0xffffff91, v4
	v_cndmask_b32_e64 v8, v8, 0x6f, vcc_lo
	v_cndmask_b32_e32 v5, v12, v5, vcc_lo
	v_cndmask_b32_e64 v4, v4, 0xffffff92, vcc_lo
	v_lshl_add_u32 v12, 0x200000, v8, -1
	v_lshrrev_b32_e32 v13, v8, v5
	v_lshlrev_b32_e64 v15, v8, 0x100000
	v_add_nc_u32_e32 v8, v8, v4
	v_and_b32_e32 v5, v12, v5
	v_bfe_u32 v14, v13, 21, 1
	v_cmp_eq_u32_e64 s16, v5, v15
	v_add_nc_u32_e32 v12, -1, v14
	v_cndmask_b32_e64 v5, 0, v12, s16
	v_lshrrev_b32_e32 v12, 23, v13
	s_mov_b32 s16, exec_lo
	v_add_nc_u32_e32 v5, v5, v13
	v_xor_b32_e32 v12, 1, v12
	v_and_b32_e32 v4, 0x1fffff, v5
	v_add_nc_u32_e32 v5, v4, v13
                                        ; implicit-def: $vgpr4
	v_cmpx_ne_u32_e64 v8, v12
	s_xor_b32 s16, exec_lo, s16
; %bb.2223:                             ;   in Loop: Header=BB4_1940 Depth=4
	v_cmp_lt_u32_e32 vcc_lo, 0xffffff, v5
	v_sub_nc_u32_e32 v4, v8, v12
	v_cndmask_b32_e64 v8, 0, 1, vcc_lo
	v_add_co_ci_u32_e64 v4, null, 0, v4, vcc_lo
	v_lshrrev_b32_e32 v5, v8, v5
; %bb.2224:                             ;   in Loop: Header=BB4_1940 Depth=4
	s_andn2_saveexec_b32 s16, s16
; %bb.2225:                             ;   in Loop: Header=BB4_1940 Depth=4
	v_bfe_u32 v4, v5, 23, 1
; %bb.2226:                             ;   in Loop: Header=BB4_1940 Depth=4
	s_or_b32 exec_lo, exec_lo, s16
	v_lshrrev_b32_e32 v5, 21, v5
	v_min_i32_e32 v8, 31, v4
	v_cmp_gt_i32_e32 vcc_lo, 32, v4
	v_and_b32_sdwa v1, v1, v101 dst_sel:DWORD dst_unused:UNUSED_PAD src0_sel:BYTE_3 src1_sel:DWORD
	v_lshlrev_b32_e32 v8, 2, v8
	v_cndmask_b32_e32 v5, 3, v5, vcc_lo
	v_and_b32_e32 v8, 0xfc, v8
	v_and_b32_e32 v12, 3, v5
	v_or_b32_e32 v4, v4, v5
	v_or3_b32 v1, v1, v8, v12
	v_cmp_ne_u32_e32 vcc_lo, 0, v4
	v_lshlrev_b32_e32 v1, 8, v1
	v_cndmask_b32_e32 v92, 0, v1, vcc_lo
.LBB4_2227:                             ;   in Loop: Header=BB4_1940 Depth=4
	s_or_b32 exec_lo, exec_lo, s74
.LBB4_2228:                             ;   in Loop: Header=BB4_1940 Depth=4
	s_or_b32 exec_lo, exec_lo, s73
	v_cmp_gt_i16_sdwa s73, v9, v100 src0_sel:BYTE_0 src1_sel:DWORD
	s_mov_b32 s16, 0
	s_and_saveexec_b32 s74, s73
	s_xor_b32 s73, exec_lo, s74
	s_cbranch_execz .LBB4_3074
; %bb.2229:                             ;   in Loop: Header=BB4_1940 Depth=4
	v_cmp_eq_u16_sdwa s75, v9, v101 src0_sel:BYTE_0 src1_sel:DWORD
	s_mov_b32 s16, -1
	s_and_saveexec_b32 s74, s75
; %bb.2230:                             ;   in Loop: Header=BB4_1940 Depth=4
	s_xor_b32 s16, exec_lo, -1
; %bb.2231:                             ;   in Loop: Header=BB4_1940 Depth=4
	s_or_b32 exec_lo, exec_lo, s74
	s_and_b32 s16, s16, exec_lo
	s_or_saveexec_b32 s73, s73
	v_mov_b32_e32 v1, 0x7f800001
	s_xor_b32 exec_lo, exec_lo, s73
	s_cbranch_execnz .LBB4_3075
.LBB4_2232:                             ;   in Loop: Header=BB4_1940 Depth=4
	s_or_b32 exec_lo, exec_lo, s73
	s_and_saveexec_b32 s73, s16
	s_cbranch_execz .LBB4_2234
.LBB4_2233:                             ;   in Loop: Header=BB4_1940 Depth=4
	v_and_b32_e32 v1, 3, v9
	v_bfe_u32 v8, v9, 2, 5
	v_lshlrev_b32_e32 v12, 24, v9
	v_ffbh_u32_e32 v4, v1
	v_cmp_eq_u32_e32 vcc_lo, 0, v8
	v_min_u32_e32 v4, 32, v4
	v_subrev_nc_u32_e32 v5, 29, v4
	v_sub_nc_u32_e32 v4, 30, v4
	v_lshlrev_b32_e32 v5, v5, v9
	v_cndmask_b32_e32 v4, v8, v4, vcc_lo
	v_and_b32_e32 v5, 3, v5
	v_lshl_add_u32 v4, v4, 23, 0x37800000
	v_cndmask_b32_e32 v1, v1, v5, vcc_lo
	v_and_b32_e32 v5, 0x80000000, v12
	v_lshlrev_b32_e32 v1, 21, v1
	v_or3_b32 v1, v5, v4, v1
.LBB4_2234:                             ;   in Loop: Header=BB4_1940 Depth=4
	s_or_b32 exec_lo, exec_lo, s73
	v_mul_f32_e32 v1, s72, v1
	v_mov_b32_e32 v89, 0x80
	s_mov_b32 s73, exec_lo
	v_and_b32_e32 v4, 0x7f800000, v1
	v_cmpx_ne_u32_e32 0x7f800000, v4
	s_cbranch_execz .LBB4_2242
; %bb.2235:                             ;   in Loop: Header=BB4_1940 Depth=4
	v_mov_b32_e32 v89, 0
	s_mov_b32 s74, exec_lo
	v_cmpx_ne_u32_e32 0, v1
	s_cbranch_execz .LBB4_2241
; %bb.2236:                             ;   in Loop: Header=BB4_1940 Depth=4
	v_bfe_u32 v4, v1, 23, 8
	v_and_b32_e32 v5, 0x7fffff, v1
	v_sub_nc_u32_e32 v8, 0x70, v4
	v_cmp_gt_u32_e32 vcc_lo, 0x71, v4
	v_or_b32_e32 v12, 0x800000, v5
	v_cndmask_b32_e32 v8, 0, v8, vcc_lo
	v_cmp_eq_u32_e32 vcc_lo, 0, v4
	v_add_nc_u32_e32 v4, 0xffffff91, v4
	v_cndmask_b32_e64 v8, v8, 0x6f, vcc_lo
	v_cndmask_b32_e32 v5, v12, v5, vcc_lo
	v_cndmask_b32_e64 v4, v4, 0xffffff92, vcc_lo
	v_lshl_add_u32 v12, 0x200000, v8, -1
	v_lshrrev_b32_e32 v13, v8, v5
	v_lshlrev_b32_e64 v15, v8, 0x100000
	v_add_nc_u32_e32 v8, v8, v4
	v_and_b32_e32 v5, v12, v5
	v_bfe_u32 v14, v13, 21, 1
	v_cmp_eq_u32_e64 s16, v5, v15
	v_add_nc_u32_e32 v12, -1, v14
	v_cndmask_b32_e64 v5, 0, v12, s16
	v_lshrrev_b32_e32 v12, 23, v13
	s_mov_b32 s16, exec_lo
	v_add_nc_u32_e32 v5, v5, v13
	v_xor_b32_e32 v12, 1, v12
	v_and_b32_e32 v4, 0x1fffff, v5
	v_add_nc_u32_e32 v5, v4, v13
                                        ; implicit-def: $vgpr4
	v_cmpx_ne_u32_e64 v8, v12
	s_xor_b32 s16, exec_lo, s16
; %bb.2237:                             ;   in Loop: Header=BB4_1940 Depth=4
	v_cmp_lt_u32_e32 vcc_lo, 0xffffff, v5
	v_sub_nc_u32_e32 v4, v8, v12
	v_cndmask_b32_e64 v8, 0, 1, vcc_lo
	v_add_co_ci_u32_e64 v4, null, 0, v4, vcc_lo
	v_lshrrev_b32_e32 v5, v8, v5
; %bb.2238:                             ;   in Loop: Header=BB4_1940 Depth=4
	s_andn2_saveexec_b32 s16, s16
; %bb.2239:                             ;   in Loop: Header=BB4_1940 Depth=4
	v_bfe_u32 v4, v5, 23, 1
; %bb.2240:                             ;   in Loop: Header=BB4_1940 Depth=4
	s_or_b32 exec_lo, exec_lo, s16
	v_lshrrev_b32_e32 v5, 21, v5
	v_min_i32_e32 v8, 31, v4
	v_cmp_gt_i32_e32 vcc_lo, 32, v4
	v_and_b32_sdwa v1, v1, v101 dst_sel:DWORD dst_unused:UNUSED_PAD src0_sel:BYTE_3 src1_sel:DWORD
	v_lshlrev_b32_e32 v8, 2, v8
	v_cndmask_b32_e32 v5, 3, v5, vcc_lo
	v_and_b32_e32 v8, 0xfc, v8
	v_and_b32_e32 v12, 3, v5
	v_or_b32_e32 v4, v4, v5
	v_or3_b32 v1, v8, v1, v12
	v_cmp_ne_u32_e32 vcc_lo, 0, v4
	v_cndmask_b32_e32 v89, 0, v1, vcc_lo
.LBB4_2241:                             ;   in Loop: Header=BB4_1940 Depth=4
	s_or_b32 exec_lo, exec_lo, s74
.LBB4_2242:                             ;   in Loop: Header=BB4_1940 Depth=4
	s_or_b32 exec_lo, exec_lo, s73
	v_cmp_gt_i16_sdwa s73, v9, v100 src0_sel:BYTE_1 src1_sel:DWORD
	s_mov_b32 s16, 0
	s_and_saveexec_b32 s74, s73
	s_xor_b32 s73, exec_lo, s74
	s_cbranch_execz .LBB4_3076
; %bb.2243:                             ;   in Loop: Header=BB4_1940 Depth=4
	v_cmp_eq_u16_sdwa s75, v9, v101 src0_sel:BYTE_1 src1_sel:DWORD
	s_mov_b32 s16, -1
	s_and_saveexec_b32 s74, s75
; %bb.2244:                             ;   in Loop: Header=BB4_1940 Depth=4
	s_xor_b32 s16, exec_lo, -1
; %bb.2245:                             ;   in Loop: Header=BB4_1940 Depth=4
	s_or_b32 exec_lo, exec_lo, s74
	s_and_b32 s16, s16, exec_lo
	s_or_saveexec_b32 s73, s73
	v_mov_b32_e32 v1, 0x7f800001
	s_xor_b32 exec_lo, exec_lo, s73
	s_cbranch_execnz .LBB4_3077
.LBB4_2246:                             ;   in Loop: Header=BB4_1940 Depth=4
	s_or_b32 exec_lo, exec_lo, s73
	s_and_saveexec_b32 s73, s16
	s_cbranch_execz .LBB4_2248
.LBB4_2247:                             ;   in Loop: Header=BB4_1940 Depth=4
	v_and_b32_sdwa v1, v102, v9 dst_sel:DWORD dst_unused:UNUSED_PAD src0_sel:DWORD src1_sel:BYTE_1
	v_and_b32_e32 v4, 3, v1
	v_bfe_u32 v12, v1, 2, 5
	v_ffbh_u32_e32 v5, v4
	v_cmp_eq_u32_e32 vcc_lo, 0, v12
	v_min_u32_e32 v5, 32, v5
	v_subrev_nc_u32_e32 v8, 29, v5
	v_sub_nc_u32_e32 v5, 30, v5
	v_lshlrev_b32_e32 v1, v8, v1
	v_lshlrev_b32_sdwa v8, v103, v9 dst_sel:DWORD dst_unused:UNUSED_PAD src0_sel:DWORD src1_sel:BYTE_1
	v_cndmask_b32_e32 v5, v12, v5, vcc_lo
	v_and_b32_e32 v1, 3, v1
	v_lshl_add_u32 v5, v5, 23, 0x37800000
	v_cndmask_b32_e32 v1, v4, v1, vcc_lo
	v_and_b32_e32 v4, 0x80000000, v8
	v_lshlrev_b32_e32 v1, 21, v1
	v_or3_b32 v1, v4, v5, v1
.LBB4_2248:                             ;   in Loop: Header=BB4_1940 Depth=4
	s_or_b32 exec_lo, exec_lo, s73
	v_mul_f32_e32 v1, s72, v1
	v_mov_b32_e32 v90, 0x8000
	s_mov_b32 s73, exec_lo
	v_and_b32_e32 v4, 0x7f800000, v1
	v_cmpx_ne_u32_e32 0x7f800000, v4
	s_cbranch_execz .LBB4_2256
; %bb.2249:                             ;   in Loop: Header=BB4_1940 Depth=4
	v_mov_b32_e32 v90, 0
	s_mov_b32 s74, exec_lo
	v_cmpx_ne_u32_e32 0, v1
	s_cbranch_execz .LBB4_2255
; %bb.2250:                             ;   in Loop: Header=BB4_1940 Depth=4
	v_bfe_u32 v4, v1, 23, 8
	v_and_b32_e32 v5, 0x7fffff, v1
	v_sub_nc_u32_e32 v8, 0x70, v4
	v_cmp_gt_u32_e32 vcc_lo, 0x71, v4
	v_or_b32_e32 v12, 0x800000, v5
	v_cndmask_b32_e32 v8, 0, v8, vcc_lo
	v_cmp_eq_u32_e32 vcc_lo, 0, v4
	v_add_nc_u32_e32 v4, 0xffffff91, v4
	v_cndmask_b32_e64 v8, v8, 0x6f, vcc_lo
	v_cndmask_b32_e32 v5, v12, v5, vcc_lo
	v_cndmask_b32_e64 v4, v4, 0xffffff92, vcc_lo
	v_lshl_add_u32 v12, 0x200000, v8, -1
	v_lshrrev_b32_e32 v13, v8, v5
	v_lshlrev_b32_e64 v15, v8, 0x100000
	v_add_nc_u32_e32 v8, v8, v4
	v_and_b32_e32 v5, v12, v5
	v_bfe_u32 v14, v13, 21, 1
	v_cmp_eq_u32_e64 s16, v5, v15
	v_add_nc_u32_e32 v12, -1, v14
	v_cndmask_b32_e64 v5, 0, v12, s16
	v_lshrrev_b32_e32 v12, 23, v13
	s_mov_b32 s16, exec_lo
	v_add_nc_u32_e32 v5, v5, v13
	v_xor_b32_e32 v12, 1, v12
	v_and_b32_e32 v4, 0x1fffff, v5
	v_add_nc_u32_e32 v5, v4, v13
                                        ; implicit-def: $vgpr4
	v_cmpx_ne_u32_e64 v8, v12
	s_xor_b32 s16, exec_lo, s16
; %bb.2251:                             ;   in Loop: Header=BB4_1940 Depth=4
	v_cmp_lt_u32_e32 vcc_lo, 0xffffff, v5
	v_sub_nc_u32_e32 v4, v8, v12
	v_cndmask_b32_e64 v8, 0, 1, vcc_lo
	v_add_co_ci_u32_e64 v4, null, 0, v4, vcc_lo
	v_lshrrev_b32_e32 v5, v8, v5
; %bb.2252:                             ;   in Loop: Header=BB4_1940 Depth=4
	s_andn2_saveexec_b32 s16, s16
; %bb.2253:                             ;   in Loop: Header=BB4_1940 Depth=4
	v_bfe_u32 v4, v5, 23, 1
; %bb.2254:                             ;   in Loop: Header=BB4_1940 Depth=4
	s_or_b32 exec_lo, exec_lo, s16
	v_lshrrev_b32_e32 v5, 21, v5
	v_min_i32_e32 v8, 31, v4
	v_cmp_gt_i32_e32 vcc_lo, 32, v4
	v_and_b32_sdwa v1, v1, v101 dst_sel:DWORD dst_unused:UNUSED_PAD src0_sel:BYTE_3 src1_sel:DWORD
	v_lshlrev_b32_e32 v8, 2, v8
	v_cndmask_b32_e32 v5, 3, v5, vcc_lo
	v_and_b32_e32 v8, 0xfc, v8
	v_and_b32_e32 v12, 3, v5
	v_or_b32_e32 v4, v4, v5
	v_or3_b32 v1, v1, v8, v12
	v_cmp_ne_u32_e32 vcc_lo, 0, v4
	v_lshlrev_b32_e32 v1, 8, v1
	v_cndmask_b32_e32 v90, 0, v1, vcc_lo
.LBB4_2255:                             ;   in Loop: Header=BB4_1940 Depth=4
	s_or_b32 exec_lo, exec_lo, s74
.LBB4_2256:                             ;   in Loop: Header=BB4_1940 Depth=4
	s_or_b32 exec_lo, exec_lo, s73
	v_and_b32_sdwa v4, v9, v112 dst_sel:DWORD dst_unused:UNUSED_PAD src0_sel:WORD_1 src1_sel:DWORD
	s_mov_b32 s16, 0
	s_mov_b32 s73, exec_lo
	v_cmpx_lt_i16_e32 0x7f, v4
	s_xor_b32 s73, exec_lo, s73
	s_cbranch_execz .LBB4_3078
; %bb.2257:                             ;   in Loop: Header=BB4_1940 Depth=4
	s_mov_b32 s16, -1
	s_mov_b32 s74, exec_lo
	v_cmpx_eq_u16_e32 0x80, v4
; %bb.2258:                             ;   in Loop: Header=BB4_1940 Depth=4
	s_xor_b32 s16, exec_lo, -1
; %bb.2259:                             ;   in Loop: Header=BB4_1940 Depth=4
	s_or_b32 exec_lo, exec_lo, s74
	s_and_b32 s16, s16, exec_lo
                                        ; implicit-def: $vgpr4
	s_or_saveexec_b32 s73, s73
	v_mov_b32_e32 v1, 0x7f800001
	s_xor_b32 exec_lo, exec_lo, s73
	s_cbranch_execnz .LBB4_3079
.LBB4_2260:                             ;   in Loop: Header=BB4_1940 Depth=4
	s_or_b32 exec_lo, exec_lo, s73
	s_and_saveexec_b32 s73, s16
	s_cbranch_execz .LBB4_2262
.LBB4_2261:                             ;   in Loop: Header=BB4_1940 Depth=4
	v_bfe_u32 v1, v9, 16, 2
	v_bfe_u32 v8, v9, 18, 5
	v_lshlrev_b32_e32 v12, 8, v9
	v_ffbh_u32_e32 v4, v1
	v_cmp_eq_u32_e32 vcc_lo, 0, v8
	v_min_u32_e32 v4, 32, v4
	v_subrev_nc_u32_e32 v5, 29, v4
	v_sub_nc_u32_e32 v4, 30, v4
	v_lshlrev_b32_sdwa v5, v5, v9 dst_sel:DWORD dst_unused:UNUSED_PAD src0_sel:DWORD src1_sel:WORD_1
	v_cndmask_b32_e32 v4, v8, v4, vcc_lo
	v_and_b32_e32 v5, 3, v5
	v_lshl_add_u32 v4, v4, 23, 0x37800000
	v_cndmask_b32_e32 v1, v1, v5, vcc_lo
	v_and_b32_e32 v5, 0x80000000, v12
	v_lshlrev_b32_e32 v1, 21, v1
	v_or3_b32 v1, v5, v4, v1
.LBB4_2262:                             ;   in Loop: Header=BB4_1940 Depth=4
	s_or_b32 exec_lo, exec_lo, s73
	v_mul_f32_e32 v1, s72, v1
	v_mov_b32_e32 v77, 0x80
	s_mov_b32 s73, exec_lo
	v_and_b32_e32 v4, 0x7f800000, v1
	v_cmpx_ne_u32_e32 0x7f800000, v4
	s_cbranch_execz .LBB4_2270
; %bb.2263:                             ;   in Loop: Header=BB4_1940 Depth=4
	v_mov_b32_e32 v77, 0
	s_mov_b32 s74, exec_lo
	v_cmpx_ne_u32_e32 0, v1
	s_cbranch_execz .LBB4_2269
; %bb.2264:                             ;   in Loop: Header=BB4_1940 Depth=4
	v_bfe_u32 v4, v1, 23, 8
	v_and_b32_e32 v5, 0x7fffff, v1
	v_sub_nc_u32_e32 v8, 0x70, v4
	v_cmp_gt_u32_e32 vcc_lo, 0x71, v4
	v_or_b32_e32 v12, 0x800000, v5
	v_cndmask_b32_e32 v8, 0, v8, vcc_lo
	v_cmp_eq_u32_e32 vcc_lo, 0, v4
	v_add_nc_u32_e32 v4, 0xffffff91, v4
	v_cndmask_b32_e64 v8, v8, 0x6f, vcc_lo
	v_cndmask_b32_e32 v5, v12, v5, vcc_lo
	v_cndmask_b32_e64 v4, v4, 0xffffff92, vcc_lo
	v_lshl_add_u32 v12, 0x200000, v8, -1
	v_lshrrev_b32_e32 v13, v8, v5
	v_lshlrev_b32_e64 v15, v8, 0x100000
	v_add_nc_u32_e32 v8, v8, v4
	v_and_b32_e32 v5, v12, v5
	v_bfe_u32 v14, v13, 21, 1
	v_cmp_eq_u32_e64 s16, v5, v15
	v_add_nc_u32_e32 v12, -1, v14
	v_cndmask_b32_e64 v5, 0, v12, s16
	v_lshrrev_b32_e32 v12, 23, v13
	s_mov_b32 s16, exec_lo
	v_add_nc_u32_e32 v5, v5, v13
	v_xor_b32_e32 v12, 1, v12
	v_and_b32_e32 v4, 0x1fffff, v5
	v_add_nc_u32_e32 v5, v4, v13
                                        ; implicit-def: $vgpr4
	v_cmpx_ne_u32_e64 v8, v12
	s_xor_b32 s16, exec_lo, s16
; %bb.2265:                             ;   in Loop: Header=BB4_1940 Depth=4
	v_cmp_lt_u32_e32 vcc_lo, 0xffffff, v5
	v_sub_nc_u32_e32 v4, v8, v12
	v_cndmask_b32_e64 v8, 0, 1, vcc_lo
	v_add_co_ci_u32_e64 v4, null, 0, v4, vcc_lo
	v_lshrrev_b32_e32 v5, v8, v5
; %bb.2266:                             ;   in Loop: Header=BB4_1940 Depth=4
	s_andn2_saveexec_b32 s16, s16
; %bb.2267:                             ;   in Loop: Header=BB4_1940 Depth=4
	v_bfe_u32 v4, v5, 23, 1
; %bb.2268:                             ;   in Loop: Header=BB4_1940 Depth=4
	s_or_b32 exec_lo, exec_lo, s16
	v_lshrrev_b32_e32 v5, 21, v5
	v_min_i32_e32 v8, 31, v4
	v_cmp_gt_i32_e32 vcc_lo, 32, v4
	v_and_b32_sdwa v1, v1, v101 dst_sel:DWORD dst_unused:UNUSED_PAD src0_sel:BYTE_3 src1_sel:DWORD
	v_lshlrev_b32_e32 v8, 2, v8
	v_cndmask_b32_e32 v5, 3, v5, vcc_lo
	v_and_b32_e32 v8, 0xfc, v8
	v_and_b32_e32 v12, 3, v5
	v_or_b32_e32 v4, v4, v5
	v_or3_b32 v1, v8, v1, v12
	v_cmp_ne_u32_e32 vcc_lo, 0, v4
	v_cndmask_b32_e32 v77, 0, v1, vcc_lo
.LBB4_2269:                             ;   in Loop: Header=BB4_1940 Depth=4
	s_or_b32 exec_lo, exec_lo, s74
.LBB4_2270:                             ;   in Loop: Header=BB4_1940 Depth=4
	s_or_b32 exec_lo, exec_lo, s73
	v_cmp_gt_i16_sdwa s73, v9, v100 src0_sel:BYTE_3 src1_sel:DWORD
	s_mov_b32 s16, 0
	s_and_saveexec_b32 s74, s73
	s_xor_b32 s73, exec_lo, s74
	s_cbranch_execz .LBB4_3080
; %bb.2271:                             ;   in Loop: Header=BB4_1940 Depth=4
	v_cmp_eq_u16_sdwa s75, v9, v101 src0_sel:BYTE_3 src1_sel:DWORD
	s_mov_b32 s16, -1
	s_and_saveexec_b32 s74, s75
; %bb.2272:                             ;   in Loop: Header=BB4_1940 Depth=4
	s_xor_b32 s16, exec_lo, -1
; %bb.2273:                             ;   in Loop: Header=BB4_1940 Depth=4
	s_or_b32 exec_lo, exec_lo, s74
	s_and_b32 s16, s16, exec_lo
	s_or_saveexec_b32 s73, s73
	v_mov_b32_e32 v1, 0x7f800001
	s_xor_b32 exec_lo, exec_lo, s73
	s_cbranch_execnz .LBB4_3081
.LBB4_2274:                             ;   in Loop: Header=BB4_1940 Depth=4
	s_or_b32 exec_lo, exec_lo, s73
	s_and_saveexec_b32 s73, s16
	s_cbranch_execz .LBB4_2276
.LBB4_2275:                             ;   in Loop: Header=BB4_1940 Depth=4
	v_bfe_u32 v1, v9, 24, 2
	v_bfe_u32 v8, v9, 26, 5
	v_ffbh_u32_e32 v4, v1
	v_cmp_eq_u32_e32 vcc_lo, 0, v8
	v_min_u32_e32 v4, 32, v4
	v_subrev_nc_u32_e32 v5, 29, v4
	v_sub_nc_u32_e32 v4, 30, v4
	v_lshlrev_b32_sdwa v5, v5, v9 dst_sel:DWORD dst_unused:UNUSED_PAD src0_sel:DWORD src1_sel:BYTE_3
	v_cndmask_b32_e32 v4, v8, v4, vcc_lo
	v_and_b32_e32 v5, 3, v5
	v_lshl_add_u32 v4, v4, 23, 0x37800000
	v_cndmask_b32_e32 v1, v1, v5, vcc_lo
	v_and_b32_e32 v5, 0x80000000, v9
	v_lshlrev_b32_e32 v1, 21, v1
	v_or3_b32 v1, v5, v4, v1
.LBB4_2276:                             ;   in Loop: Header=BB4_1940 Depth=4
	s_or_b32 exec_lo, exec_lo, s73
	v_mul_f32_e32 v1, s72, v1
	v_mov_b32_e32 v88, 0x8000
	s_mov_b32 s73, exec_lo
	v_and_b32_e32 v4, 0x7f800000, v1
	v_cmpx_ne_u32_e32 0x7f800000, v4
	s_cbranch_execz .LBB4_2284
; %bb.2277:                             ;   in Loop: Header=BB4_1940 Depth=4
	v_mov_b32_e32 v88, 0
	s_mov_b32 s74, exec_lo
	v_cmpx_ne_u32_e32 0, v1
	s_cbranch_execz .LBB4_2283
; %bb.2278:                             ;   in Loop: Header=BB4_1940 Depth=4
	v_bfe_u32 v4, v1, 23, 8
	v_and_b32_e32 v5, 0x7fffff, v1
	v_sub_nc_u32_e32 v8, 0x70, v4
	v_cmp_gt_u32_e32 vcc_lo, 0x71, v4
	v_or_b32_e32 v9, 0x800000, v5
	v_cndmask_b32_e32 v8, 0, v8, vcc_lo
	v_cmp_eq_u32_e32 vcc_lo, 0, v4
	v_add_nc_u32_e32 v4, 0xffffff91, v4
	v_cndmask_b32_e64 v8, v8, 0x6f, vcc_lo
	v_cndmask_b32_e32 v5, v9, v5, vcc_lo
	v_cndmask_b32_e64 v4, v4, 0xffffff92, vcc_lo
	v_lshl_add_u32 v9, 0x200000, v8, -1
	v_lshrrev_b32_e32 v12, v8, v5
	v_lshlrev_b32_e64 v14, v8, 0x100000
	v_add_nc_u32_e32 v8, v8, v4
	v_and_b32_e32 v5, v9, v5
	v_bfe_u32 v13, v12, 21, 1
	v_cmp_eq_u32_e64 s16, v5, v14
	v_add_nc_u32_e32 v9, -1, v13
	v_cndmask_b32_e64 v5, 0, v9, s16
	v_lshrrev_b32_e32 v9, 23, v12
	s_mov_b32 s16, exec_lo
	v_add_nc_u32_e32 v5, v5, v12
	v_xor_b32_e32 v9, 1, v9
	v_and_b32_e32 v4, 0x1fffff, v5
	v_add_nc_u32_e32 v5, v4, v12
                                        ; implicit-def: $vgpr4
	v_cmpx_ne_u32_e64 v8, v9
	s_xor_b32 s16, exec_lo, s16
; %bb.2279:                             ;   in Loop: Header=BB4_1940 Depth=4
	v_cmp_lt_u32_e32 vcc_lo, 0xffffff, v5
	v_sub_nc_u32_e32 v4, v8, v9
	v_cndmask_b32_e64 v8, 0, 1, vcc_lo
	v_add_co_ci_u32_e64 v4, null, 0, v4, vcc_lo
	v_lshrrev_b32_e32 v5, v8, v5
; %bb.2280:                             ;   in Loop: Header=BB4_1940 Depth=4
	s_andn2_saveexec_b32 s16, s16
; %bb.2281:                             ;   in Loop: Header=BB4_1940 Depth=4
	v_bfe_u32 v4, v5, 23, 1
; %bb.2282:                             ;   in Loop: Header=BB4_1940 Depth=4
	s_or_b32 exec_lo, exec_lo, s16
	v_lshrrev_b32_e32 v5, 21, v5
	v_min_i32_e32 v8, 31, v4
	v_cmp_gt_i32_e32 vcc_lo, 32, v4
	v_and_b32_sdwa v1, v1, v101 dst_sel:DWORD dst_unused:UNUSED_PAD src0_sel:BYTE_3 src1_sel:DWORD
	v_lshlrev_b32_e32 v8, 2, v8
	v_cndmask_b32_e32 v5, 3, v5, vcc_lo
	v_and_b32_e32 v8, 0xfc, v8
	v_and_b32_e32 v9, 3, v5
	v_or_b32_e32 v4, v4, v5
	v_or3_b32 v1, v1, v8, v9
	v_cmp_ne_u32_e32 vcc_lo, 0, v4
	v_lshlrev_b32_e32 v1, 8, v1
	v_cndmask_b32_e32 v88, 0, v1, vcc_lo
.LBB4_2283:                             ;   in Loop: Header=BB4_1940 Depth=4
	s_or_b32 exec_lo, exec_lo, s74
.LBB4_2284:                             ;   in Loop: Header=BB4_1940 Depth=4
	s_or_b32 exec_lo, exec_lo, s73
	v_cmp_gt_i16_sdwa s73, v10, v100 src0_sel:BYTE_0 src1_sel:DWORD
	s_mov_b32 s16, 0
	s_and_saveexec_b32 s74, s73
	s_xor_b32 s73, exec_lo, s74
	s_cbranch_execz .LBB4_3082
; %bb.2285:                             ;   in Loop: Header=BB4_1940 Depth=4
	v_cmp_eq_u16_sdwa s75, v10, v101 src0_sel:BYTE_0 src1_sel:DWORD
	s_mov_b32 s16, -1
	s_and_saveexec_b32 s74, s75
; %bb.2286:                             ;   in Loop: Header=BB4_1940 Depth=4
	s_xor_b32 s16, exec_lo, -1
; %bb.2287:                             ;   in Loop: Header=BB4_1940 Depth=4
	s_or_b32 exec_lo, exec_lo, s74
	s_and_b32 s16, s16, exec_lo
	s_or_saveexec_b32 s73, s73
	v_mov_b32_e32 v1, 0x7f800001
	s_xor_b32 exec_lo, exec_lo, s73
	s_cbranch_execnz .LBB4_3083
.LBB4_2288:                             ;   in Loop: Header=BB4_1940 Depth=4
	s_or_b32 exec_lo, exec_lo, s73
	s_and_saveexec_b32 s73, s16
	s_cbranch_execz .LBB4_2290
.LBB4_2289:                             ;   in Loop: Header=BB4_1940 Depth=4
	v_and_b32_e32 v1, 3, v10
	v_bfe_u32 v8, v10, 2, 5
	v_lshlrev_b32_e32 v9, 24, v10
	v_ffbh_u32_e32 v4, v1
	v_cmp_eq_u32_e32 vcc_lo, 0, v8
	v_min_u32_e32 v4, 32, v4
	v_subrev_nc_u32_e32 v5, 29, v4
	v_sub_nc_u32_e32 v4, 30, v4
	v_lshlrev_b32_e32 v5, v5, v10
	v_cndmask_b32_e32 v4, v8, v4, vcc_lo
	v_and_b32_e32 v5, 3, v5
	v_lshl_add_u32 v4, v4, 23, 0x37800000
	v_cndmask_b32_e32 v1, v1, v5, vcc_lo
	v_and_b32_e32 v5, 0x80000000, v9
	v_lshlrev_b32_e32 v1, 21, v1
	v_or3_b32 v1, v5, v4, v1
.LBB4_2290:                             ;   in Loop: Header=BB4_1940 Depth=4
	s_or_b32 exec_lo, exec_lo, s73
	v_mul_f32_e32 v1, s72, v1
	v_mov_b32_e32 v75, 0x80
	s_mov_b32 s73, exec_lo
	v_and_b32_e32 v4, 0x7f800000, v1
	v_cmpx_ne_u32_e32 0x7f800000, v4
	s_cbranch_execz .LBB4_2298
; %bb.2291:                             ;   in Loop: Header=BB4_1940 Depth=4
	v_mov_b32_e32 v75, 0
	s_mov_b32 s74, exec_lo
	v_cmpx_ne_u32_e32 0, v1
	s_cbranch_execz .LBB4_2297
; %bb.2292:                             ;   in Loop: Header=BB4_1940 Depth=4
	v_bfe_u32 v4, v1, 23, 8
	v_and_b32_e32 v5, 0x7fffff, v1
	v_sub_nc_u32_e32 v8, 0x70, v4
	v_cmp_gt_u32_e32 vcc_lo, 0x71, v4
	v_or_b32_e32 v9, 0x800000, v5
	v_cndmask_b32_e32 v8, 0, v8, vcc_lo
	v_cmp_eq_u32_e32 vcc_lo, 0, v4
	v_add_nc_u32_e32 v4, 0xffffff91, v4
	v_cndmask_b32_e64 v8, v8, 0x6f, vcc_lo
	v_cndmask_b32_e32 v5, v9, v5, vcc_lo
	v_cndmask_b32_e64 v4, v4, 0xffffff92, vcc_lo
	v_lshl_add_u32 v9, 0x200000, v8, -1
	v_lshrrev_b32_e32 v12, v8, v5
	v_lshlrev_b32_e64 v14, v8, 0x100000
	v_add_nc_u32_e32 v8, v8, v4
	v_and_b32_e32 v5, v9, v5
	v_bfe_u32 v13, v12, 21, 1
	v_cmp_eq_u32_e64 s16, v5, v14
	v_add_nc_u32_e32 v9, -1, v13
	v_cndmask_b32_e64 v5, 0, v9, s16
	v_lshrrev_b32_e32 v9, 23, v12
	s_mov_b32 s16, exec_lo
	v_add_nc_u32_e32 v5, v5, v12
	v_xor_b32_e32 v9, 1, v9
	v_and_b32_e32 v4, 0x1fffff, v5
	v_add_nc_u32_e32 v5, v4, v12
                                        ; implicit-def: $vgpr4
	v_cmpx_ne_u32_e64 v8, v9
	s_xor_b32 s16, exec_lo, s16
; %bb.2293:                             ;   in Loop: Header=BB4_1940 Depth=4
	v_cmp_lt_u32_e32 vcc_lo, 0xffffff, v5
	v_sub_nc_u32_e32 v4, v8, v9
	v_cndmask_b32_e64 v8, 0, 1, vcc_lo
	v_add_co_ci_u32_e64 v4, null, 0, v4, vcc_lo
	v_lshrrev_b32_e32 v5, v8, v5
; %bb.2294:                             ;   in Loop: Header=BB4_1940 Depth=4
	s_andn2_saveexec_b32 s16, s16
; %bb.2295:                             ;   in Loop: Header=BB4_1940 Depth=4
	v_bfe_u32 v4, v5, 23, 1
; %bb.2296:                             ;   in Loop: Header=BB4_1940 Depth=4
	s_or_b32 exec_lo, exec_lo, s16
	v_lshrrev_b32_e32 v5, 21, v5
	v_min_i32_e32 v8, 31, v4
	v_cmp_gt_i32_e32 vcc_lo, 32, v4
	v_and_b32_sdwa v1, v1, v101 dst_sel:DWORD dst_unused:UNUSED_PAD src0_sel:BYTE_3 src1_sel:DWORD
	v_lshlrev_b32_e32 v8, 2, v8
	v_cndmask_b32_e32 v5, 3, v5, vcc_lo
	v_and_b32_e32 v8, 0xfc, v8
	v_and_b32_e32 v9, 3, v5
	v_or_b32_e32 v4, v4, v5
	v_or3_b32 v1, v8, v1, v9
	v_cmp_ne_u32_e32 vcc_lo, 0, v4
	v_cndmask_b32_e32 v75, 0, v1, vcc_lo
.LBB4_2297:                             ;   in Loop: Header=BB4_1940 Depth=4
	s_or_b32 exec_lo, exec_lo, s74
.LBB4_2298:                             ;   in Loop: Header=BB4_1940 Depth=4
	s_or_b32 exec_lo, exec_lo, s73
	v_cmp_gt_i16_sdwa s73, v10, v100 src0_sel:BYTE_1 src1_sel:DWORD
	s_mov_b32 s16, 0
	s_and_saveexec_b32 s74, s73
	s_xor_b32 s73, exec_lo, s74
	s_cbranch_execz .LBB4_3084
; %bb.2299:                             ;   in Loop: Header=BB4_1940 Depth=4
	v_cmp_eq_u16_sdwa s75, v10, v101 src0_sel:BYTE_1 src1_sel:DWORD
	s_mov_b32 s16, -1
	s_and_saveexec_b32 s74, s75
; %bb.2300:                             ;   in Loop: Header=BB4_1940 Depth=4
	s_xor_b32 s16, exec_lo, -1
; %bb.2301:                             ;   in Loop: Header=BB4_1940 Depth=4
	s_or_b32 exec_lo, exec_lo, s74
	s_and_b32 s16, s16, exec_lo
	s_or_saveexec_b32 s73, s73
	v_mov_b32_e32 v1, 0x7f800001
	s_xor_b32 exec_lo, exec_lo, s73
	s_cbranch_execnz .LBB4_3085
.LBB4_2302:                             ;   in Loop: Header=BB4_1940 Depth=4
	s_or_b32 exec_lo, exec_lo, s73
	s_and_saveexec_b32 s73, s16
	s_cbranch_execz .LBB4_2304
.LBB4_2303:                             ;   in Loop: Header=BB4_1940 Depth=4
	v_and_b32_sdwa v1, v102, v10 dst_sel:DWORD dst_unused:UNUSED_PAD src0_sel:DWORD src1_sel:BYTE_1
	v_and_b32_e32 v4, 3, v1
	v_bfe_u32 v9, v1, 2, 5
	v_ffbh_u32_e32 v5, v4
	v_cmp_eq_u32_e32 vcc_lo, 0, v9
	v_min_u32_e32 v5, 32, v5
	v_subrev_nc_u32_e32 v8, 29, v5
	v_sub_nc_u32_e32 v5, 30, v5
	v_lshlrev_b32_e32 v1, v8, v1
	v_lshlrev_b32_sdwa v8, v103, v10 dst_sel:DWORD dst_unused:UNUSED_PAD src0_sel:DWORD src1_sel:BYTE_1
	v_cndmask_b32_e32 v5, v9, v5, vcc_lo
	v_and_b32_e32 v1, 3, v1
	v_lshl_add_u32 v5, v5, 23, 0x37800000
	v_cndmask_b32_e32 v1, v4, v1, vcc_lo
	v_and_b32_e32 v4, 0x80000000, v8
	v_lshlrev_b32_e32 v1, 21, v1
	v_or3_b32 v1, v4, v5, v1
.LBB4_2304:                             ;   in Loop: Header=BB4_1940 Depth=4
	s_or_b32 exec_lo, exec_lo, s73
	v_mul_f32_e32 v1, s72, v1
	v_mov_b32_e32 v78, 0x8000
	s_mov_b32 s73, exec_lo
	v_and_b32_e32 v4, 0x7f800000, v1
	v_cmpx_ne_u32_e32 0x7f800000, v4
	s_cbranch_execz .LBB4_2312
; %bb.2305:                             ;   in Loop: Header=BB4_1940 Depth=4
	v_mov_b32_e32 v78, 0
	s_mov_b32 s74, exec_lo
	v_cmpx_ne_u32_e32 0, v1
	s_cbranch_execz .LBB4_2311
; %bb.2306:                             ;   in Loop: Header=BB4_1940 Depth=4
	v_bfe_u32 v4, v1, 23, 8
	v_and_b32_e32 v5, 0x7fffff, v1
	v_sub_nc_u32_e32 v8, 0x70, v4
	v_cmp_gt_u32_e32 vcc_lo, 0x71, v4
	v_or_b32_e32 v9, 0x800000, v5
	v_cndmask_b32_e32 v8, 0, v8, vcc_lo
	v_cmp_eq_u32_e32 vcc_lo, 0, v4
	v_add_nc_u32_e32 v4, 0xffffff91, v4
	v_cndmask_b32_e64 v8, v8, 0x6f, vcc_lo
	v_cndmask_b32_e32 v5, v9, v5, vcc_lo
	v_cndmask_b32_e64 v4, v4, 0xffffff92, vcc_lo
	v_lshl_add_u32 v9, 0x200000, v8, -1
	v_lshrrev_b32_e32 v12, v8, v5
	v_lshlrev_b32_e64 v14, v8, 0x100000
	v_add_nc_u32_e32 v8, v8, v4
	v_and_b32_e32 v5, v9, v5
	v_bfe_u32 v13, v12, 21, 1
	v_cmp_eq_u32_e64 s16, v5, v14
	v_add_nc_u32_e32 v9, -1, v13
	v_cndmask_b32_e64 v5, 0, v9, s16
	v_lshrrev_b32_e32 v9, 23, v12
	s_mov_b32 s16, exec_lo
	v_add_nc_u32_e32 v5, v5, v12
	v_xor_b32_e32 v9, 1, v9
	v_and_b32_e32 v4, 0x1fffff, v5
	v_add_nc_u32_e32 v5, v4, v12
                                        ; implicit-def: $vgpr4
	v_cmpx_ne_u32_e64 v8, v9
	s_xor_b32 s16, exec_lo, s16
; %bb.2307:                             ;   in Loop: Header=BB4_1940 Depth=4
	v_cmp_lt_u32_e32 vcc_lo, 0xffffff, v5
	v_sub_nc_u32_e32 v4, v8, v9
	v_cndmask_b32_e64 v8, 0, 1, vcc_lo
	v_add_co_ci_u32_e64 v4, null, 0, v4, vcc_lo
	v_lshrrev_b32_e32 v5, v8, v5
; %bb.2308:                             ;   in Loop: Header=BB4_1940 Depth=4
	s_andn2_saveexec_b32 s16, s16
; %bb.2309:                             ;   in Loop: Header=BB4_1940 Depth=4
	v_bfe_u32 v4, v5, 23, 1
; %bb.2310:                             ;   in Loop: Header=BB4_1940 Depth=4
	s_or_b32 exec_lo, exec_lo, s16
	v_lshrrev_b32_e32 v5, 21, v5
	v_min_i32_e32 v8, 31, v4
	v_cmp_gt_i32_e32 vcc_lo, 32, v4
	v_and_b32_sdwa v1, v1, v101 dst_sel:DWORD dst_unused:UNUSED_PAD src0_sel:BYTE_3 src1_sel:DWORD
	v_lshlrev_b32_e32 v8, 2, v8
	v_cndmask_b32_e32 v5, 3, v5, vcc_lo
	v_and_b32_e32 v8, 0xfc, v8
	v_and_b32_e32 v9, 3, v5
	v_or_b32_e32 v4, v4, v5
	v_or3_b32 v1, v1, v8, v9
	v_cmp_ne_u32_e32 vcc_lo, 0, v4
	v_lshlrev_b32_e32 v1, 8, v1
	v_cndmask_b32_e32 v78, 0, v1, vcc_lo
.LBB4_2311:                             ;   in Loop: Header=BB4_1940 Depth=4
	s_or_b32 exec_lo, exec_lo, s74
.LBB4_2312:                             ;   in Loop: Header=BB4_1940 Depth=4
	s_or_b32 exec_lo, exec_lo, s73
	v_and_b32_sdwa v4, v10, v112 dst_sel:DWORD dst_unused:UNUSED_PAD src0_sel:WORD_1 src1_sel:DWORD
	s_mov_b32 s16, 0
	s_mov_b32 s73, exec_lo
	v_cmpx_lt_i16_e32 0x7f, v4
	s_xor_b32 s73, exec_lo, s73
	s_cbranch_execz .LBB4_3086
; %bb.2313:                             ;   in Loop: Header=BB4_1940 Depth=4
	s_mov_b32 s16, -1
	s_mov_b32 s74, exec_lo
	v_cmpx_eq_u16_e32 0x80, v4
; %bb.2314:                             ;   in Loop: Header=BB4_1940 Depth=4
	s_xor_b32 s16, exec_lo, -1
; %bb.2315:                             ;   in Loop: Header=BB4_1940 Depth=4
	s_or_b32 exec_lo, exec_lo, s74
	s_and_b32 s16, s16, exec_lo
                                        ; implicit-def: $vgpr4
	s_or_saveexec_b32 s73, s73
	v_mov_b32_e32 v1, 0x7f800001
	s_xor_b32 exec_lo, exec_lo, s73
	s_cbranch_execnz .LBB4_3087
.LBB4_2316:                             ;   in Loop: Header=BB4_1940 Depth=4
	s_or_b32 exec_lo, exec_lo, s73
	s_and_saveexec_b32 s73, s16
	s_cbranch_execz .LBB4_2318
.LBB4_2317:                             ;   in Loop: Header=BB4_1940 Depth=4
	v_bfe_u32 v1, v10, 16, 2
	v_bfe_u32 v8, v10, 18, 5
	v_lshlrev_b32_e32 v9, 8, v10
	v_ffbh_u32_e32 v4, v1
	v_cmp_eq_u32_e32 vcc_lo, 0, v8
	v_min_u32_e32 v4, 32, v4
	v_subrev_nc_u32_e32 v5, 29, v4
	v_sub_nc_u32_e32 v4, 30, v4
	v_lshlrev_b32_sdwa v5, v5, v10 dst_sel:DWORD dst_unused:UNUSED_PAD src0_sel:DWORD src1_sel:WORD_1
	v_cndmask_b32_e32 v4, v8, v4, vcc_lo
	v_and_b32_e32 v5, 3, v5
	v_lshl_add_u32 v4, v4, 23, 0x37800000
	v_cndmask_b32_e32 v1, v1, v5, vcc_lo
	v_and_b32_e32 v5, 0x80000000, v9
	v_lshlrev_b32_e32 v1, 21, v1
	v_or3_b32 v1, v5, v4, v1
.LBB4_2318:                             ;   in Loop: Header=BB4_1940 Depth=4
	s_or_b32 exec_lo, exec_lo, s73
	v_mul_f32_e32 v1, s72, v1
	v_mov_b32_e32 v72, 0x80
	s_mov_b32 s73, exec_lo
	v_and_b32_e32 v4, 0x7f800000, v1
	v_cmpx_ne_u32_e32 0x7f800000, v4
	s_cbranch_execz .LBB4_2326
; %bb.2319:                             ;   in Loop: Header=BB4_1940 Depth=4
	v_mov_b32_e32 v72, 0
	s_mov_b32 s74, exec_lo
	v_cmpx_ne_u32_e32 0, v1
	s_cbranch_execz .LBB4_2325
; %bb.2320:                             ;   in Loop: Header=BB4_1940 Depth=4
	v_bfe_u32 v4, v1, 23, 8
	v_and_b32_e32 v5, 0x7fffff, v1
	v_sub_nc_u32_e32 v8, 0x70, v4
	v_cmp_gt_u32_e32 vcc_lo, 0x71, v4
	v_or_b32_e32 v9, 0x800000, v5
	v_cndmask_b32_e32 v8, 0, v8, vcc_lo
	v_cmp_eq_u32_e32 vcc_lo, 0, v4
	v_add_nc_u32_e32 v4, 0xffffff91, v4
	v_cndmask_b32_e64 v8, v8, 0x6f, vcc_lo
	v_cndmask_b32_e32 v5, v9, v5, vcc_lo
	v_cndmask_b32_e64 v4, v4, 0xffffff92, vcc_lo
	v_lshl_add_u32 v9, 0x200000, v8, -1
	v_lshrrev_b32_e32 v12, v8, v5
	v_lshlrev_b32_e64 v14, v8, 0x100000
	v_add_nc_u32_e32 v8, v8, v4
	v_and_b32_e32 v5, v9, v5
	v_bfe_u32 v13, v12, 21, 1
	v_cmp_eq_u32_e64 s16, v5, v14
	v_add_nc_u32_e32 v9, -1, v13
	v_cndmask_b32_e64 v5, 0, v9, s16
	v_lshrrev_b32_e32 v9, 23, v12
	s_mov_b32 s16, exec_lo
	v_add_nc_u32_e32 v5, v5, v12
	v_xor_b32_e32 v9, 1, v9
	v_and_b32_e32 v4, 0x1fffff, v5
	v_add_nc_u32_e32 v5, v4, v12
                                        ; implicit-def: $vgpr4
	v_cmpx_ne_u32_e64 v8, v9
	s_xor_b32 s16, exec_lo, s16
; %bb.2321:                             ;   in Loop: Header=BB4_1940 Depth=4
	v_cmp_lt_u32_e32 vcc_lo, 0xffffff, v5
	v_sub_nc_u32_e32 v4, v8, v9
	v_cndmask_b32_e64 v8, 0, 1, vcc_lo
	v_add_co_ci_u32_e64 v4, null, 0, v4, vcc_lo
	v_lshrrev_b32_e32 v5, v8, v5
; %bb.2322:                             ;   in Loop: Header=BB4_1940 Depth=4
	s_andn2_saveexec_b32 s16, s16
; %bb.2323:                             ;   in Loop: Header=BB4_1940 Depth=4
	v_bfe_u32 v4, v5, 23, 1
; %bb.2324:                             ;   in Loop: Header=BB4_1940 Depth=4
	s_or_b32 exec_lo, exec_lo, s16
	v_lshrrev_b32_e32 v5, 21, v5
	v_min_i32_e32 v8, 31, v4
	v_cmp_gt_i32_e32 vcc_lo, 32, v4
	v_and_b32_sdwa v1, v1, v101 dst_sel:DWORD dst_unused:UNUSED_PAD src0_sel:BYTE_3 src1_sel:DWORD
	v_lshlrev_b32_e32 v8, 2, v8
	v_cndmask_b32_e32 v5, 3, v5, vcc_lo
	v_and_b32_e32 v8, 0xfc, v8
	v_and_b32_e32 v9, 3, v5
	v_or_b32_e32 v4, v4, v5
	v_or3_b32 v1, v8, v1, v9
	v_cmp_ne_u32_e32 vcc_lo, 0, v4
	v_cndmask_b32_e32 v72, 0, v1, vcc_lo
.LBB4_2325:                             ;   in Loop: Header=BB4_1940 Depth=4
	s_or_b32 exec_lo, exec_lo, s74
.LBB4_2326:                             ;   in Loop: Header=BB4_1940 Depth=4
	s_or_b32 exec_lo, exec_lo, s73
	v_cmp_gt_i16_sdwa s73, v10, v100 src0_sel:BYTE_3 src1_sel:DWORD
	s_mov_b32 s16, 0
	s_and_saveexec_b32 s74, s73
	s_xor_b32 s73, exec_lo, s74
	s_cbranch_execz .LBB4_3088
; %bb.2327:                             ;   in Loop: Header=BB4_1940 Depth=4
	v_cmp_eq_u16_sdwa s75, v10, v101 src0_sel:BYTE_3 src1_sel:DWORD
	s_mov_b32 s16, -1
	s_and_saveexec_b32 s74, s75
; %bb.2328:                             ;   in Loop: Header=BB4_1940 Depth=4
	s_xor_b32 s16, exec_lo, -1
; %bb.2329:                             ;   in Loop: Header=BB4_1940 Depth=4
	s_or_b32 exec_lo, exec_lo, s74
	s_and_b32 s16, s16, exec_lo
	s_or_saveexec_b32 s73, s73
	v_mov_b32_e32 v1, 0x7f800001
	s_xor_b32 exec_lo, exec_lo, s73
	s_cbranch_execnz .LBB4_3089
.LBB4_2330:                             ;   in Loop: Header=BB4_1940 Depth=4
	s_or_b32 exec_lo, exec_lo, s73
	s_and_saveexec_b32 s73, s16
	s_cbranch_execz .LBB4_2332
.LBB4_2331:                             ;   in Loop: Header=BB4_1940 Depth=4
	v_bfe_u32 v1, v10, 24, 2
	v_bfe_u32 v8, v10, 26, 5
	v_ffbh_u32_e32 v4, v1
	v_cmp_eq_u32_e32 vcc_lo, 0, v8
	v_min_u32_e32 v4, 32, v4
	v_subrev_nc_u32_e32 v5, 29, v4
	v_sub_nc_u32_e32 v4, 30, v4
	v_lshlrev_b32_sdwa v5, v5, v10 dst_sel:DWORD dst_unused:UNUSED_PAD src0_sel:DWORD src1_sel:BYTE_3
	v_cndmask_b32_e32 v4, v8, v4, vcc_lo
	v_and_b32_e32 v5, 3, v5
	v_lshl_add_u32 v4, v4, 23, 0x37800000
	v_cndmask_b32_e32 v1, v1, v5, vcc_lo
	v_and_b32_e32 v5, 0x80000000, v10
	v_lshlrev_b32_e32 v1, 21, v1
	v_or3_b32 v1, v5, v4, v1
.LBB4_2332:                             ;   in Loop: Header=BB4_1940 Depth=4
	s_or_b32 exec_lo, exec_lo, s73
	v_mul_f32_e32 v1, s72, v1
	v_mov_b32_e32 v76, 0x8000
	s_mov_b32 s73, exec_lo
	v_and_b32_e32 v4, 0x7f800000, v1
	v_cmpx_ne_u32_e32 0x7f800000, v4
	s_cbranch_execz .LBB4_2340
; %bb.2333:                             ;   in Loop: Header=BB4_1940 Depth=4
	v_mov_b32_e32 v76, 0
	s_mov_b32 s74, exec_lo
	v_cmpx_ne_u32_e32 0, v1
	s_cbranch_execz .LBB4_2339
; %bb.2334:                             ;   in Loop: Header=BB4_1940 Depth=4
	v_bfe_u32 v4, v1, 23, 8
	v_and_b32_e32 v5, 0x7fffff, v1
	v_sub_nc_u32_e32 v8, 0x70, v4
	v_cmp_gt_u32_e32 vcc_lo, 0x71, v4
	v_or_b32_e32 v9, 0x800000, v5
	v_cndmask_b32_e32 v8, 0, v8, vcc_lo
	v_cmp_eq_u32_e32 vcc_lo, 0, v4
	v_add_nc_u32_e32 v4, 0xffffff91, v4
	v_cndmask_b32_e64 v8, v8, 0x6f, vcc_lo
	v_cndmask_b32_e32 v5, v9, v5, vcc_lo
	v_cndmask_b32_e64 v4, v4, 0xffffff92, vcc_lo
	v_lshl_add_u32 v9, 0x200000, v8, -1
	v_lshrrev_b32_e32 v10, v8, v5
	v_lshlrev_b32_e64 v13, v8, 0x100000
	v_add_nc_u32_e32 v8, v8, v4
	v_and_b32_e32 v5, v9, v5
	v_bfe_u32 v12, v10, 21, 1
	v_cmp_eq_u32_e64 s16, v5, v13
	v_add_nc_u32_e32 v9, -1, v12
	v_cndmask_b32_e64 v5, 0, v9, s16
	v_lshrrev_b32_e32 v9, 23, v10
	s_mov_b32 s16, exec_lo
	v_add_nc_u32_e32 v5, v5, v10
	v_xor_b32_e32 v9, 1, v9
	v_and_b32_e32 v4, 0x1fffff, v5
	v_add_nc_u32_e32 v5, v4, v10
                                        ; implicit-def: $vgpr4
	v_cmpx_ne_u32_e64 v8, v9
	s_xor_b32 s16, exec_lo, s16
; %bb.2335:                             ;   in Loop: Header=BB4_1940 Depth=4
	v_cmp_lt_u32_e32 vcc_lo, 0xffffff, v5
	v_sub_nc_u32_e32 v4, v8, v9
	v_cndmask_b32_e64 v8, 0, 1, vcc_lo
	v_add_co_ci_u32_e64 v4, null, 0, v4, vcc_lo
	v_lshrrev_b32_e32 v5, v8, v5
; %bb.2336:                             ;   in Loop: Header=BB4_1940 Depth=4
	s_andn2_saveexec_b32 s16, s16
; %bb.2337:                             ;   in Loop: Header=BB4_1940 Depth=4
	v_bfe_u32 v4, v5, 23, 1
; %bb.2338:                             ;   in Loop: Header=BB4_1940 Depth=4
	s_or_b32 exec_lo, exec_lo, s16
	v_lshrrev_b32_e32 v5, 21, v5
	v_min_i32_e32 v8, 31, v4
	v_cmp_gt_i32_e32 vcc_lo, 32, v4
	v_and_b32_sdwa v1, v1, v101 dst_sel:DWORD dst_unused:UNUSED_PAD src0_sel:BYTE_3 src1_sel:DWORD
	v_lshlrev_b32_e32 v8, 2, v8
	v_cndmask_b32_e32 v5, 3, v5, vcc_lo
	v_and_b32_e32 v8, 0xfc, v8
	v_and_b32_e32 v9, 3, v5
	v_or_b32_e32 v4, v4, v5
	v_or3_b32 v1, v1, v8, v9
	v_cmp_ne_u32_e32 vcc_lo, 0, v4
	v_lshlrev_b32_e32 v1, 8, v1
	v_cndmask_b32_e32 v76, 0, v1, vcc_lo
.LBB4_2339:                             ;   in Loop: Header=BB4_1940 Depth=4
	s_or_b32 exec_lo, exec_lo, s74
.LBB4_2340:                             ;   in Loop: Header=BB4_1940 Depth=4
	s_or_b32 exec_lo, exec_lo, s73
	v_cmp_gt_i16_sdwa s73, v11, v100 src0_sel:BYTE_0 src1_sel:DWORD
	s_mov_b32 s16, 0
	s_and_saveexec_b32 s74, s73
	s_xor_b32 s73, exec_lo, s74
	s_cbranch_execz .LBB4_3090
; %bb.2341:                             ;   in Loop: Header=BB4_1940 Depth=4
	v_cmp_eq_u16_sdwa s75, v11, v101 src0_sel:BYTE_0 src1_sel:DWORD
	s_mov_b32 s16, -1
	s_and_saveexec_b32 s74, s75
; %bb.2342:                             ;   in Loop: Header=BB4_1940 Depth=4
	s_xor_b32 s16, exec_lo, -1
; %bb.2343:                             ;   in Loop: Header=BB4_1940 Depth=4
	s_or_b32 exec_lo, exec_lo, s74
	s_and_b32 s16, s16, exec_lo
	s_or_saveexec_b32 s73, s73
	v_mov_b32_e32 v1, 0x7f800001
	s_xor_b32 exec_lo, exec_lo, s73
	s_cbranch_execnz .LBB4_3091
.LBB4_2344:                             ;   in Loop: Header=BB4_1940 Depth=4
	s_or_b32 exec_lo, exec_lo, s73
	s_and_saveexec_b32 s73, s16
	s_cbranch_execz .LBB4_2346
.LBB4_2345:                             ;   in Loop: Header=BB4_1940 Depth=4
	v_and_b32_e32 v1, 3, v11
	v_bfe_u32 v8, v11, 2, 5
	v_lshlrev_b32_e32 v9, 24, v11
	v_ffbh_u32_e32 v4, v1
	v_cmp_eq_u32_e32 vcc_lo, 0, v8
	v_min_u32_e32 v4, 32, v4
	v_subrev_nc_u32_e32 v5, 29, v4
	v_sub_nc_u32_e32 v4, 30, v4
	v_lshlrev_b32_e32 v5, v5, v11
	v_cndmask_b32_e32 v4, v8, v4, vcc_lo
	v_and_b32_e32 v5, 3, v5
	v_lshl_add_u32 v4, v4, 23, 0x37800000
	v_cndmask_b32_e32 v1, v1, v5, vcc_lo
	v_and_b32_e32 v5, 0x80000000, v9
	v_lshlrev_b32_e32 v1, 21, v1
	v_or3_b32 v1, v5, v4, v1
.LBB4_2346:                             ;   in Loop: Header=BB4_1940 Depth=4
	s_or_b32 exec_lo, exec_lo, s73
	v_mul_f32_e32 v1, s72, v1
	v_mov_b32_e32 v62, 0x80
	s_mov_b32 s73, exec_lo
	v_and_b32_e32 v4, 0x7f800000, v1
	v_cmpx_ne_u32_e32 0x7f800000, v4
	s_cbranch_execz .LBB4_2354
; %bb.2347:                             ;   in Loop: Header=BB4_1940 Depth=4
	v_mov_b32_e32 v62, 0
	s_mov_b32 s74, exec_lo
	v_cmpx_ne_u32_e32 0, v1
	s_cbranch_execz .LBB4_2353
; %bb.2348:                             ;   in Loop: Header=BB4_1940 Depth=4
	v_bfe_u32 v4, v1, 23, 8
	v_and_b32_e32 v5, 0x7fffff, v1
	v_sub_nc_u32_e32 v8, 0x70, v4
	v_cmp_gt_u32_e32 vcc_lo, 0x71, v4
	v_or_b32_e32 v9, 0x800000, v5
	v_cndmask_b32_e32 v8, 0, v8, vcc_lo
	v_cmp_eq_u32_e32 vcc_lo, 0, v4
	v_add_nc_u32_e32 v4, 0xffffff91, v4
	v_cndmask_b32_e64 v8, v8, 0x6f, vcc_lo
	v_cndmask_b32_e32 v5, v9, v5, vcc_lo
	v_cndmask_b32_e64 v4, v4, 0xffffff92, vcc_lo
	v_lshl_add_u32 v9, 0x200000, v8, -1
	v_lshrrev_b32_e32 v10, v8, v5
	v_lshlrev_b32_e64 v13, v8, 0x100000
	v_add_nc_u32_e32 v8, v8, v4
	v_and_b32_e32 v5, v9, v5
	v_bfe_u32 v12, v10, 21, 1
	v_cmp_eq_u32_e64 s16, v5, v13
	v_add_nc_u32_e32 v9, -1, v12
	v_cndmask_b32_e64 v5, 0, v9, s16
	v_lshrrev_b32_e32 v9, 23, v10
	s_mov_b32 s16, exec_lo
	v_add_nc_u32_e32 v5, v5, v10
	v_xor_b32_e32 v9, 1, v9
	v_and_b32_e32 v4, 0x1fffff, v5
	v_add_nc_u32_e32 v5, v4, v10
                                        ; implicit-def: $vgpr4
	v_cmpx_ne_u32_e64 v8, v9
	s_xor_b32 s16, exec_lo, s16
; %bb.2349:                             ;   in Loop: Header=BB4_1940 Depth=4
	v_cmp_lt_u32_e32 vcc_lo, 0xffffff, v5
	v_sub_nc_u32_e32 v4, v8, v9
	v_cndmask_b32_e64 v8, 0, 1, vcc_lo
	v_add_co_ci_u32_e64 v4, null, 0, v4, vcc_lo
	v_lshrrev_b32_e32 v5, v8, v5
; %bb.2350:                             ;   in Loop: Header=BB4_1940 Depth=4
	s_andn2_saveexec_b32 s16, s16
; %bb.2351:                             ;   in Loop: Header=BB4_1940 Depth=4
	v_bfe_u32 v4, v5, 23, 1
; %bb.2352:                             ;   in Loop: Header=BB4_1940 Depth=4
	s_or_b32 exec_lo, exec_lo, s16
	v_lshrrev_b32_e32 v5, 21, v5
	v_min_i32_e32 v8, 31, v4
	v_cmp_gt_i32_e32 vcc_lo, 32, v4
	v_and_b32_sdwa v1, v1, v101 dst_sel:DWORD dst_unused:UNUSED_PAD src0_sel:BYTE_3 src1_sel:DWORD
	v_lshlrev_b32_e32 v8, 2, v8
	v_cndmask_b32_e32 v5, 3, v5, vcc_lo
	v_and_b32_e32 v8, 0xfc, v8
	v_and_b32_e32 v9, 3, v5
	v_or_b32_e32 v4, v4, v5
	v_or3_b32 v1, v8, v1, v9
	v_cmp_ne_u32_e32 vcc_lo, 0, v4
	v_cndmask_b32_e32 v62, 0, v1, vcc_lo
.LBB4_2353:                             ;   in Loop: Header=BB4_1940 Depth=4
	s_or_b32 exec_lo, exec_lo, s74
.LBB4_2354:                             ;   in Loop: Header=BB4_1940 Depth=4
	s_or_b32 exec_lo, exec_lo, s73
	v_cmp_gt_i16_sdwa s73, v11, v100 src0_sel:BYTE_1 src1_sel:DWORD
	s_mov_b32 s16, 0
	s_and_saveexec_b32 s74, s73
	s_xor_b32 s73, exec_lo, s74
	s_cbranch_execz .LBB4_3092
; %bb.2355:                             ;   in Loop: Header=BB4_1940 Depth=4
	v_cmp_eq_u16_sdwa s75, v11, v101 src0_sel:BYTE_1 src1_sel:DWORD
	s_mov_b32 s16, -1
	s_and_saveexec_b32 s74, s75
; %bb.2356:                             ;   in Loop: Header=BB4_1940 Depth=4
	s_xor_b32 s16, exec_lo, -1
; %bb.2357:                             ;   in Loop: Header=BB4_1940 Depth=4
	s_or_b32 exec_lo, exec_lo, s74
	s_and_b32 s16, s16, exec_lo
	s_or_saveexec_b32 s73, s73
	v_mov_b32_e32 v1, 0x7f800001
	s_xor_b32 exec_lo, exec_lo, s73
	s_cbranch_execnz .LBB4_3093
.LBB4_2358:                             ;   in Loop: Header=BB4_1940 Depth=4
	s_or_b32 exec_lo, exec_lo, s73
	s_and_saveexec_b32 s73, s16
	s_cbranch_execz .LBB4_2360
.LBB4_2359:                             ;   in Loop: Header=BB4_1940 Depth=4
	v_and_b32_sdwa v1, v102, v11 dst_sel:DWORD dst_unused:UNUSED_PAD src0_sel:DWORD src1_sel:BYTE_1
	v_and_b32_e32 v4, 3, v1
	v_bfe_u32 v9, v1, 2, 5
	v_ffbh_u32_e32 v5, v4
	v_cmp_eq_u32_e32 vcc_lo, 0, v9
	v_min_u32_e32 v5, 32, v5
	v_subrev_nc_u32_e32 v8, 29, v5
	v_sub_nc_u32_e32 v5, 30, v5
	v_lshlrev_b32_e32 v1, v8, v1
	v_lshlrev_b32_sdwa v8, v103, v11 dst_sel:DWORD dst_unused:UNUSED_PAD src0_sel:DWORD src1_sel:BYTE_1
	v_cndmask_b32_e32 v5, v9, v5, vcc_lo
	v_and_b32_e32 v1, 3, v1
	v_lshl_add_u32 v5, v5, 23, 0x37800000
	v_cndmask_b32_e32 v1, v4, v1, vcc_lo
	v_and_b32_e32 v4, 0x80000000, v8
	v_lshlrev_b32_e32 v1, 21, v1
	v_or3_b32 v1, v4, v5, v1
.LBB4_2360:                             ;   in Loop: Header=BB4_1940 Depth=4
	s_or_b32 exec_lo, exec_lo, s73
	v_mul_f32_e32 v1, s72, v1
	v_mov_b32_e32 v73, 0x8000
	s_mov_b32 s73, exec_lo
	v_and_b32_e32 v4, 0x7f800000, v1
	v_cmpx_ne_u32_e32 0x7f800000, v4
	s_cbranch_execz .LBB4_2368
; %bb.2361:                             ;   in Loop: Header=BB4_1940 Depth=4
	v_mov_b32_e32 v73, 0
	s_mov_b32 s74, exec_lo
	v_cmpx_ne_u32_e32 0, v1
	s_cbranch_execz .LBB4_2367
; %bb.2362:                             ;   in Loop: Header=BB4_1940 Depth=4
	v_bfe_u32 v4, v1, 23, 8
	v_and_b32_e32 v5, 0x7fffff, v1
	v_sub_nc_u32_e32 v8, 0x70, v4
	v_cmp_gt_u32_e32 vcc_lo, 0x71, v4
	v_or_b32_e32 v9, 0x800000, v5
	v_cndmask_b32_e32 v8, 0, v8, vcc_lo
	v_cmp_eq_u32_e32 vcc_lo, 0, v4
	v_add_nc_u32_e32 v4, 0xffffff91, v4
	v_cndmask_b32_e64 v8, v8, 0x6f, vcc_lo
	v_cndmask_b32_e32 v5, v9, v5, vcc_lo
	v_cndmask_b32_e64 v4, v4, 0xffffff92, vcc_lo
	v_lshl_add_u32 v9, 0x200000, v8, -1
	v_lshrrev_b32_e32 v10, v8, v5
	v_lshlrev_b32_e64 v13, v8, 0x100000
	v_add_nc_u32_e32 v8, v8, v4
	v_and_b32_e32 v5, v9, v5
	v_bfe_u32 v12, v10, 21, 1
	v_cmp_eq_u32_e64 s16, v5, v13
	v_add_nc_u32_e32 v9, -1, v12
	v_cndmask_b32_e64 v5, 0, v9, s16
	v_lshrrev_b32_e32 v9, 23, v10
	s_mov_b32 s16, exec_lo
	v_add_nc_u32_e32 v5, v5, v10
	v_xor_b32_e32 v9, 1, v9
	v_and_b32_e32 v4, 0x1fffff, v5
	v_add_nc_u32_e32 v5, v4, v10
                                        ; implicit-def: $vgpr4
	v_cmpx_ne_u32_e64 v8, v9
	s_xor_b32 s16, exec_lo, s16
; %bb.2363:                             ;   in Loop: Header=BB4_1940 Depth=4
	v_cmp_lt_u32_e32 vcc_lo, 0xffffff, v5
	v_sub_nc_u32_e32 v4, v8, v9
	v_cndmask_b32_e64 v8, 0, 1, vcc_lo
	v_add_co_ci_u32_e64 v4, null, 0, v4, vcc_lo
	v_lshrrev_b32_e32 v5, v8, v5
; %bb.2364:                             ;   in Loop: Header=BB4_1940 Depth=4
	s_andn2_saveexec_b32 s16, s16
; %bb.2365:                             ;   in Loop: Header=BB4_1940 Depth=4
	v_bfe_u32 v4, v5, 23, 1
; %bb.2366:                             ;   in Loop: Header=BB4_1940 Depth=4
	s_or_b32 exec_lo, exec_lo, s16
	v_lshrrev_b32_e32 v5, 21, v5
	v_min_i32_e32 v8, 31, v4
	v_cmp_gt_i32_e32 vcc_lo, 32, v4
	v_and_b32_sdwa v1, v1, v101 dst_sel:DWORD dst_unused:UNUSED_PAD src0_sel:BYTE_3 src1_sel:DWORD
	v_lshlrev_b32_e32 v8, 2, v8
	v_cndmask_b32_e32 v5, 3, v5, vcc_lo
	v_and_b32_e32 v8, 0xfc, v8
	v_and_b32_e32 v9, 3, v5
	v_or_b32_e32 v4, v4, v5
	v_or3_b32 v1, v1, v8, v9
	v_cmp_ne_u32_e32 vcc_lo, 0, v4
	v_lshlrev_b32_e32 v1, 8, v1
	v_cndmask_b32_e32 v73, 0, v1, vcc_lo
.LBB4_2367:                             ;   in Loop: Header=BB4_1940 Depth=4
	s_or_b32 exec_lo, exec_lo, s74
.LBB4_2368:                             ;   in Loop: Header=BB4_1940 Depth=4
	s_or_b32 exec_lo, exec_lo, s73
	v_and_b32_sdwa v4, v11, v112 dst_sel:DWORD dst_unused:UNUSED_PAD src0_sel:WORD_1 src1_sel:DWORD
	s_mov_b32 s16, 0
	s_mov_b32 s73, exec_lo
	v_cmpx_lt_i16_e32 0x7f, v4
	s_xor_b32 s73, exec_lo, s73
	s_cbranch_execz .LBB4_3094
; %bb.2369:                             ;   in Loop: Header=BB4_1940 Depth=4
	s_mov_b32 s16, -1
	s_mov_b32 s74, exec_lo
	v_cmpx_eq_u16_e32 0x80, v4
; %bb.2370:                             ;   in Loop: Header=BB4_1940 Depth=4
	s_xor_b32 s16, exec_lo, -1
; %bb.2371:                             ;   in Loop: Header=BB4_1940 Depth=4
	s_or_b32 exec_lo, exec_lo, s74
	s_and_b32 s16, s16, exec_lo
                                        ; implicit-def: $vgpr4
	s_or_saveexec_b32 s73, s73
	v_mov_b32_e32 v1, 0x7f800001
	s_xor_b32 exec_lo, exec_lo, s73
	s_cbranch_execnz .LBB4_3095
.LBB4_2372:                             ;   in Loop: Header=BB4_1940 Depth=4
	s_or_b32 exec_lo, exec_lo, s73
	s_and_saveexec_b32 s73, s16
	s_cbranch_execz .LBB4_2374
.LBB4_2373:                             ;   in Loop: Header=BB4_1940 Depth=4
	v_bfe_u32 v1, v11, 16, 2
	v_bfe_u32 v8, v11, 18, 5
	v_lshlrev_b32_e32 v9, 8, v11
	v_ffbh_u32_e32 v4, v1
	v_cmp_eq_u32_e32 vcc_lo, 0, v8
	v_min_u32_e32 v4, 32, v4
	v_subrev_nc_u32_e32 v5, 29, v4
	v_sub_nc_u32_e32 v4, 30, v4
	v_lshlrev_b32_sdwa v5, v5, v11 dst_sel:DWORD dst_unused:UNUSED_PAD src0_sel:DWORD src1_sel:WORD_1
	v_cndmask_b32_e32 v4, v8, v4, vcc_lo
	v_and_b32_e32 v5, 3, v5
	v_lshl_add_u32 v4, v4, 23, 0x37800000
	v_cndmask_b32_e32 v1, v1, v5, vcc_lo
	v_and_b32_e32 v5, 0x80000000, v9
	v_lshlrev_b32_e32 v1, 21, v1
	v_or3_b32 v1, v5, v4, v1
.LBB4_2374:                             ;   in Loop: Header=BB4_1940 Depth=4
	s_or_b32 exec_lo, exec_lo, s73
	v_mul_f32_e32 v1, s72, v1
	v_mov_b32_e32 v60, 0x80
	s_mov_b32 s73, exec_lo
	v_and_b32_e32 v4, 0x7f800000, v1
	v_cmpx_ne_u32_e32 0x7f800000, v4
	s_cbranch_execz .LBB4_2382
; %bb.2375:                             ;   in Loop: Header=BB4_1940 Depth=4
	v_mov_b32_e32 v60, 0
	s_mov_b32 s74, exec_lo
	v_cmpx_ne_u32_e32 0, v1
	s_cbranch_execz .LBB4_2381
; %bb.2376:                             ;   in Loop: Header=BB4_1940 Depth=4
	v_bfe_u32 v4, v1, 23, 8
	v_and_b32_e32 v5, 0x7fffff, v1
	v_sub_nc_u32_e32 v8, 0x70, v4
	v_cmp_gt_u32_e32 vcc_lo, 0x71, v4
	v_or_b32_e32 v9, 0x800000, v5
	v_cndmask_b32_e32 v8, 0, v8, vcc_lo
	v_cmp_eq_u32_e32 vcc_lo, 0, v4
	v_add_nc_u32_e32 v4, 0xffffff91, v4
	v_cndmask_b32_e64 v8, v8, 0x6f, vcc_lo
	v_cndmask_b32_e32 v5, v9, v5, vcc_lo
	v_cndmask_b32_e64 v4, v4, 0xffffff92, vcc_lo
	v_lshl_add_u32 v9, 0x200000, v8, -1
	v_lshrrev_b32_e32 v10, v8, v5
	v_lshlrev_b32_e64 v13, v8, 0x100000
	v_add_nc_u32_e32 v8, v8, v4
	v_and_b32_e32 v5, v9, v5
	v_bfe_u32 v12, v10, 21, 1
	v_cmp_eq_u32_e64 s16, v5, v13
	v_add_nc_u32_e32 v9, -1, v12
	v_cndmask_b32_e64 v5, 0, v9, s16
	v_lshrrev_b32_e32 v9, 23, v10
	s_mov_b32 s16, exec_lo
	v_add_nc_u32_e32 v5, v5, v10
	v_xor_b32_e32 v9, 1, v9
	v_and_b32_e32 v4, 0x1fffff, v5
	v_add_nc_u32_e32 v5, v4, v10
                                        ; implicit-def: $vgpr4
	v_cmpx_ne_u32_e64 v8, v9
	s_xor_b32 s16, exec_lo, s16
; %bb.2377:                             ;   in Loop: Header=BB4_1940 Depth=4
	v_cmp_lt_u32_e32 vcc_lo, 0xffffff, v5
	v_sub_nc_u32_e32 v4, v8, v9
	v_cndmask_b32_e64 v8, 0, 1, vcc_lo
	v_add_co_ci_u32_e64 v4, null, 0, v4, vcc_lo
	v_lshrrev_b32_e32 v5, v8, v5
; %bb.2378:                             ;   in Loop: Header=BB4_1940 Depth=4
	s_andn2_saveexec_b32 s16, s16
; %bb.2379:                             ;   in Loop: Header=BB4_1940 Depth=4
	v_bfe_u32 v4, v5, 23, 1
; %bb.2380:                             ;   in Loop: Header=BB4_1940 Depth=4
	s_or_b32 exec_lo, exec_lo, s16
	v_lshrrev_b32_e32 v5, 21, v5
	v_min_i32_e32 v8, 31, v4
	v_cmp_gt_i32_e32 vcc_lo, 32, v4
	v_and_b32_sdwa v1, v1, v101 dst_sel:DWORD dst_unused:UNUSED_PAD src0_sel:BYTE_3 src1_sel:DWORD
	v_lshlrev_b32_e32 v8, 2, v8
	v_cndmask_b32_e32 v5, 3, v5, vcc_lo
	v_and_b32_e32 v8, 0xfc, v8
	v_and_b32_e32 v9, 3, v5
	v_or_b32_e32 v4, v4, v5
	v_or3_b32 v1, v8, v1, v9
	v_cmp_ne_u32_e32 vcc_lo, 0, v4
	v_cndmask_b32_e32 v60, 0, v1, vcc_lo
.LBB4_2381:                             ;   in Loop: Header=BB4_1940 Depth=4
	s_or_b32 exec_lo, exec_lo, s74
.LBB4_2382:                             ;   in Loop: Header=BB4_1940 Depth=4
	s_or_b32 exec_lo, exec_lo, s73
	v_cmp_gt_i16_sdwa s73, v11, v100 src0_sel:BYTE_3 src1_sel:DWORD
	s_mov_b32 s16, 0
	s_and_saveexec_b32 s74, s73
	s_xor_b32 s73, exec_lo, s74
	s_cbranch_execz .LBB4_3096
; %bb.2383:                             ;   in Loop: Header=BB4_1940 Depth=4
	v_cmp_eq_u16_sdwa s75, v11, v101 src0_sel:BYTE_3 src1_sel:DWORD
	s_mov_b32 s16, -1
	s_and_saveexec_b32 s74, s75
; %bb.2384:                             ;   in Loop: Header=BB4_1940 Depth=4
	s_xor_b32 s16, exec_lo, -1
; %bb.2385:                             ;   in Loop: Header=BB4_1940 Depth=4
	s_or_b32 exec_lo, exec_lo, s74
	s_and_b32 s16, s16, exec_lo
	s_or_saveexec_b32 s73, s73
	v_mov_b32_e32 v1, 0x7f800001
	s_xor_b32 exec_lo, exec_lo, s73
	s_cbranch_execnz .LBB4_3097
.LBB4_2386:                             ;   in Loop: Header=BB4_1940 Depth=4
	s_or_b32 exec_lo, exec_lo, s73
	s_and_saveexec_b32 s73, s16
	s_cbranch_execz .LBB4_2388
.LBB4_2387:                             ;   in Loop: Header=BB4_1940 Depth=4
	v_bfe_u32 v1, v11, 24, 2
	v_bfe_u32 v8, v11, 26, 5
	v_ffbh_u32_e32 v4, v1
	v_cmp_eq_u32_e32 vcc_lo, 0, v8
	v_min_u32_e32 v4, 32, v4
	v_subrev_nc_u32_e32 v5, 29, v4
	v_sub_nc_u32_e32 v4, 30, v4
	v_lshlrev_b32_sdwa v5, v5, v11 dst_sel:DWORD dst_unused:UNUSED_PAD src0_sel:DWORD src1_sel:BYTE_3
	v_cndmask_b32_e32 v4, v8, v4, vcc_lo
	v_and_b32_e32 v5, 3, v5
	v_lshl_add_u32 v4, v4, 23, 0x37800000
	v_cndmask_b32_e32 v1, v1, v5, vcc_lo
	v_and_b32_e32 v5, 0x80000000, v11
	v_lshlrev_b32_e32 v1, 21, v1
	v_or3_b32 v1, v5, v4, v1
.LBB4_2388:                             ;   in Loop: Header=BB4_1940 Depth=4
	s_or_b32 exec_lo, exec_lo, s73
	v_mul_f32_e32 v1, s72, v1
	v_mov_b32_e32 v63, 0x8000
	s_mov_b32 s72, exec_lo
	v_and_b32_e32 v4, 0x7f800000, v1
	v_cmpx_ne_u32_e32 0x7f800000, v4
	s_cbranch_execz .LBB4_2396
; %bb.2389:                             ;   in Loop: Header=BB4_1940 Depth=4
	v_mov_b32_e32 v63, 0
	s_mov_b32 s73, exec_lo
	v_cmpx_ne_u32_e32 0, v1
	s_cbranch_execz .LBB4_2395
; %bb.2390:                             ;   in Loop: Header=BB4_1940 Depth=4
	v_bfe_u32 v4, v1, 23, 8
	v_and_b32_e32 v5, 0x7fffff, v1
	v_sub_nc_u32_e32 v8, 0x70, v4
	v_cmp_gt_u32_e32 vcc_lo, 0x71, v4
	v_or_b32_e32 v9, 0x800000, v5
	v_cndmask_b32_e32 v8, 0, v8, vcc_lo
	v_cmp_eq_u32_e32 vcc_lo, 0, v4
	v_add_nc_u32_e32 v4, 0xffffff91, v4
	v_cndmask_b32_e64 v8, v8, 0x6f, vcc_lo
	v_cndmask_b32_e32 v5, v9, v5, vcc_lo
	v_cndmask_b32_e64 v4, v4, 0xffffff92, vcc_lo
	v_lshl_add_u32 v9, 0x200000, v8, -1
	v_lshrrev_b32_e32 v10, v8, v5
	v_lshlrev_b32_e64 v12, v8, 0x100000
	v_add_nc_u32_e32 v8, v8, v4
	v_and_b32_e32 v5, v9, v5
	v_bfe_u32 v11, v10, 21, 1
	v_cmp_eq_u32_e64 s16, v5, v12
	v_add_nc_u32_e32 v9, -1, v11
	v_cndmask_b32_e64 v5, 0, v9, s16
	v_lshrrev_b32_e32 v9, 23, v10
	s_mov_b32 s16, exec_lo
	v_add_nc_u32_e32 v5, v5, v10
	v_xor_b32_e32 v9, 1, v9
	v_and_b32_e32 v4, 0x1fffff, v5
	v_add_nc_u32_e32 v5, v4, v10
                                        ; implicit-def: $vgpr4
	v_cmpx_ne_u32_e64 v8, v9
	s_xor_b32 s16, exec_lo, s16
; %bb.2391:                             ;   in Loop: Header=BB4_1940 Depth=4
	v_cmp_lt_u32_e32 vcc_lo, 0xffffff, v5
	v_sub_nc_u32_e32 v4, v8, v9
	v_cndmask_b32_e64 v8, 0, 1, vcc_lo
	v_add_co_ci_u32_e64 v4, null, 0, v4, vcc_lo
	v_lshrrev_b32_e32 v5, v8, v5
; %bb.2392:                             ;   in Loop: Header=BB4_1940 Depth=4
	s_andn2_saveexec_b32 s16, s16
; %bb.2393:                             ;   in Loop: Header=BB4_1940 Depth=4
	v_bfe_u32 v4, v5, 23, 1
; %bb.2394:                             ;   in Loop: Header=BB4_1940 Depth=4
	s_or_b32 exec_lo, exec_lo, s16
	v_lshrrev_b32_e32 v5, 21, v5
	v_min_i32_e32 v8, 31, v4
	v_cmp_gt_i32_e32 vcc_lo, 32, v4
	v_and_b32_sdwa v1, v1, v101 dst_sel:DWORD dst_unused:UNUSED_PAD src0_sel:BYTE_3 src1_sel:DWORD
	v_lshlrev_b32_e32 v8, 2, v8
	v_cndmask_b32_e32 v5, 3, v5, vcc_lo
	v_and_b32_e32 v8, 0xfc, v8
	v_and_b32_e32 v9, 3, v5
	v_or_b32_e32 v4, v4, v5
	v_or3_b32 v1, v1, v8, v9
	v_cmp_ne_u32_e32 vcc_lo, 0, v4
	v_lshlrev_b32_e32 v1, 8, v1
	v_cndmask_b32_e32 v63, 0, v1, vcc_lo
.LBB4_2395:                             ;   in Loop: Header=BB4_1940 Depth=4
	s_or_b32 exec_lo, exec_lo, s73
.LBB4_2396:                             ;   in Loop: Header=BB4_1940 Depth=4
	s_or_b32 exec_lo, exec_lo, s72
	s_clause 0x1
	global_load_dwordx4 v[12:15], v[80:81], off slc
	global_load_dwordx4 v[8:11], v[80:81], off offset:512 slc
	v_or_b32_e32 v1, v20, v61
	s_mov_b32 s72, 0
	v_cmp_gt_i16_sdwa s16, v1, v100 src0_sel:BYTE_0 src1_sel:DWORD
	s_and_saveexec_b32 s73, s16
	s_xor_b32 s16, exec_lo, s73
	s_cbranch_execz .LBB4_3098
; %bb.2397:                             ;   in Loop: Header=BB4_1940 Depth=4
	v_cmp_eq_u16_sdwa s74, v1, v101 src0_sel:BYTE_0 src1_sel:DWORD
	s_mov_b32 s72, -1
	s_and_saveexec_b32 s73, s74
; %bb.2398:                             ;   in Loop: Header=BB4_1940 Depth=4
	s_xor_b32 s72, exec_lo, -1
; %bb.2399:                             ;   in Loop: Header=BB4_1940 Depth=4
	s_or_b32 exec_lo, exec_lo, s73
	s_and_b32 s72, s72, exec_lo
	s_or_saveexec_b32 s16, s16
	v_mov_b32_e32 v4, 0x7f800001
	s_xor_b32 exec_lo, exec_lo, s16
	s_cbranch_execnz .LBB4_3099
.LBB4_2400:                             ;   in Loop: Header=BB4_1940 Depth=4
	s_or_b32 exec_lo, exec_lo, s16
	s_and_saveexec_b32 s16, s72
	s_cbranch_execz .LBB4_2402
.LBB4_2401:                             ;   in Loop: Header=BB4_1940 Depth=4
	v_and_b32_e32 v4, 3, v1
	v_bfe_u32 v5, v1, 2, 5
	v_ffbh_u32_e32 v16, v4
	v_cmp_eq_u32_e32 vcc_lo, 0, v5
	v_min_u32_e32 v16, 32, v16
	v_subrev_nc_u32_e32 v17, 29, v16
	v_sub_nc_u32_e32 v16, 30, v16
	v_lshlrev_b32_e32 v17, v17, v1
	v_cndmask_b32_e32 v5, v5, v16, vcc_lo
	v_lshlrev_b32_e32 v16, 24, v1
	v_and_b32_e32 v17, 3, v17
	v_lshl_add_u32 v5, v5, 23, 0x37800000
	v_and_b32_e32 v16, 0x80000000, v16
	v_cndmask_b32_e32 v4, v4, v17, vcc_lo
	v_lshlrev_b32_e32 v4, 21, v4
	v_or3_b32 v4, v16, v5, v4
.LBB4_2402:                             ;   in Loop: Header=BB4_1940 Depth=4
	s_or_b32 exec_lo, exec_lo, s16
	s_waitcnt vmcnt(1)
	v_cmp_gt_i16_sdwa s16, v12, v100 src0_sel:BYTE_0 src1_sel:DWORD
	s_mov_b32 s72, 0
	s_and_saveexec_b32 s73, s16
	s_xor_b32 s16, exec_lo, s73
	s_cbranch_execz .LBB4_3100
; %bb.2403:                             ;   in Loop: Header=BB4_1940 Depth=4
	v_cmp_eq_u16_sdwa s74, v12, v101 src0_sel:BYTE_0 src1_sel:DWORD
	s_mov_b32 s72, -1
	s_and_saveexec_b32 s73, s74
; %bb.2404:                             ;   in Loop: Header=BB4_1940 Depth=4
	s_xor_b32 s72, exec_lo, -1
; %bb.2405:                             ;   in Loop: Header=BB4_1940 Depth=4
	s_or_b32 exec_lo, exec_lo, s73
	s_and_b32 s72, s72, exec_lo
	s_or_saveexec_b32 s16, s16
	v_mov_b32_e32 v5, 0x7f800001
	s_xor_b32 exec_lo, exec_lo, s16
	s_cbranch_execnz .LBB4_3101
.LBB4_2406:                             ;   in Loop: Header=BB4_1940 Depth=4
	s_or_b32 exec_lo, exec_lo, s16
	s_and_saveexec_b32 s16, s72
	s_cbranch_execz .LBB4_2408
.LBB4_2407:                             ;   in Loop: Header=BB4_1940 Depth=4
	v_and_b32_e32 v5, 3, v12
	v_bfe_u32 v16, v12, 2, 5
	v_ffbh_u32_e32 v17, v5
	v_cmp_eq_u32_e32 vcc_lo, 0, v16
	v_min_u32_e32 v17, 32, v17
	v_subrev_nc_u32_e32 v20, 29, v17
	v_sub_nc_u32_e32 v17, 30, v17
	v_lshlrev_b32_e32 v20, v20, v12
	v_cndmask_b32_e32 v16, v16, v17, vcc_lo
	v_lshlrev_b32_e32 v17, 24, v12
	v_and_b32_e32 v20, 3, v20
	v_lshl_add_u32 v16, v16, 23, 0x37800000
	v_and_b32_e32 v17, 0x80000000, v17
	v_cndmask_b32_e32 v5, v5, v20, vcc_lo
	v_lshlrev_b32_e32 v5, 21, v5
	v_or3_b32 v5, v17, v16, v5
.LBB4_2408:                             ;   in Loop: Header=BB4_1940 Depth=4
	s_or_b32 exec_lo, exec_lo, s16
	v_add_f32_e32 v4, v4, v5
	v_mov_b32_e32 v61, 0x80
	s_mov_b32 s72, exec_lo
	v_and_b32_e32 v5, 0x7f800000, v4
	v_cmpx_ne_u32_e32 0x7f800000, v5
	s_cbranch_execz .LBB4_2416
; %bb.2409:                             ;   in Loop: Header=BB4_1940 Depth=4
	v_mov_b32_e32 v61, 0
	s_mov_b32 s73, exec_lo
	v_cmpx_ne_u32_e32 0, v4
	s_cbranch_execz .LBB4_2415
; %bb.2410:                             ;   in Loop: Header=BB4_1940 Depth=4
	v_bfe_u32 v16, v4, 23, 8
	v_and_b32_e32 v5, 0x7fffff, v4
	v_cmp_gt_u32_e64 s16, 0x71, v16
	v_sub_nc_u32_e32 v17, 0x70, v16
	v_cmp_eq_u32_e32 vcc_lo, 0, v16
	v_or_b32_e32 v20, 0x800000, v5
	v_cndmask_b32_e64 v17, 0, v17, s16
	v_cndmask_b32_e32 v5, v20, v5, vcc_lo
	v_cndmask_b32_e64 v17, v17, 0x6f, vcc_lo
	v_lshl_add_u32 v20, 0x200000, v17, -1
	v_lshlrev_b32_e64 v21, v17, 0x100000
	v_and_b32_e32 v20, v20, v5
	v_cmp_eq_u32_e64 s16, v20, v21
	v_lshrrev_b32_e32 v20, v17, v5
	v_add_nc_u32_e32 v5, 0xffffff91, v16
	v_lshrrev_b32_e32 v16, 23, v20
	v_cndmask_b32_e64 v5, v5, 0xffffff92, vcc_lo
	v_xor_b32_e32 v16, 1, v16
	v_add_nc_u32_e32 v5, v17, v5
	v_bfe_u32 v17, v20, 21, 1
	v_add_nc_u32_e32 v17, -1, v17
	v_cndmask_b32_e64 v17, 0, v17, s16
	s_mov_b32 s16, exec_lo
	v_add_nc_u32_e32 v17, v17, v20
	v_and_b32_e32 v17, 0x1fffff, v17
	v_add_nc_u32_e32 v17, v17, v20
                                        ; implicit-def: $vgpr20
	v_cmpx_ne_u32_e64 v5, v16
	s_xor_b32 s16, exec_lo, s16
; %bb.2411:                             ;   in Loop: Header=BB4_1940 Depth=4
	v_cmp_lt_u32_e32 vcc_lo, 0xffffff, v17
	v_sub_nc_u32_e32 v5, v5, v16
	v_cndmask_b32_e64 v16, 0, 1, vcc_lo
	v_add_co_ci_u32_e64 v20, null, 0, v5, vcc_lo
	v_lshrrev_b32_e32 v17, v16, v17
; %bb.2412:                             ;   in Loop: Header=BB4_1940 Depth=4
	s_andn2_saveexec_b32 s16, s16
; %bb.2413:                             ;   in Loop: Header=BB4_1940 Depth=4
	v_bfe_u32 v20, v17, 23, 1
; %bb.2414:                             ;   in Loop: Header=BB4_1940 Depth=4
	s_or_b32 exec_lo, exec_lo, s16
	v_lshrrev_b32_e32 v5, 21, v17
	v_min_i32_e32 v16, 31, v20
	v_cmp_gt_i32_e32 vcc_lo, 32, v20
	v_and_b32_sdwa v4, v4, v101 dst_sel:DWORD dst_unused:UNUSED_PAD src0_sel:BYTE_3 src1_sel:DWORD
	v_lshlrev_b32_e32 v16, 2, v16
	v_cndmask_b32_e32 v5, 3, v5, vcc_lo
	v_and_b32_e32 v16, 0xfc, v16
	v_or_b32_e32 v17, v20, v5
	v_and_b32_e32 v5, 3, v5
	v_cmp_ne_u32_e32 vcc_lo, 0, v17
	v_or3_b32 v4, v16, v4, v5
	v_cndmask_b32_e32 v61, 0, v4, vcc_lo
.LBB4_2415:                             ;   in Loop: Header=BB4_1940 Depth=4
	s_or_b32 exec_lo, exec_lo, s73
.LBB4_2416:                             ;   in Loop: Header=BB4_1940 Depth=4
	s_or_b32 exec_lo, exec_lo, s72
	v_cmp_gt_i16_sdwa s16, v1, v100 src0_sel:BYTE_1 src1_sel:DWORD
	s_mov_b32 s72, 0
	s_and_saveexec_b32 s73, s16
	s_xor_b32 s16, exec_lo, s73
	s_cbranch_execz .LBB4_3102
; %bb.2417:                             ;   in Loop: Header=BB4_1940 Depth=4
	v_cmp_eq_u16_sdwa s74, v1, v101 src0_sel:BYTE_1 src1_sel:DWORD
	s_mov_b32 s72, -1
	s_and_saveexec_b32 s73, s74
; %bb.2418:                             ;   in Loop: Header=BB4_1940 Depth=4
	s_xor_b32 s72, exec_lo, -1
; %bb.2419:                             ;   in Loop: Header=BB4_1940 Depth=4
	s_or_b32 exec_lo, exec_lo, s73
	s_and_b32 s72, s72, exec_lo
	s_or_saveexec_b32 s16, s16
	v_mov_b32_e32 v4, 0x7f800001
	s_xor_b32 exec_lo, exec_lo, s16
	s_cbranch_execnz .LBB4_3103
.LBB4_2420:                             ;   in Loop: Header=BB4_1940 Depth=4
	s_or_b32 exec_lo, exec_lo, s16
	s_and_saveexec_b32 s16, s72
	s_cbranch_execz .LBB4_2422
.LBB4_2421:                             ;   in Loop: Header=BB4_1940 Depth=4
	v_and_b32_sdwa v4, v102, v1 dst_sel:DWORD dst_unused:UNUSED_PAD src0_sel:DWORD src1_sel:BYTE_1
	v_and_b32_e32 v5, 3, v4
	v_bfe_u32 v20, v4, 2, 5
	v_ffbh_u32_e32 v16, v5
	v_cmp_eq_u32_e32 vcc_lo, 0, v20
	v_min_u32_e32 v16, 32, v16
	v_subrev_nc_u32_e32 v17, 29, v16
	v_sub_nc_u32_e32 v16, 30, v16
	v_lshlrev_b32_e32 v4, v17, v4
	v_lshlrev_b32_sdwa v17, v103, v1 dst_sel:DWORD dst_unused:UNUSED_PAD src0_sel:DWORD src1_sel:BYTE_1
	v_cndmask_b32_e32 v16, v20, v16, vcc_lo
	v_and_b32_e32 v4, 3, v4
	v_lshl_add_u32 v16, v16, 23, 0x37800000
	v_cndmask_b32_e32 v4, v5, v4, vcc_lo
	v_and_b32_e32 v5, 0x80000000, v17
	v_lshlrev_b32_e32 v4, 21, v4
	v_or3_b32 v4, v5, v16, v4
.LBB4_2422:                             ;   in Loop: Header=BB4_1940 Depth=4
	s_or_b32 exec_lo, exec_lo, s16
	v_cmp_gt_i16_sdwa s16, v12, v100 src0_sel:BYTE_1 src1_sel:DWORD
	s_mov_b32 s72, 0
	s_and_saveexec_b32 s73, s16
	s_xor_b32 s16, exec_lo, s73
	s_cbranch_execz .LBB4_3104
; %bb.2423:                             ;   in Loop: Header=BB4_1940 Depth=4
	v_cmp_eq_u16_sdwa s74, v12, v101 src0_sel:BYTE_1 src1_sel:DWORD
	s_mov_b32 s72, -1
	s_and_saveexec_b32 s73, s74
; %bb.2424:                             ;   in Loop: Header=BB4_1940 Depth=4
	s_xor_b32 s72, exec_lo, -1
; %bb.2425:                             ;   in Loop: Header=BB4_1940 Depth=4
	s_or_b32 exec_lo, exec_lo, s73
	s_and_b32 s72, s72, exec_lo
	s_or_saveexec_b32 s16, s16
	v_mov_b32_e32 v5, 0x7f800001
	s_xor_b32 exec_lo, exec_lo, s16
	s_cbranch_execnz .LBB4_3105
.LBB4_2426:                             ;   in Loop: Header=BB4_1940 Depth=4
	s_or_b32 exec_lo, exec_lo, s16
	s_and_saveexec_b32 s16, s72
	s_cbranch_execz .LBB4_2428
.LBB4_2427:                             ;   in Loop: Header=BB4_1940 Depth=4
	v_and_b32_sdwa v5, v102, v12 dst_sel:DWORD dst_unused:UNUSED_PAD src0_sel:DWORD src1_sel:BYTE_1
	v_and_b32_e32 v16, 3, v5
	v_bfe_u32 v21, v5, 2, 5
	v_ffbh_u32_e32 v17, v16
	v_cmp_eq_u32_e32 vcc_lo, 0, v21
	v_min_u32_e32 v17, 32, v17
	v_subrev_nc_u32_e32 v20, 29, v17
	v_sub_nc_u32_e32 v17, 30, v17
	v_lshlrev_b32_e32 v5, v20, v5
	v_lshlrev_b32_sdwa v20, v103, v12 dst_sel:DWORD dst_unused:UNUSED_PAD src0_sel:DWORD src1_sel:BYTE_1
	v_cndmask_b32_e32 v17, v21, v17, vcc_lo
	v_and_b32_e32 v5, 3, v5
	v_lshl_add_u32 v17, v17, 23, 0x37800000
	v_cndmask_b32_e32 v5, v16, v5, vcc_lo
	v_and_b32_e32 v16, 0x80000000, v20
	v_lshlrev_b32_e32 v5, 21, v5
	v_or3_b32 v5, v16, v17, v5
.LBB4_2428:                             ;   in Loop: Header=BB4_1940 Depth=4
	s_or_b32 exec_lo, exec_lo, s16
	v_add_f32_e32 v4, v4, v5
	v_mov_b32_e32 v74, 0x8000
	s_mov_b32 s72, exec_lo
	v_and_b32_e32 v5, 0x7f800000, v4
	v_cmpx_ne_u32_e32 0x7f800000, v5
	s_cbranch_execz .LBB4_2436
; %bb.2429:                             ;   in Loop: Header=BB4_1940 Depth=4
	v_mov_b32_e32 v74, 0
	s_mov_b32 s73, exec_lo
	v_cmpx_ne_u32_e32 0, v4
	s_cbranch_execz .LBB4_2435
; %bb.2430:                             ;   in Loop: Header=BB4_1940 Depth=4
	v_bfe_u32 v16, v4, 23, 8
	v_and_b32_e32 v5, 0x7fffff, v4
	v_cmp_gt_u32_e64 s16, 0x71, v16
	v_sub_nc_u32_e32 v17, 0x70, v16
	v_cmp_eq_u32_e32 vcc_lo, 0, v16
	v_or_b32_e32 v20, 0x800000, v5
	v_cndmask_b32_e64 v17, 0, v17, s16
	v_cndmask_b32_e32 v5, v20, v5, vcc_lo
	v_cndmask_b32_e64 v17, v17, 0x6f, vcc_lo
	v_lshl_add_u32 v20, 0x200000, v17, -1
	v_lshlrev_b32_e64 v21, v17, 0x100000
	v_and_b32_e32 v20, v20, v5
	v_cmp_eq_u32_e64 s16, v20, v21
	v_lshrrev_b32_e32 v20, v17, v5
	v_add_nc_u32_e32 v5, 0xffffff91, v16
	v_lshrrev_b32_e32 v16, 23, v20
	v_cndmask_b32_e64 v5, v5, 0xffffff92, vcc_lo
	v_xor_b32_e32 v16, 1, v16
	v_add_nc_u32_e32 v5, v17, v5
	v_bfe_u32 v17, v20, 21, 1
	v_add_nc_u32_e32 v17, -1, v17
	v_cndmask_b32_e64 v17, 0, v17, s16
	s_mov_b32 s16, exec_lo
	v_add_nc_u32_e32 v17, v17, v20
	v_and_b32_e32 v17, 0x1fffff, v17
	v_add_nc_u32_e32 v17, v17, v20
                                        ; implicit-def: $vgpr20
	v_cmpx_ne_u32_e64 v5, v16
	s_xor_b32 s16, exec_lo, s16
; %bb.2431:                             ;   in Loop: Header=BB4_1940 Depth=4
	v_cmp_lt_u32_e32 vcc_lo, 0xffffff, v17
	v_sub_nc_u32_e32 v5, v5, v16
	v_cndmask_b32_e64 v16, 0, 1, vcc_lo
	v_add_co_ci_u32_e64 v20, null, 0, v5, vcc_lo
	v_lshrrev_b32_e32 v17, v16, v17
; %bb.2432:                             ;   in Loop: Header=BB4_1940 Depth=4
	s_andn2_saveexec_b32 s16, s16
; %bb.2433:                             ;   in Loop: Header=BB4_1940 Depth=4
	v_bfe_u32 v20, v17, 23, 1
; %bb.2434:                             ;   in Loop: Header=BB4_1940 Depth=4
	s_or_b32 exec_lo, exec_lo, s16
	v_lshrrev_b32_e32 v5, 21, v17
	v_min_i32_e32 v16, 31, v20
	v_cmp_gt_i32_e32 vcc_lo, 32, v20
	v_and_b32_sdwa v4, v4, v101 dst_sel:DWORD dst_unused:UNUSED_PAD src0_sel:BYTE_3 src1_sel:DWORD
	v_lshlrev_b32_e32 v16, 2, v16
	v_cndmask_b32_e32 v5, 3, v5, vcc_lo
	v_and_b32_e32 v16, 0xfc, v16
	v_or_b32_e32 v17, v20, v5
	v_and_b32_e32 v5, 3, v5
	v_cmp_ne_u32_e32 vcc_lo, 0, v17
	v_or3_b32 v4, v4, v16, v5
	v_lshlrev_b32_e32 v4, 8, v4
	v_cndmask_b32_e32 v74, 0, v4, vcc_lo
.LBB4_2435:                             ;   in Loop: Header=BB4_1940 Depth=4
	s_or_b32 exec_lo, exec_lo, s73
.LBB4_2436:                             ;   in Loop: Header=BB4_1940 Depth=4
	s_or_b32 exec_lo, exec_lo, s72
	v_or_b32_e32 v5, v30, v79
	s_mov_b32 s72, 0
	v_cmp_gt_i16_sdwa s16, v5, v100 src0_sel:BYTE_0 src1_sel:DWORD
	s_and_saveexec_b32 s73, s16
	s_xor_b32 s16, exec_lo, s73
	s_cbranch_execz .LBB4_3106
; %bb.2437:                             ;   in Loop: Header=BB4_1940 Depth=4
	v_cmp_eq_u16_sdwa s74, v5, v101 src0_sel:BYTE_0 src1_sel:DWORD
	s_mov_b32 s72, -1
	s_and_saveexec_b32 s73, s74
; %bb.2438:                             ;   in Loop: Header=BB4_1940 Depth=4
	s_xor_b32 s72, exec_lo, -1
; %bb.2439:                             ;   in Loop: Header=BB4_1940 Depth=4
	s_or_b32 exec_lo, exec_lo, s73
	s_and_b32 s72, s72, exec_lo
	s_or_saveexec_b32 s16, s16
	v_mov_b32_e32 v4, 0x7f800001
	s_xor_b32 exec_lo, exec_lo, s16
	s_cbranch_execnz .LBB4_3107
.LBB4_2440:                             ;   in Loop: Header=BB4_1940 Depth=4
	s_or_b32 exec_lo, exec_lo, s16
	v_lshl_or_b32 v1, v5, 16, v1
	s_and_saveexec_b32 s16, s72
	s_cbranch_execz .LBB4_2442
.LBB4_2441:                             ;   in Loop: Header=BB4_1940 Depth=4
	v_bfe_u32 v4, v1, 16, 2
	v_bfe_u32 v5, v1, 18, 5
	v_ffbh_u32_e32 v16, v4
	v_cmp_eq_u32_e32 vcc_lo, 0, v5
	v_min_u32_e32 v16, 32, v16
	v_subrev_nc_u32_e32 v17, 29, v16
	v_sub_nc_u32_e32 v16, 30, v16
	v_lshlrev_b32_sdwa v17, v17, v1 dst_sel:DWORD dst_unused:UNUSED_PAD src0_sel:DWORD src1_sel:WORD_1
	v_cndmask_b32_e32 v5, v5, v16, vcc_lo
	v_lshlrev_b32_e32 v16, 8, v1
	v_and_b32_e32 v17, 3, v17
	v_lshl_add_u32 v5, v5, 23, 0x37800000
	v_and_b32_e32 v16, 0x80000000, v16
	v_cndmask_b32_e32 v4, v4, v17, vcc_lo
	v_lshlrev_b32_e32 v4, 21, v4
	v_or3_b32 v4, v16, v5, v4
.LBB4_2442:                             ;   in Loop: Header=BB4_1940 Depth=4
	s_or_b32 exec_lo, exec_lo, s16
	v_and_b32_sdwa v16, v12, v112 dst_sel:DWORD dst_unused:UNUSED_PAD src0_sel:WORD_1 src1_sel:DWORD
	s_mov_b32 s72, 0
	s_mov_b32 s16, exec_lo
	v_cmpx_lt_i16_e32 0x7f, v16
	s_xor_b32 s16, exec_lo, s16
	s_cbranch_execz .LBB4_3108
; %bb.2443:                             ;   in Loop: Header=BB4_1940 Depth=4
	s_mov_b32 s72, -1
	s_mov_b32 s73, exec_lo
	v_cmpx_eq_u16_e32 0x80, v16
; %bb.2444:                             ;   in Loop: Header=BB4_1940 Depth=4
	s_xor_b32 s72, exec_lo, -1
; %bb.2445:                             ;   in Loop: Header=BB4_1940 Depth=4
	s_or_b32 exec_lo, exec_lo, s73
	s_and_b32 s72, s72, exec_lo
                                        ; implicit-def: $vgpr16
	s_or_saveexec_b32 s16, s16
	v_mov_b32_e32 v5, 0x7f800001
	s_xor_b32 exec_lo, exec_lo, s16
	s_cbranch_execnz .LBB4_3109
.LBB4_2446:                             ;   in Loop: Header=BB4_1940 Depth=4
	s_or_b32 exec_lo, exec_lo, s16
	s_and_saveexec_b32 s16, s72
	s_cbranch_execz .LBB4_2448
.LBB4_2447:                             ;   in Loop: Header=BB4_1940 Depth=4
	v_bfe_u32 v5, v12, 16, 2
	v_bfe_u32 v16, v12, 18, 5
	v_ffbh_u32_e32 v17, v5
	v_cmp_eq_u32_e32 vcc_lo, 0, v16
	v_min_u32_e32 v17, 32, v17
	v_subrev_nc_u32_e32 v20, 29, v17
	v_sub_nc_u32_e32 v17, 30, v17
	v_lshlrev_b32_sdwa v20, v20, v12 dst_sel:DWORD dst_unused:UNUSED_PAD src0_sel:DWORD src1_sel:WORD_1
	v_cndmask_b32_e32 v16, v16, v17, vcc_lo
	v_lshlrev_b32_e32 v17, 8, v12
	v_and_b32_e32 v20, 3, v20
	v_lshl_add_u32 v16, v16, 23, 0x37800000
	v_and_b32_e32 v17, 0x80000000, v17
	v_cndmask_b32_e32 v5, v5, v20, vcc_lo
	v_lshlrev_b32_e32 v5, 21, v5
	v_or3_b32 v5, v17, v16, v5
.LBB4_2448:                             ;   in Loop: Header=BB4_1940 Depth=4
	s_or_b32 exec_lo, exec_lo, s16
	v_add_f32_e32 v4, v4, v5
	v_mov_b32_e32 v79, 0x80
	s_mov_b32 s72, exec_lo
	v_and_b32_e32 v5, 0x7f800000, v4
	v_cmpx_ne_u32_e32 0x7f800000, v5
	s_cbranch_execz .LBB4_2456
; %bb.2449:                             ;   in Loop: Header=BB4_1940 Depth=4
	v_mov_b32_e32 v79, 0
	s_mov_b32 s73, exec_lo
	v_cmpx_ne_u32_e32 0, v4
	s_cbranch_execz .LBB4_2455
; %bb.2450:                             ;   in Loop: Header=BB4_1940 Depth=4
	v_bfe_u32 v16, v4, 23, 8
	v_and_b32_e32 v5, 0x7fffff, v4
	v_cmp_gt_u32_e64 s16, 0x71, v16
	v_sub_nc_u32_e32 v17, 0x70, v16
	v_cmp_eq_u32_e32 vcc_lo, 0, v16
	v_or_b32_e32 v20, 0x800000, v5
	v_cndmask_b32_e64 v17, 0, v17, s16
	v_cndmask_b32_e32 v5, v20, v5, vcc_lo
	v_cndmask_b32_e64 v17, v17, 0x6f, vcc_lo
	v_lshl_add_u32 v20, 0x200000, v17, -1
	v_lshlrev_b32_e64 v21, v17, 0x100000
	v_and_b32_e32 v20, v20, v5
	v_cmp_eq_u32_e64 s16, v20, v21
	v_lshrrev_b32_e32 v20, v17, v5
	v_add_nc_u32_e32 v5, 0xffffff91, v16
	v_lshrrev_b32_e32 v16, 23, v20
	v_cndmask_b32_e64 v5, v5, 0xffffff92, vcc_lo
	v_xor_b32_e32 v16, 1, v16
	v_add_nc_u32_e32 v5, v17, v5
	v_bfe_u32 v17, v20, 21, 1
	v_add_nc_u32_e32 v17, -1, v17
	v_cndmask_b32_e64 v17, 0, v17, s16
	s_mov_b32 s16, exec_lo
	v_add_nc_u32_e32 v17, v17, v20
	v_and_b32_e32 v17, 0x1fffff, v17
	v_add_nc_u32_e32 v17, v17, v20
                                        ; implicit-def: $vgpr20
	v_cmpx_ne_u32_e64 v5, v16
	s_xor_b32 s16, exec_lo, s16
; %bb.2451:                             ;   in Loop: Header=BB4_1940 Depth=4
	v_cmp_lt_u32_e32 vcc_lo, 0xffffff, v17
	v_sub_nc_u32_e32 v5, v5, v16
	v_cndmask_b32_e64 v16, 0, 1, vcc_lo
	v_add_co_ci_u32_e64 v20, null, 0, v5, vcc_lo
	v_lshrrev_b32_e32 v17, v16, v17
; %bb.2452:                             ;   in Loop: Header=BB4_1940 Depth=4
	s_andn2_saveexec_b32 s16, s16
; %bb.2453:                             ;   in Loop: Header=BB4_1940 Depth=4
	v_bfe_u32 v20, v17, 23, 1
; %bb.2454:                             ;   in Loop: Header=BB4_1940 Depth=4
	s_or_b32 exec_lo, exec_lo, s16
	v_lshrrev_b32_e32 v5, 21, v17
	v_min_i32_e32 v16, 31, v20
	v_cmp_gt_i32_e32 vcc_lo, 32, v20
	v_and_b32_sdwa v4, v4, v101 dst_sel:DWORD dst_unused:UNUSED_PAD src0_sel:BYTE_3 src1_sel:DWORD
	v_lshlrev_b32_e32 v16, 2, v16
	v_cndmask_b32_e32 v5, 3, v5, vcc_lo
	v_and_b32_e32 v16, 0xfc, v16
	v_or_b32_e32 v17, v20, v5
	v_and_b32_e32 v5, 3, v5
	v_cmp_ne_u32_e32 vcc_lo, 0, v17
	v_or3_b32 v4, v16, v4, v5
	v_cndmask_b32_e32 v79, 0, v4, vcc_lo
.LBB4_2455:                             ;   in Loop: Header=BB4_1940 Depth=4
	s_or_b32 exec_lo, exec_lo, s73
.LBB4_2456:                             ;   in Loop: Header=BB4_1940 Depth=4
	s_or_b32 exec_lo, exec_lo, s72
	v_cmp_gt_i16_sdwa s16, v1, v100 src0_sel:BYTE_3 src1_sel:DWORD
	s_mov_b32 s72, 0
	s_and_saveexec_b32 s73, s16
	s_xor_b32 s16, exec_lo, s73
	s_cbranch_execz .LBB4_3110
; %bb.2457:                             ;   in Loop: Header=BB4_1940 Depth=4
	v_cmp_eq_u16_sdwa s74, v1, v101 src0_sel:BYTE_3 src1_sel:DWORD
	s_mov_b32 s72, -1
	s_and_saveexec_b32 s73, s74
; %bb.2458:                             ;   in Loop: Header=BB4_1940 Depth=4
	s_xor_b32 s72, exec_lo, -1
; %bb.2459:                             ;   in Loop: Header=BB4_1940 Depth=4
	s_or_b32 exec_lo, exec_lo, s73
	s_and_b32 s72, s72, exec_lo
	s_or_saveexec_b32 s16, s16
	v_mov_b32_e32 v4, 0x7f800001
	s_xor_b32 exec_lo, exec_lo, s16
	s_cbranch_execnz .LBB4_3111
.LBB4_2460:                             ;   in Loop: Header=BB4_1940 Depth=4
	s_or_b32 exec_lo, exec_lo, s16
	s_and_saveexec_b32 s16, s72
	s_cbranch_execz .LBB4_2462
.LBB4_2461:                             ;   in Loop: Header=BB4_1940 Depth=4
	v_bfe_u32 v4, v1, 24, 2
	v_bfe_u32 v17, v1, 26, 5
	v_ffbh_u32_e32 v5, v4
	v_cmp_eq_u32_e32 vcc_lo, 0, v17
	v_min_u32_e32 v5, 32, v5
	v_subrev_nc_u32_e32 v16, 29, v5
	v_sub_nc_u32_e32 v5, 30, v5
	v_lshlrev_b32_sdwa v16, v16, v1 dst_sel:DWORD dst_unused:UNUSED_PAD src0_sel:DWORD src1_sel:BYTE_3
	v_cndmask_b32_e32 v5, v17, v5, vcc_lo
	v_and_b32_e32 v1, 0x80000000, v1
	v_and_b32_e32 v16, 3, v16
	v_lshl_add_u32 v5, v5, 23, 0x37800000
	v_cndmask_b32_e32 v4, v4, v16, vcc_lo
	v_lshlrev_b32_e32 v4, 21, v4
	v_or3_b32 v4, v1, v5, v4
.LBB4_2462:                             ;   in Loop: Header=BB4_1940 Depth=4
	s_or_b32 exec_lo, exec_lo, s16
	v_cmp_gt_i16_sdwa s16, v12, v100 src0_sel:BYTE_3 src1_sel:DWORD
	s_mov_b32 s72, 0
	s_and_saveexec_b32 s73, s16
	s_xor_b32 s16, exec_lo, s73
	s_cbranch_execz .LBB4_3112
; %bb.2463:                             ;   in Loop: Header=BB4_1940 Depth=4
	v_cmp_eq_u16_sdwa s74, v12, v101 src0_sel:BYTE_3 src1_sel:DWORD
	s_mov_b32 s72, -1
	s_and_saveexec_b32 s73, s74
; %bb.2464:                             ;   in Loop: Header=BB4_1940 Depth=4
	s_xor_b32 s72, exec_lo, -1
; %bb.2465:                             ;   in Loop: Header=BB4_1940 Depth=4
	s_or_b32 exec_lo, exec_lo, s73
	s_and_b32 s72, s72, exec_lo
	s_or_saveexec_b32 s16, s16
	v_mov_b32_e32 v1, 0x7f800001
	s_xor_b32 exec_lo, exec_lo, s16
	s_cbranch_execnz .LBB4_3113
.LBB4_2466:                             ;   in Loop: Header=BB4_1940 Depth=4
	s_or_b32 exec_lo, exec_lo, s16
	s_and_saveexec_b32 s16, s72
	s_cbranch_execz .LBB4_2468
.LBB4_2467:                             ;   in Loop: Header=BB4_1940 Depth=4
	v_bfe_u32 v1, v12, 24, 2
	v_bfe_u32 v17, v12, 26, 5
	v_ffbh_u32_e32 v5, v1
	v_cmp_eq_u32_e32 vcc_lo, 0, v17
	v_min_u32_e32 v5, 32, v5
	v_subrev_nc_u32_e32 v16, 29, v5
	v_sub_nc_u32_e32 v5, 30, v5
	v_lshlrev_b32_sdwa v16, v16, v12 dst_sel:DWORD dst_unused:UNUSED_PAD src0_sel:DWORD src1_sel:BYTE_3
	v_cndmask_b32_e32 v5, v17, v5, vcc_lo
	v_and_b32_e32 v12, 0x80000000, v12
	v_and_b32_e32 v16, 3, v16
	v_lshl_add_u32 v5, v5, 23, 0x37800000
	v_cndmask_b32_e32 v1, v1, v16, vcc_lo
	v_lshlrev_b32_e32 v1, 21, v1
	v_or3_b32 v1, v12, v5, v1
.LBB4_2468:                             ;   in Loop: Header=BB4_1940 Depth=4
	s_or_b32 exec_lo, exec_lo, s16
	v_add_f32_e32 v1, v4, v1
	v_mov_b32_e32 v12, 0x8000
	s_mov_b32 s72, exec_lo
	v_and_b32_e32 v4, 0x7f800000, v1
	v_cmpx_ne_u32_e32 0x7f800000, v4
	s_cbranch_execz .LBB4_2476
; %bb.2469:                             ;   in Loop: Header=BB4_1940 Depth=4
	v_mov_b32_e32 v12, 0
	s_mov_b32 s73, exec_lo
	v_cmpx_ne_u32_e32 0, v1
	s_cbranch_execz .LBB4_2475
; %bb.2470:                             ;   in Loop: Header=BB4_1940 Depth=4
	v_bfe_u32 v5, v1, 23, 8
	v_and_b32_e32 v4, 0x7fffff, v1
	v_cmp_gt_u32_e64 s16, 0x71, v5
	v_sub_nc_u32_e32 v12, 0x70, v5
	v_cmp_eq_u32_e32 vcc_lo, 0, v5
	v_or_b32_e32 v16, 0x800000, v4
	v_cndmask_b32_e64 v12, 0, v12, s16
	v_cndmask_b32_e32 v4, v16, v4, vcc_lo
	v_cndmask_b32_e64 v12, v12, 0x6f, vcc_lo
	v_lshl_add_u32 v16, 0x200000, v12, -1
	v_lshlrev_b32_e64 v17, v12, 0x100000
	v_and_b32_e32 v16, v16, v4
	v_cmp_eq_u32_e64 s16, v16, v17
	v_lshrrev_b32_e32 v16, v12, v4
	v_add_nc_u32_e32 v4, 0xffffff91, v5
	v_lshrrev_b32_e32 v5, 23, v16
	v_cndmask_b32_e64 v4, v4, 0xffffff92, vcc_lo
	v_xor_b32_e32 v5, 1, v5
	v_add_nc_u32_e32 v4, v12, v4
	v_bfe_u32 v12, v16, 21, 1
	v_add_nc_u32_e32 v12, -1, v12
	v_cndmask_b32_e64 v12, 0, v12, s16
	s_mov_b32 s16, exec_lo
	v_add_nc_u32_e32 v12, v12, v16
	v_and_b32_e32 v12, 0x1fffff, v12
	v_add_nc_u32_e32 v12, v12, v16
                                        ; implicit-def: $vgpr16
	v_cmpx_ne_u32_e64 v4, v5
	s_xor_b32 s16, exec_lo, s16
; %bb.2471:                             ;   in Loop: Header=BB4_1940 Depth=4
	v_cmp_lt_u32_e32 vcc_lo, 0xffffff, v12
	v_sub_nc_u32_e32 v4, v4, v5
	v_cndmask_b32_e64 v5, 0, 1, vcc_lo
	v_add_co_ci_u32_e64 v16, null, 0, v4, vcc_lo
	v_lshrrev_b32_e32 v12, v5, v12
; %bb.2472:                             ;   in Loop: Header=BB4_1940 Depth=4
	s_andn2_saveexec_b32 s16, s16
; %bb.2473:                             ;   in Loop: Header=BB4_1940 Depth=4
	v_bfe_u32 v16, v12, 23, 1
; %bb.2474:                             ;   in Loop: Header=BB4_1940 Depth=4
	s_or_b32 exec_lo, exec_lo, s16
	v_lshrrev_b32_e32 v4, 21, v12
	v_min_i32_e32 v5, 31, v16
	v_cmp_gt_i32_e32 vcc_lo, 32, v16
	v_and_b32_sdwa v1, v1, v101 dst_sel:DWORD dst_unused:UNUSED_PAD src0_sel:BYTE_3 src1_sel:DWORD
	v_lshlrev_b32_e32 v5, 2, v5
	v_cndmask_b32_e32 v4, 3, v4, vcc_lo
	v_and_b32_e32 v5, 0xfc, v5
	v_or_b32_e32 v12, v16, v4
	v_and_b32_e32 v4, 3, v4
	v_cmp_ne_u32_e32 vcc_lo, 0, v12
	v_or3_b32 v1, v1, v5, v4
	v_lshlrev_b32_e32 v1, 8, v1
	v_cndmask_b32_e32 v12, 0, v1, vcc_lo
.LBB4_2475:                             ;   in Loop: Header=BB4_1940 Depth=4
	s_or_b32 exec_lo, exec_lo, s73
.LBB4_2476:                             ;   in Loop: Header=BB4_1940 Depth=4
	s_or_b32 exec_lo, exec_lo, s72
	v_or_b32_e32 v1, v19, v18
	s_mov_b32 s72, 0
	v_cmp_gt_i16_sdwa s16, v1, v100 src0_sel:BYTE_0 src1_sel:DWORD
	s_and_saveexec_b32 s73, s16
	s_xor_b32 s16, exec_lo, s73
	s_cbranch_execz .LBB4_3114
; %bb.2477:                             ;   in Loop: Header=BB4_1940 Depth=4
	v_cmp_eq_u16_sdwa s74, v1, v101 src0_sel:BYTE_0 src1_sel:DWORD
	s_mov_b32 s72, -1
	s_and_saveexec_b32 s73, s74
; %bb.2478:                             ;   in Loop: Header=BB4_1940 Depth=4
	s_xor_b32 s72, exec_lo, -1
; %bb.2479:                             ;   in Loop: Header=BB4_1940 Depth=4
	s_or_b32 exec_lo, exec_lo, s73
	s_and_b32 s72, s72, exec_lo
	s_or_saveexec_b32 s16, s16
	v_mov_b32_e32 v4, 0x7f800001
	s_xor_b32 exec_lo, exec_lo, s16
	s_cbranch_execnz .LBB4_3115
.LBB4_2480:                             ;   in Loop: Header=BB4_1940 Depth=4
	s_or_b32 exec_lo, exec_lo, s16
	s_and_saveexec_b32 s16, s72
	s_cbranch_execz .LBB4_2482
.LBB4_2481:                             ;   in Loop: Header=BB4_1940 Depth=4
	v_and_b32_e32 v4, 3, v1
	v_bfe_u32 v5, v1, 2, 5
	v_ffbh_u32_e32 v16, v4
	v_cmp_eq_u32_e32 vcc_lo, 0, v5
	v_min_u32_e32 v16, 32, v16
	v_subrev_nc_u32_e32 v17, 29, v16
	v_sub_nc_u32_e32 v16, 30, v16
	v_lshlrev_b32_e32 v17, v17, v1
	v_cndmask_b32_e32 v5, v5, v16, vcc_lo
	v_lshlrev_b32_e32 v16, 24, v1
	v_and_b32_e32 v17, 3, v17
	v_lshl_add_u32 v5, v5, 23, 0x37800000
	v_and_b32_e32 v16, 0x80000000, v16
	v_cndmask_b32_e32 v4, v4, v17, vcc_lo
	v_lshlrev_b32_e32 v4, 21, v4
	v_or3_b32 v4, v16, v5, v4
.LBB4_2482:                             ;   in Loop: Header=BB4_1940 Depth=4
	s_or_b32 exec_lo, exec_lo, s16
	v_cmp_gt_i16_sdwa s16, v13, v100 src0_sel:BYTE_0 src1_sel:DWORD
	s_mov_b32 s72, 0
	s_and_saveexec_b32 s73, s16
	s_xor_b32 s16, exec_lo, s73
	s_cbranch_execz .LBB4_3116
; %bb.2483:                             ;   in Loop: Header=BB4_1940 Depth=4
	v_cmp_eq_u16_sdwa s74, v13, v101 src0_sel:BYTE_0 src1_sel:DWORD
	s_mov_b32 s72, -1
	s_and_saveexec_b32 s73, s74
; %bb.2484:                             ;   in Loop: Header=BB4_1940 Depth=4
	s_xor_b32 s72, exec_lo, -1
; %bb.2485:                             ;   in Loop: Header=BB4_1940 Depth=4
	s_or_b32 exec_lo, exec_lo, s73
	s_and_b32 s72, s72, exec_lo
	s_or_saveexec_b32 s16, s16
	v_mov_b32_e32 v5, 0x7f800001
	s_xor_b32 exec_lo, exec_lo, s16
	s_cbranch_execnz .LBB4_3117
.LBB4_2486:                             ;   in Loop: Header=BB4_1940 Depth=4
	s_or_b32 exec_lo, exec_lo, s16
	s_and_saveexec_b32 s16, s72
	s_cbranch_execz .LBB4_2488
.LBB4_2487:                             ;   in Loop: Header=BB4_1940 Depth=4
	v_and_b32_e32 v5, 3, v13
	v_bfe_u32 v16, v13, 2, 5
	v_ffbh_u32_e32 v17, v5
	v_cmp_eq_u32_e32 vcc_lo, 0, v16
	v_min_u32_e32 v17, 32, v17
	v_subrev_nc_u32_e32 v18, 29, v17
	v_sub_nc_u32_e32 v17, 30, v17
	v_lshlrev_b32_e32 v18, v18, v13
	v_cndmask_b32_e32 v16, v16, v17, vcc_lo
	v_lshlrev_b32_e32 v17, 24, v13
	v_and_b32_e32 v18, 3, v18
	v_lshl_add_u32 v16, v16, 23, 0x37800000
	v_and_b32_e32 v17, 0x80000000, v17
	v_cndmask_b32_e32 v5, v5, v18, vcc_lo
	v_lshlrev_b32_e32 v5, 21, v5
	v_or3_b32 v5, v17, v16, v5
.LBB4_2488:                             ;   in Loop: Header=BB4_1940 Depth=4
	s_or_b32 exec_lo, exec_lo, s16
	v_add_f32_e32 v4, v4, v5
	v_mov_b32_e32 v95, 0x80
	s_mov_b32 s72, exec_lo
	v_and_b32_e32 v5, 0x7f800000, v4
	v_cmpx_ne_u32_e32 0x7f800000, v5
	s_cbranch_execz .LBB4_2496
; %bb.2489:                             ;   in Loop: Header=BB4_1940 Depth=4
	v_mov_b32_e32 v95, 0
	s_mov_b32 s73, exec_lo
	v_cmpx_ne_u32_e32 0, v4
	s_cbranch_execz .LBB4_2495
; %bb.2490:                             ;   in Loop: Header=BB4_1940 Depth=4
	v_bfe_u32 v16, v4, 23, 8
	v_and_b32_e32 v5, 0x7fffff, v4
	v_cmp_gt_u32_e64 s16, 0x71, v16
	v_sub_nc_u32_e32 v17, 0x70, v16
	v_cmp_eq_u32_e32 vcc_lo, 0, v16
	v_or_b32_e32 v18, 0x800000, v5
	v_cndmask_b32_e64 v17, 0, v17, s16
	v_cndmask_b32_e32 v5, v18, v5, vcc_lo
	v_cndmask_b32_e64 v17, v17, 0x6f, vcc_lo
	v_lshl_add_u32 v18, 0x200000, v17, -1
	v_lshlrev_b32_e64 v19, v17, 0x100000
	v_and_b32_e32 v18, v18, v5
	v_cmp_eq_u32_e64 s16, v18, v19
	v_lshrrev_b32_e32 v18, v17, v5
	v_add_nc_u32_e32 v5, 0xffffff91, v16
	v_lshrrev_b32_e32 v16, 23, v18
	v_cndmask_b32_e64 v5, v5, 0xffffff92, vcc_lo
	v_xor_b32_e32 v16, 1, v16
	v_add_nc_u32_e32 v5, v17, v5
	v_bfe_u32 v17, v18, 21, 1
	v_add_nc_u32_e32 v17, -1, v17
	v_cndmask_b32_e64 v17, 0, v17, s16
	s_mov_b32 s16, exec_lo
	v_add_nc_u32_e32 v17, v17, v18
	v_and_b32_e32 v17, 0x1fffff, v17
	v_add_nc_u32_e32 v17, v17, v18
                                        ; implicit-def: $vgpr18
	v_cmpx_ne_u32_e64 v5, v16
	s_xor_b32 s16, exec_lo, s16
; %bb.2491:                             ;   in Loop: Header=BB4_1940 Depth=4
	v_cmp_lt_u32_e32 vcc_lo, 0xffffff, v17
	v_sub_nc_u32_e32 v5, v5, v16
	v_cndmask_b32_e64 v16, 0, 1, vcc_lo
	v_add_co_ci_u32_e64 v18, null, 0, v5, vcc_lo
	v_lshrrev_b32_e32 v17, v16, v17
; %bb.2492:                             ;   in Loop: Header=BB4_1940 Depth=4
	s_andn2_saveexec_b32 s16, s16
; %bb.2493:                             ;   in Loop: Header=BB4_1940 Depth=4
	v_bfe_u32 v18, v17, 23, 1
; %bb.2494:                             ;   in Loop: Header=BB4_1940 Depth=4
	s_or_b32 exec_lo, exec_lo, s16
	v_lshrrev_b32_e32 v5, 21, v17
	v_min_i32_e32 v16, 31, v18
	v_cmp_gt_i32_e32 vcc_lo, 32, v18
	v_and_b32_sdwa v4, v4, v101 dst_sel:DWORD dst_unused:UNUSED_PAD src0_sel:BYTE_3 src1_sel:DWORD
	v_lshlrev_b32_e32 v16, 2, v16
	v_cndmask_b32_e32 v5, 3, v5, vcc_lo
	v_and_b32_e32 v16, 0xfc, v16
	v_or_b32_e32 v17, v18, v5
	v_and_b32_e32 v5, 3, v5
	v_cmp_ne_u32_e32 vcc_lo, 0, v17
	v_or3_b32 v4, v16, v4, v5
	v_cndmask_b32_e32 v95, 0, v4, vcc_lo
.LBB4_2495:                             ;   in Loop: Header=BB4_1940 Depth=4
	s_or_b32 exec_lo, exec_lo, s73
.LBB4_2496:                             ;   in Loop: Header=BB4_1940 Depth=4
	s_or_b32 exec_lo, exec_lo, s72
	v_cmp_gt_i16_sdwa s16, v1, v100 src0_sel:BYTE_1 src1_sel:DWORD
	s_mov_b32 s72, 0
	s_and_saveexec_b32 s73, s16
	s_xor_b32 s16, exec_lo, s73
	s_cbranch_execz .LBB4_3118
; %bb.2497:                             ;   in Loop: Header=BB4_1940 Depth=4
	v_cmp_eq_u16_sdwa s74, v1, v101 src0_sel:BYTE_1 src1_sel:DWORD
	s_mov_b32 s72, -1
	s_and_saveexec_b32 s73, s74
; %bb.2498:                             ;   in Loop: Header=BB4_1940 Depth=4
	s_xor_b32 s72, exec_lo, -1
; %bb.2499:                             ;   in Loop: Header=BB4_1940 Depth=4
	s_or_b32 exec_lo, exec_lo, s73
	s_and_b32 s72, s72, exec_lo
	s_or_saveexec_b32 s16, s16
	v_mov_b32_e32 v4, 0x7f800001
	s_xor_b32 exec_lo, exec_lo, s16
	s_cbranch_execnz .LBB4_3119
.LBB4_2500:                             ;   in Loop: Header=BB4_1940 Depth=4
	s_or_b32 exec_lo, exec_lo, s16
	s_and_saveexec_b32 s16, s72
	s_cbranch_execz .LBB4_2502
.LBB4_2501:                             ;   in Loop: Header=BB4_1940 Depth=4
	v_and_b32_sdwa v4, v102, v1 dst_sel:DWORD dst_unused:UNUSED_PAD src0_sel:DWORD src1_sel:BYTE_1
	v_and_b32_e32 v5, 3, v4
	v_bfe_u32 v18, v4, 2, 5
	v_ffbh_u32_e32 v16, v5
	v_cmp_eq_u32_e32 vcc_lo, 0, v18
	v_min_u32_e32 v16, 32, v16
	v_subrev_nc_u32_e32 v17, 29, v16
	v_sub_nc_u32_e32 v16, 30, v16
	v_lshlrev_b32_e32 v4, v17, v4
	v_lshlrev_b32_sdwa v17, v103, v1 dst_sel:DWORD dst_unused:UNUSED_PAD src0_sel:DWORD src1_sel:BYTE_1
	v_cndmask_b32_e32 v16, v18, v16, vcc_lo
	v_and_b32_e32 v4, 3, v4
	v_lshl_add_u32 v16, v16, 23, 0x37800000
	v_cndmask_b32_e32 v4, v5, v4, vcc_lo
	v_and_b32_e32 v5, 0x80000000, v17
	v_lshlrev_b32_e32 v4, 21, v4
	v_or3_b32 v4, v5, v16, v4
.LBB4_2502:                             ;   in Loop: Header=BB4_1940 Depth=4
	s_or_b32 exec_lo, exec_lo, s16
	v_cmp_gt_i16_sdwa s16, v13, v100 src0_sel:BYTE_1 src1_sel:DWORD
	s_mov_b32 s72, 0
	s_and_saveexec_b32 s73, s16
	s_xor_b32 s16, exec_lo, s73
	s_cbranch_execz .LBB4_3120
; %bb.2503:                             ;   in Loop: Header=BB4_1940 Depth=4
	v_cmp_eq_u16_sdwa s74, v13, v101 src0_sel:BYTE_1 src1_sel:DWORD
	s_mov_b32 s72, -1
	s_and_saveexec_b32 s73, s74
; %bb.2504:                             ;   in Loop: Header=BB4_1940 Depth=4
	s_xor_b32 s72, exec_lo, -1
; %bb.2505:                             ;   in Loop: Header=BB4_1940 Depth=4
	s_or_b32 exec_lo, exec_lo, s73
	s_and_b32 s72, s72, exec_lo
	s_or_saveexec_b32 s16, s16
	v_mov_b32_e32 v5, 0x7f800001
	s_xor_b32 exec_lo, exec_lo, s16
	s_cbranch_execnz .LBB4_3121
.LBB4_2506:                             ;   in Loop: Header=BB4_1940 Depth=4
	s_or_b32 exec_lo, exec_lo, s16
	s_and_saveexec_b32 s16, s72
	s_cbranch_execz .LBB4_2508
.LBB4_2507:                             ;   in Loop: Header=BB4_1940 Depth=4
	v_and_b32_sdwa v5, v102, v13 dst_sel:DWORD dst_unused:UNUSED_PAD src0_sel:DWORD src1_sel:BYTE_1
	v_and_b32_e32 v16, 3, v5
	v_bfe_u32 v19, v5, 2, 5
	v_ffbh_u32_e32 v17, v16
	v_cmp_eq_u32_e32 vcc_lo, 0, v19
	v_min_u32_e32 v17, 32, v17
	v_subrev_nc_u32_e32 v18, 29, v17
	v_sub_nc_u32_e32 v17, 30, v17
	v_lshlrev_b32_e32 v5, v18, v5
	v_lshlrev_b32_sdwa v18, v103, v13 dst_sel:DWORD dst_unused:UNUSED_PAD src0_sel:DWORD src1_sel:BYTE_1
	v_cndmask_b32_e32 v17, v19, v17, vcc_lo
	v_and_b32_e32 v5, 3, v5
	v_lshl_add_u32 v17, v17, 23, 0x37800000
	v_cndmask_b32_e32 v5, v16, v5, vcc_lo
	v_and_b32_e32 v16, 0x80000000, v18
	v_lshlrev_b32_e32 v5, 21, v5
	v_or3_b32 v5, v16, v17, v5
.LBB4_2508:                             ;   in Loop: Header=BB4_1940 Depth=4
	s_or_b32 exec_lo, exec_lo, s16
	v_add_f32_e32 v4, v4, v5
	v_mov_b32_e32 v107, 0x8000
	s_mov_b32 s72, exec_lo
	v_and_b32_e32 v5, 0x7f800000, v4
	v_cmpx_ne_u32_e32 0x7f800000, v5
	s_cbranch_execz .LBB4_2516
; %bb.2509:                             ;   in Loop: Header=BB4_1940 Depth=4
	v_mov_b32_e32 v107, 0
	s_mov_b32 s73, exec_lo
	v_cmpx_ne_u32_e32 0, v4
	s_cbranch_execz .LBB4_2515
; %bb.2510:                             ;   in Loop: Header=BB4_1940 Depth=4
	v_bfe_u32 v16, v4, 23, 8
	v_and_b32_e32 v5, 0x7fffff, v4
	v_cmp_gt_u32_e64 s16, 0x71, v16
	v_sub_nc_u32_e32 v17, 0x70, v16
	v_cmp_eq_u32_e32 vcc_lo, 0, v16
	v_or_b32_e32 v18, 0x800000, v5
	v_cndmask_b32_e64 v17, 0, v17, s16
	v_cndmask_b32_e32 v5, v18, v5, vcc_lo
	v_cndmask_b32_e64 v17, v17, 0x6f, vcc_lo
	v_lshl_add_u32 v18, 0x200000, v17, -1
	v_lshlrev_b32_e64 v19, v17, 0x100000
	v_and_b32_e32 v18, v18, v5
	v_cmp_eq_u32_e64 s16, v18, v19
	v_lshrrev_b32_e32 v18, v17, v5
	v_add_nc_u32_e32 v5, 0xffffff91, v16
	v_lshrrev_b32_e32 v16, 23, v18
	v_cndmask_b32_e64 v5, v5, 0xffffff92, vcc_lo
	v_xor_b32_e32 v16, 1, v16
	v_add_nc_u32_e32 v5, v17, v5
	v_bfe_u32 v17, v18, 21, 1
	v_add_nc_u32_e32 v17, -1, v17
	v_cndmask_b32_e64 v17, 0, v17, s16
	s_mov_b32 s16, exec_lo
	v_add_nc_u32_e32 v17, v17, v18
	v_and_b32_e32 v17, 0x1fffff, v17
	v_add_nc_u32_e32 v17, v17, v18
                                        ; implicit-def: $vgpr18
	v_cmpx_ne_u32_e64 v5, v16
	s_xor_b32 s16, exec_lo, s16
; %bb.2511:                             ;   in Loop: Header=BB4_1940 Depth=4
	v_cmp_lt_u32_e32 vcc_lo, 0xffffff, v17
	v_sub_nc_u32_e32 v5, v5, v16
	v_cndmask_b32_e64 v16, 0, 1, vcc_lo
	v_add_co_ci_u32_e64 v18, null, 0, v5, vcc_lo
	v_lshrrev_b32_e32 v17, v16, v17
; %bb.2512:                             ;   in Loop: Header=BB4_1940 Depth=4
	s_andn2_saveexec_b32 s16, s16
; %bb.2513:                             ;   in Loop: Header=BB4_1940 Depth=4
	v_bfe_u32 v18, v17, 23, 1
; %bb.2514:                             ;   in Loop: Header=BB4_1940 Depth=4
	s_or_b32 exec_lo, exec_lo, s16
	v_lshrrev_b32_e32 v5, 21, v17
	v_min_i32_e32 v16, 31, v18
	v_cmp_gt_i32_e32 vcc_lo, 32, v18
	v_and_b32_sdwa v4, v4, v101 dst_sel:DWORD dst_unused:UNUSED_PAD src0_sel:BYTE_3 src1_sel:DWORD
	v_lshlrev_b32_e32 v16, 2, v16
	v_cndmask_b32_e32 v5, 3, v5, vcc_lo
	v_and_b32_e32 v16, 0xfc, v16
	v_or_b32_e32 v17, v18, v5
	v_and_b32_e32 v5, 3, v5
	v_cmp_ne_u32_e32 vcc_lo, 0, v17
	v_or3_b32 v4, v4, v16, v5
	v_lshlrev_b32_e32 v4, 8, v4
	v_cndmask_b32_e32 v107, 0, v4, vcc_lo
.LBB4_2515:                             ;   in Loop: Header=BB4_1940 Depth=4
	s_or_b32 exec_lo, exec_lo, s73
.LBB4_2516:                             ;   in Loop: Header=BB4_1940 Depth=4
	s_or_b32 exec_lo, exec_lo, s72
	v_or_b32_e32 v5, v122, v110
	s_mov_b32 s72, 0
	v_cmp_gt_i16_sdwa s16, v5, v100 src0_sel:BYTE_0 src1_sel:DWORD
	s_and_saveexec_b32 s73, s16
	s_xor_b32 s16, exec_lo, s73
	s_cbranch_execz .LBB4_3122
; %bb.2517:                             ;   in Loop: Header=BB4_1940 Depth=4
	v_cmp_eq_u16_sdwa s74, v5, v101 src0_sel:BYTE_0 src1_sel:DWORD
	s_mov_b32 s72, -1
	s_and_saveexec_b32 s73, s74
; %bb.2518:                             ;   in Loop: Header=BB4_1940 Depth=4
	s_xor_b32 s72, exec_lo, -1
; %bb.2519:                             ;   in Loop: Header=BB4_1940 Depth=4
	s_or_b32 exec_lo, exec_lo, s73
	s_and_b32 s72, s72, exec_lo
	s_or_saveexec_b32 s16, s16
	v_mov_b32_e32 v4, 0x7f800001
	s_xor_b32 exec_lo, exec_lo, s16
	s_cbranch_execnz .LBB4_3123
.LBB4_2520:                             ;   in Loop: Header=BB4_1940 Depth=4
	s_or_b32 exec_lo, exec_lo, s16
	v_lshl_or_b32 v1, v5, 16, v1
	s_and_saveexec_b32 s16, s72
	s_cbranch_execz .LBB4_2522
.LBB4_2521:                             ;   in Loop: Header=BB4_1940 Depth=4
	v_bfe_u32 v4, v1, 16, 2
	v_bfe_u32 v5, v1, 18, 5
	v_ffbh_u32_e32 v16, v4
	v_cmp_eq_u32_e32 vcc_lo, 0, v5
	v_min_u32_e32 v16, 32, v16
	v_subrev_nc_u32_e32 v17, 29, v16
	v_sub_nc_u32_e32 v16, 30, v16
	v_lshlrev_b32_sdwa v17, v17, v1 dst_sel:DWORD dst_unused:UNUSED_PAD src0_sel:DWORD src1_sel:WORD_1
	v_cndmask_b32_e32 v5, v5, v16, vcc_lo
	v_lshlrev_b32_e32 v16, 8, v1
	v_and_b32_e32 v17, 3, v17
	v_lshl_add_u32 v5, v5, 23, 0x37800000
	v_and_b32_e32 v16, 0x80000000, v16
	v_cndmask_b32_e32 v4, v4, v17, vcc_lo
	v_lshlrev_b32_e32 v4, 21, v4
	v_or3_b32 v4, v16, v5, v4
.LBB4_2522:                             ;   in Loop: Header=BB4_1940 Depth=4
	s_or_b32 exec_lo, exec_lo, s16
	v_and_b32_sdwa v16, v13, v112 dst_sel:DWORD dst_unused:UNUSED_PAD src0_sel:WORD_1 src1_sel:DWORD
	s_mov_b32 s72, 0
	s_mov_b32 s16, exec_lo
	v_cmpx_lt_i16_e32 0x7f, v16
	s_xor_b32 s16, exec_lo, s16
	s_cbranch_execz .LBB4_3124
; %bb.2523:                             ;   in Loop: Header=BB4_1940 Depth=4
	s_mov_b32 s72, -1
	s_mov_b32 s73, exec_lo
	v_cmpx_eq_u16_e32 0x80, v16
; %bb.2524:                             ;   in Loop: Header=BB4_1940 Depth=4
	s_xor_b32 s72, exec_lo, -1
; %bb.2525:                             ;   in Loop: Header=BB4_1940 Depth=4
	s_or_b32 exec_lo, exec_lo, s73
	s_and_b32 s72, s72, exec_lo
                                        ; implicit-def: $vgpr16
	s_or_saveexec_b32 s16, s16
	v_mov_b32_e32 v5, 0x7f800001
	s_xor_b32 exec_lo, exec_lo, s16
	s_cbranch_execnz .LBB4_3125
.LBB4_2526:                             ;   in Loop: Header=BB4_1940 Depth=4
	s_or_b32 exec_lo, exec_lo, s16
	s_and_saveexec_b32 s16, s72
	s_cbranch_execz .LBB4_2528
.LBB4_2527:                             ;   in Loop: Header=BB4_1940 Depth=4
	v_bfe_u32 v5, v13, 16, 2
	v_bfe_u32 v16, v13, 18, 5
	v_ffbh_u32_e32 v17, v5
	v_cmp_eq_u32_e32 vcc_lo, 0, v16
	v_min_u32_e32 v17, 32, v17
	v_subrev_nc_u32_e32 v18, 29, v17
	v_sub_nc_u32_e32 v17, 30, v17
	v_lshlrev_b32_sdwa v18, v18, v13 dst_sel:DWORD dst_unused:UNUSED_PAD src0_sel:DWORD src1_sel:WORD_1
	v_cndmask_b32_e32 v16, v16, v17, vcc_lo
	v_lshlrev_b32_e32 v17, 8, v13
	v_and_b32_e32 v18, 3, v18
	v_lshl_add_u32 v16, v16, 23, 0x37800000
	v_and_b32_e32 v17, 0x80000000, v17
	v_cndmask_b32_e32 v5, v5, v18, vcc_lo
	v_lshlrev_b32_e32 v5, 21, v5
	v_or3_b32 v5, v17, v16, v5
.LBB4_2528:                             ;   in Loop: Header=BB4_1940 Depth=4
	s_or_b32 exec_lo, exec_lo, s16
	v_add_f32_e32 v4, v4, v5
	v_mov_b32_e32 v110, 0x80
	s_mov_b32 s72, exec_lo
	v_and_b32_e32 v5, 0x7f800000, v4
	v_cmpx_ne_u32_e32 0x7f800000, v5
	s_cbranch_execz .LBB4_2536
; %bb.2529:                             ;   in Loop: Header=BB4_1940 Depth=4
	v_mov_b32_e32 v110, 0
	s_mov_b32 s73, exec_lo
	v_cmpx_ne_u32_e32 0, v4
	s_cbranch_execz .LBB4_2535
; %bb.2530:                             ;   in Loop: Header=BB4_1940 Depth=4
	v_bfe_u32 v16, v4, 23, 8
	v_and_b32_e32 v5, 0x7fffff, v4
	v_cmp_gt_u32_e64 s16, 0x71, v16
	v_sub_nc_u32_e32 v17, 0x70, v16
	v_cmp_eq_u32_e32 vcc_lo, 0, v16
	v_or_b32_e32 v18, 0x800000, v5
	v_cndmask_b32_e64 v17, 0, v17, s16
	v_cndmask_b32_e32 v5, v18, v5, vcc_lo
	v_cndmask_b32_e64 v17, v17, 0x6f, vcc_lo
	v_lshl_add_u32 v18, 0x200000, v17, -1
	v_lshlrev_b32_e64 v19, v17, 0x100000
	v_and_b32_e32 v18, v18, v5
	v_cmp_eq_u32_e64 s16, v18, v19
	v_lshrrev_b32_e32 v18, v17, v5
	v_add_nc_u32_e32 v5, 0xffffff91, v16
	v_lshrrev_b32_e32 v16, 23, v18
	v_cndmask_b32_e64 v5, v5, 0xffffff92, vcc_lo
	v_xor_b32_e32 v16, 1, v16
	v_add_nc_u32_e32 v5, v17, v5
	v_bfe_u32 v17, v18, 21, 1
	v_add_nc_u32_e32 v17, -1, v17
	v_cndmask_b32_e64 v17, 0, v17, s16
	s_mov_b32 s16, exec_lo
	v_add_nc_u32_e32 v17, v17, v18
	v_and_b32_e32 v17, 0x1fffff, v17
	v_add_nc_u32_e32 v17, v17, v18
                                        ; implicit-def: $vgpr18
	v_cmpx_ne_u32_e64 v5, v16
	s_xor_b32 s16, exec_lo, s16
; %bb.2531:                             ;   in Loop: Header=BB4_1940 Depth=4
	v_cmp_lt_u32_e32 vcc_lo, 0xffffff, v17
	v_sub_nc_u32_e32 v5, v5, v16
	v_cndmask_b32_e64 v16, 0, 1, vcc_lo
	v_add_co_ci_u32_e64 v18, null, 0, v5, vcc_lo
	v_lshrrev_b32_e32 v17, v16, v17
; %bb.2532:                             ;   in Loop: Header=BB4_1940 Depth=4
	s_andn2_saveexec_b32 s16, s16
; %bb.2533:                             ;   in Loop: Header=BB4_1940 Depth=4
	v_bfe_u32 v18, v17, 23, 1
; %bb.2534:                             ;   in Loop: Header=BB4_1940 Depth=4
	s_or_b32 exec_lo, exec_lo, s16
	v_lshrrev_b32_e32 v5, 21, v17
	v_min_i32_e32 v16, 31, v18
	v_cmp_gt_i32_e32 vcc_lo, 32, v18
	v_and_b32_sdwa v4, v4, v101 dst_sel:DWORD dst_unused:UNUSED_PAD src0_sel:BYTE_3 src1_sel:DWORD
	v_lshlrev_b32_e32 v16, 2, v16
	v_cndmask_b32_e32 v5, 3, v5, vcc_lo
	v_and_b32_e32 v16, 0xfc, v16
	v_or_b32_e32 v17, v18, v5
	v_and_b32_e32 v5, 3, v5
	v_cmp_ne_u32_e32 vcc_lo, 0, v17
	v_or3_b32 v4, v16, v4, v5
	v_cndmask_b32_e32 v110, 0, v4, vcc_lo
.LBB4_2535:                             ;   in Loop: Header=BB4_1940 Depth=4
	s_or_b32 exec_lo, exec_lo, s73
.LBB4_2536:                             ;   in Loop: Header=BB4_1940 Depth=4
	s_or_b32 exec_lo, exec_lo, s72
	v_cmp_gt_i16_sdwa s16, v1, v100 src0_sel:BYTE_3 src1_sel:DWORD
	s_mov_b32 s72, 0
	s_and_saveexec_b32 s73, s16
	s_xor_b32 s16, exec_lo, s73
	s_cbranch_execz .LBB4_3126
; %bb.2537:                             ;   in Loop: Header=BB4_1940 Depth=4
	v_cmp_eq_u16_sdwa s74, v1, v101 src0_sel:BYTE_3 src1_sel:DWORD
	s_mov_b32 s72, -1
	s_and_saveexec_b32 s73, s74
; %bb.2538:                             ;   in Loop: Header=BB4_1940 Depth=4
	s_xor_b32 s72, exec_lo, -1
; %bb.2539:                             ;   in Loop: Header=BB4_1940 Depth=4
	s_or_b32 exec_lo, exec_lo, s73
	s_and_b32 s72, s72, exec_lo
	s_or_saveexec_b32 s16, s16
	v_mov_b32_e32 v4, 0x7f800001
	s_xor_b32 exec_lo, exec_lo, s16
	s_cbranch_execnz .LBB4_3127
.LBB4_2540:                             ;   in Loop: Header=BB4_1940 Depth=4
	s_or_b32 exec_lo, exec_lo, s16
	s_and_saveexec_b32 s16, s72
	s_cbranch_execz .LBB4_2542
.LBB4_2541:                             ;   in Loop: Header=BB4_1940 Depth=4
	v_bfe_u32 v4, v1, 24, 2
	v_bfe_u32 v17, v1, 26, 5
	v_ffbh_u32_e32 v5, v4
	v_cmp_eq_u32_e32 vcc_lo, 0, v17
	v_min_u32_e32 v5, 32, v5
	v_subrev_nc_u32_e32 v16, 29, v5
	v_sub_nc_u32_e32 v5, 30, v5
	v_lshlrev_b32_sdwa v16, v16, v1 dst_sel:DWORD dst_unused:UNUSED_PAD src0_sel:DWORD src1_sel:BYTE_3
	v_cndmask_b32_e32 v5, v17, v5, vcc_lo
	v_and_b32_e32 v1, 0x80000000, v1
	v_and_b32_e32 v16, 3, v16
	v_lshl_add_u32 v5, v5, 23, 0x37800000
	v_cndmask_b32_e32 v4, v4, v16, vcc_lo
	v_lshlrev_b32_e32 v4, 21, v4
	v_or3_b32 v4, v1, v5, v4
.LBB4_2542:                             ;   in Loop: Header=BB4_1940 Depth=4
	s_or_b32 exec_lo, exec_lo, s16
	v_cmp_gt_i16_sdwa s16, v13, v100 src0_sel:BYTE_3 src1_sel:DWORD
	s_mov_b32 s72, 0
	s_and_saveexec_b32 s73, s16
	s_xor_b32 s16, exec_lo, s73
	s_cbranch_execz .LBB4_3128
; %bb.2543:                             ;   in Loop: Header=BB4_1940 Depth=4
	v_cmp_eq_u16_sdwa s74, v13, v101 src0_sel:BYTE_3 src1_sel:DWORD
	s_mov_b32 s72, -1
	s_and_saveexec_b32 s73, s74
; %bb.2544:                             ;   in Loop: Header=BB4_1940 Depth=4
	s_xor_b32 s72, exec_lo, -1
; %bb.2545:                             ;   in Loop: Header=BB4_1940 Depth=4
	s_or_b32 exec_lo, exec_lo, s73
	s_and_b32 s72, s72, exec_lo
	s_or_saveexec_b32 s16, s16
	v_mov_b32_e32 v1, 0x7f800001
	s_xor_b32 exec_lo, exec_lo, s16
	s_cbranch_execnz .LBB4_3129
.LBB4_2546:                             ;   in Loop: Header=BB4_1940 Depth=4
	s_or_b32 exec_lo, exec_lo, s16
	s_and_saveexec_b32 s16, s72
	s_cbranch_execz .LBB4_2548
.LBB4_2547:                             ;   in Loop: Header=BB4_1940 Depth=4
	v_bfe_u32 v1, v13, 24, 2
	v_bfe_u32 v17, v13, 26, 5
	v_ffbh_u32_e32 v5, v1
	v_cmp_eq_u32_e32 vcc_lo, 0, v17
	v_min_u32_e32 v5, 32, v5
	v_subrev_nc_u32_e32 v16, 29, v5
	v_sub_nc_u32_e32 v5, 30, v5
	v_lshlrev_b32_sdwa v16, v16, v13 dst_sel:DWORD dst_unused:UNUSED_PAD src0_sel:DWORD src1_sel:BYTE_3
	v_cndmask_b32_e32 v5, v17, v5, vcc_lo
	v_and_b32_e32 v13, 0x80000000, v13
	v_and_b32_e32 v16, 3, v16
	v_lshl_add_u32 v5, v5, 23, 0x37800000
	v_cndmask_b32_e32 v1, v1, v16, vcc_lo
	v_lshlrev_b32_e32 v1, 21, v1
	v_or3_b32 v1, v13, v5, v1
.LBB4_2548:                             ;   in Loop: Header=BB4_1940 Depth=4
	s_or_b32 exec_lo, exec_lo, s16
	v_add_f32_e32 v1, v4, v1
	v_mov_b32_e32 v13, 0x8000
	s_mov_b32 s72, exec_lo
	v_and_b32_e32 v4, 0x7f800000, v1
	v_cmpx_ne_u32_e32 0x7f800000, v4
	s_cbranch_execz .LBB4_2556
; %bb.2549:                             ;   in Loop: Header=BB4_1940 Depth=4
	v_mov_b32_e32 v13, 0
	s_mov_b32 s73, exec_lo
	v_cmpx_ne_u32_e32 0, v1
	s_cbranch_execz .LBB4_2555
; %bb.2550:                             ;   in Loop: Header=BB4_1940 Depth=4
	v_bfe_u32 v5, v1, 23, 8
	v_and_b32_e32 v4, 0x7fffff, v1
	v_cmp_gt_u32_e64 s16, 0x71, v5
	v_sub_nc_u32_e32 v13, 0x70, v5
	v_cmp_eq_u32_e32 vcc_lo, 0, v5
	v_or_b32_e32 v16, 0x800000, v4
	v_cndmask_b32_e64 v13, 0, v13, s16
	v_cndmask_b32_e32 v4, v16, v4, vcc_lo
	v_cndmask_b32_e64 v13, v13, 0x6f, vcc_lo
	v_lshl_add_u32 v16, 0x200000, v13, -1
	v_lshlrev_b32_e64 v17, v13, 0x100000
	v_and_b32_e32 v16, v16, v4
	v_cmp_eq_u32_e64 s16, v16, v17
	v_lshrrev_b32_e32 v16, v13, v4
	v_add_nc_u32_e32 v4, 0xffffff91, v5
	v_lshrrev_b32_e32 v5, 23, v16
	v_cndmask_b32_e64 v4, v4, 0xffffff92, vcc_lo
	v_xor_b32_e32 v5, 1, v5
	v_add_nc_u32_e32 v4, v13, v4
	v_bfe_u32 v13, v16, 21, 1
	v_add_nc_u32_e32 v13, -1, v13
	v_cndmask_b32_e64 v13, 0, v13, s16
	s_mov_b32 s16, exec_lo
	v_add_nc_u32_e32 v13, v13, v16
	v_and_b32_e32 v13, 0x1fffff, v13
	v_add_nc_u32_e32 v16, v13, v16
                                        ; implicit-def: $vgpr13
	v_cmpx_ne_u32_e64 v4, v5
	s_xor_b32 s16, exec_lo, s16
; %bb.2551:                             ;   in Loop: Header=BB4_1940 Depth=4
	v_cmp_lt_u32_e32 vcc_lo, 0xffffff, v16
	v_sub_nc_u32_e32 v4, v4, v5
	v_cndmask_b32_e64 v5, 0, 1, vcc_lo
	v_add_co_ci_u32_e64 v13, null, 0, v4, vcc_lo
	v_lshrrev_b32_e32 v16, v5, v16
; %bb.2552:                             ;   in Loop: Header=BB4_1940 Depth=4
	s_andn2_saveexec_b32 s16, s16
; %bb.2553:                             ;   in Loop: Header=BB4_1940 Depth=4
	v_bfe_u32 v13, v16, 23, 1
; %bb.2554:                             ;   in Loop: Header=BB4_1940 Depth=4
	s_or_b32 exec_lo, exec_lo, s16
	v_lshrrev_b32_e32 v4, 21, v16
	v_min_i32_e32 v5, 31, v13
	v_cmp_gt_i32_e32 vcc_lo, 32, v13
	v_and_b32_sdwa v1, v1, v101 dst_sel:DWORD dst_unused:UNUSED_PAD src0_sel:BYTE_3 src1_sel:DWORD
	v_lshlrev_b32_e32 v5, 2, v5
	v_cndmask_b32_e32 v4, 3, v4, vcc_lo
	v_and_b32_e32 v5, 0xfc, v5
	v_and_b32_e32 v16, 3, v4
	v_or_b32_e32 v4, v13, v4
	v_or3_b32 v1, v1, v5, v16
	v_cmp_ne_u32_e32 vcc_lo, 0, v4
	v_lshlrev_b32_e32 v1, 8, v1
	v_cndmask_b32_e32 v13, 0, v1, vcc_lo
.LBB4_2555:                             ;   in Loop: Header=BB4_1940 Depth=4
	s_or_b32 exec_lo, exec_lo, s73
.LBB4_2556:                             ;   in Loop: Header=BB4_1940 Depth=4
	s_or_b32 exec_lo, exec_lo, s72
	v_or_b32_e32 v1, v121, v120
	s_mov_b32 s16, 0
	v_cmp_gt_i16_sdwa s72, v1, v100 src0_sel:BYTE_0 src1_sel:DWORD
	s_and_saveexec_b32 s73, s72
	s_xor_b32 s72, exec_lo, s73
	s_cbranch_execz .LBB4_3130
; %bb.2557:                             ;   in Loop: Header=BB4_1940 Depth=4
	v_cmp_eq_u16_sdwa s74, v1, v101 src0_sel:BYTE_0 src1_sel:DWORD
	s_mov_b32 s16, -1
	s_and_saveexec_b32 s73, s74
; %bb.2558:                             ;   in Loop: Header=BB4_1940 Depth=4
	s_xor_b32 s16, exec_lo, -1
; %bb.2559:                             ;   in Loop: Header=BB4_1940 Depth=4
	s_or_b32 exec_lo, exec_lo, s73
	s_and_b32 s16, s16, exec_lo
	s_or_saveexec_b32 s72, s72
	v_mov_b32_e32 v4, 0x7f800001
	s_xor_b32 exec_lo, exec_lo, s72
	s_cbranch_execnz .LBB4_3131
.LBB4_2560:                             ;   in Loop: Header=BB4_1940 Depth=4
	s_or_b32 exec_lo, exec_lo, s72
	s_and_saveexec_b32 s72, s16
	s_cbranch_execz .LBB4_2562
.LBB4_2561:                             ;   in Loop: Header=BB4_1940 Depth=4
	v_and_b32_e32 v4, 3, v1
	v_bfe_u32 v17, v1, 2, 5
	v_lshlrev_b32_e32 v18, 24, v1
	v_ffbh_u32_e32 v5, v4
	v_cmp_eq_u32_e32 vcc_lo, 0, v17
	v_min_u32_e32 v5, 32, v5
	v_subrev_nc_u32_e32 v16, 29, v5
	v_sub_nc_u32_e32 v5, 30, v5
	v_lshlrev_b32_e32 v16, v16, v1
	v_cndmask_b32_e32 v5, v17, v5, vcc_lo
	v_and_b32_e32 v16, 3, v16
	v_lshl_add_u32 v5, v5, 23, 0x37800000
	v_cndmask_b32_e32 v4, v4, v16, vcc_lo
	v_and_b32_e32 v16, 0x80000000, v18
	v_lshlrev_b32_e32 v4, 21, v4
	v_or3_b32 v4, v16, v5, v4
.LBB4_2562:                             ;   in Loop: Header=BB4_1940 Depth=4
	s_or_b32 exec_lo, exec_lo, s72
	v_cmp_gt_i16_sdwa s16, v14, v100 src0_sel:BYTE_0 src1_sel:DWORD
	s_mov_b32 s72, 0
	s_and_saveexec_b32 s73, s16
	s_xor_b32 s16, exec_lo, s73
	s_cbranch_execz .LBB4_3132
; %bb.2563:                             ;   in Loop: Header=BB4_1940 Depth=4
	v_cmp_eq_u16_sdwa s74, v14, v101 src0_sel:BYTE_0 src1_sel:DWORD
	s_mov_b32 s72, -1
	s_and_saveexec_b32 s73, s74
; %bb.2564:                             ;   in Loop: Header=BB4_1940 Depth=4
	s_xor_b32 s72, exec_lo, -1
; %bb.2565:                             ;   in Loop: Header=BB4_1940 Depth=4
	s_or_b32 exec_lo, exec_lo, s73
	s_and_b32 s72, s72, exec_lo
	s_or_saveexec_b32 s16, s16
	v_mov_b32_e32 v5, 0x7f800001
	s_xor_b32 exec_lo, exec_lo, s16
	s_cbranch_execnz .LBB4_3133
.LBB4_2566:                             ;   in Loop: Header=BB4_1940 Depth=4
	s_or_b32 exec_lo, exec_lo, s16
	s_and_saveexec_b32 s16, s72
	s_cbranch_execz .LBB4_2568
.LBB4_2567:                             ;   in Loop: Header=BB4_1940 Depth=4
	v_and_b32_e32 v5, 3, v14
	v_bfe_u32 v16, v14, 2, 5
	v_ffbh_u32_e32 v17, v5
	v_cmp_eq_u32_e32 vcc_lo, 0, v16
	v_min_u32_e32 v17, 32, v17
	v_subrev_nc_u32_e32 v18, 29, v17
	v_sub_nc_u32_e32 v17, 30, v17
	v_lshlrev_b32_e32 v18, v18, v14
	v_cndmask_b32_e32 v16, v16, v17, vcc_lo
	v_lshlrev_b32_e32 v17, 24, v14
	v_and_b32_e32 v18, 3, v18
	v_lshl_add_u32 v16, v16, 23, 0x37800000
	v_and_b32_e32 v17, 0x80000000, v17
	v_cndmask_b32_e32 v5, v5, v18, vcc_lo
	v_lshlrev_b32_e32 v5, 21, v5
	v_or3_b32 v5, v17, v16, v5
.LBB4_2568:                             ;   in Loop: Header=BB4_1940 Depth=4
	s_or_b32 exec_lo, exec_lo, s16
	v_add_f32_e32 v4, v4, v5
	v_mov_b32_e32 v120, 0x80
	s_mov_b32 s72, exec_lo
	v_and_b32_e32 v5, 0x7f800000, v4
	v_cmpx_ne_u32_e32 0x7f800000, v5
	s_cbranch_execz .LBB4_2576
; %bb.2569:                             ;   in Loop: Header=BB4_1940 Depth=4
	v_mov_b32_e32 v120, 0
	s_mov_b32 s73, exec_lo
	v_cmpx_ne_u32_e32 0, v4
	s_cbranch_execz .LBB4_2575
; %bb.2570:                             ;   in Loop: Header=BB4_1940 Depth=4
	v_bfe_u32 v16, v4, 23, 8
	v_and_b32_e32 v5, 0x7fffff, v4
	v_cmp_gt_u32_e64 s16, 0x71, v16
	v_sub_nc_u32_e32 v17, 0x70, v16
	v_cmp_eq_u32_e32 vcc_lo, 0, v16
	v_or_b32_e32 v18, 0x800000, v5
	v_cndmask_b32_e64 v17, 0, v17, s16
	v_cndmask_b32_e32 v5, v18, v5, vcc_lo
	v_cndmask_b32_e64 v17, v17, 0x6f, vcc_lo
	v_lshl_add_u32 v18, 0x200000, v17, -1
	v_lshlrev_b32_e64 v19, v17, 0x100000
	v_and_b32_e32 v18, v18, v5
	v_cmp_eq_u32_e64 s16, v18, v19
	v_lshrrev_b32_e32 v18, v17, v5
	v_add_nc_u32_e32 v5, 0xffffff91, v16
	v_lshrrev_b32_e32 v16, 23, v18
	v_cndmask_b32_e64 v5, v5, 0xffffff92, vcc_lo
	v_xor_b32_e32 v16, 1, v16
	v_add_nc_u32_e32 v5, v17, v5
	v_bfe_u32 v17, v18, 21, 1
	v_add_nc_u32_e32 v17, -1, v17
	v_cndmask_b32_e64 v17, 0, v17, s16
	s_mov_b32 s16, exec_lo
	v_add_nc_u32_e32 v17, v17, v18
	v_and_b32_e32 v17, 0x1fffff, v17
	v_add_nc_u32_e32 v18, v17, v18
                                        ; implicit-def: $vgpr17
	v_cmpx_ne_u32_e64 v5, v16
	s_xor_b32 s16, exec_lo, s16
; %bb.2571:                             ;   in Loop: Header=BB4_1940 Depth=4
	v_cmp_lt_u32_e32 vcc_lo, 0xffffff, v18
	v_sub_nc_u32_e32 v5, v5, v16
	v_cndmask_b32_e64 v16, 0, 1, vcc_lo
	v_add_co_ci_u32_e64 v17, null, 0, v5, vcc_lo
	v_lshrrev_b32_e32 v18, v16, v18
; %bb.2572:                             ;   in Loop: Header=BB4_1940 Depth=4
	s_andn2_saveexec_b32 s16, s16
; %bb.2573:                             ;   in Loop: Header=BB4_1940 Depth=4
	v_bfe_u32 v17, v18, 23, 1
; %bb.2574:                             ;   in Loop: Header=BB4_1940 Depth=4
	s_or_b32 exec_lo, exec_lo, s16
	v_lshrrev_b32_e32 v5, 21, v18
	v_min_i32_e32 v16, 31, v17
	v_cmp_gt_i32_e32 vcc_lo, 32, v17
	v_and_b32_sdwa v4, v4, v101 dst_sel:DWORD dst_unused:UNUSED_PAD src0_sel:BYTE_3 src1_sel:DWORD
	v_lshlrev_b32_e32 v16, 2, v16
	v_cndmask_b32_e32 v5, 3, v5, vcc_lo
	v_and_b32_e32 v16, 0xfc, v16
	v_and_b32_e32 v18, 3, v5
	v_or_b32_e32 v5, v17, v5
	v_or3_b32 v4, v16, v4, v18
	v_cmp_ne_u32_e32 vcc_lo, 0, v5
	v_cndmask_b32_e32 v120, 0, v4, vcc_lo
.LBB4_2575:                             ;   in Loop: Header=BB4_1940 Depth=4
	s_or_b32 exec_lo, exec_lo, s73
.LBB4_2576:                             ;   in Loop: Header=BB4_1940 Depth=4
	s_or_b32 exec_lo, exec_lo, s72
	v_cmp_gt_i16_sdwa s16, v1, v100 src0_sel:BYTE_1 src1_sel:DWORD
	s_mov_b32 s72, 0
	s_and_saveexec_b32 s73, s16
	s_xor_b32 s16, exec_lo, s73
	s_cbranch_execz .LBB4_3134
; %bb.2577:                             ;   in Loop: Header=BB4_1940 Depth=4
	v_cmp_eq_u16_sdwa s74, v1, v101 src0_sel:BYTE_1 src1_sel:DWORD
	s_mov_b32 s72, -1
	s_and_saveexec_b32 s73, s74
; %bb.2578:                             ;   in Loop: Header=BB4_1940 Depth=4
	s_xor_b32 s72, exec_lo, -1
; %bb.2579:                             ;   in Loop: Header=BB4_1940 Depth=4
	s_or_b32 exec_lo, exec_lo, s73
	s_and_b32 s72, s72, exec_lo
	s_or_saveexec_b32 s16, s16
	v_mov_b32_e32 v4, 0x7f800001
	s_xor_b32 exec_lo, exec_lo, s16
	s_cbranch_execnz .LBB4_3135
.LBB4_2580:                             ;   in Loop: Header=BB4_1940 Depth=4
	s_or_b32 exec_lo, exec_lo, s16
	s_and_saveexec_b32 s16, s72
	s_cbranch_execz .LBB4_2582
.LBB4_2581:                             ;   in Loop: Header=BB4_1940 Depth=4
	v_and_b32_sdwa v4, v102, v1 dst_sel:DWORD dst_unused:UNUSED_PAD src0_sel:DWORD src1_sel:BYTE_1
	v_and_b32_e32 v5, 3, v4
	v_bfe_u32 v18, v4, 2, 5
	v_ffbh_u32_e32 v16, v5
	v_cmp_eq_u32_e32 vcc_lo, 0, v18
	v_min_u32_e32 v16, 32, v16
	v_subrev_nc_u32_e32 v17, 29, v16
	v_sub_nc_u32_e32 v16, 30, v16
	v_lshlrev_b32_e32 v4, v17, v4
	v_lshlrev_b32_sdwa v17, v103, v1 dst_sel:DWORD dst_unused:UNUSED_PAD src0_sel:DWORD src1_sel:BYTE_1
	v_cndmask_b32_e32 v16, v18, v16, vcc_lo
	v_and_b32_e32 v4, 3, v4
	v_lshl_add_u32 v16, v16, 23, 0x37800000
	v_cndmask_b32_e32 v4, v5, v4, vcc_lo
	v_and_b32_e32 v5, 0x80000000, v17
	v_lshlrev_b32_e32 v4, 21, v4
	v_or3_b32 v4, v5, v16, v4
.LBB4_2582:                             ;   in Loop: Header=BB4_1940 Depth=4
	s_or_b32 exec_lo, exec_lo, s16
	v_cmp_gt_i16_sdwa s16, v14, v100 src0_sel:BYTE_1 src1_sel:DWORD
	s_mov_b32 s72, 0
	s_and_saveexec_b32 s73, s16
	s_xor_b32 s16, exec_lo, s73
	s_cbranch_execz .LBB4_3136
; %bb.2583:                             ;   in Loop: Header=BB4_1940 Depth=4
	v_cmp_eq_u16_sdwa s74, v14, v101 src0_sel:BYTE_1 src1_sel:DWORD
	s_mov_b32 s72, -1
	s_and_saveexec_b32 s73, s74
; %bb.2584:                             ;   in Loop: Header=BB4_1940 Depth=4
	s_xor_b32 s72, exec_lo, -1
; %bb.2585:                             ;   in Loop: Header=BB4_1940 Depth=4
	s_or_b32 exec_lo, exec_lo, s73
	s_and_b32 s72, s72, exec_lo
	s_or_saveexec_b32 s16, s16
	v_mov_b32_e32 v5, 0x7f800001
	s_xor_b32 exec_lo, exec_lo, s16
	s_cbranch_execnz .LBB4_3137
.LBB4_2586:                             ;   in Loop: Header=BB4_1940 Depth=4
	s_or_b32 exec_lo, exec_lo, s16
	s_and_saveexec_b32 s16, s72
	s_cbranch_execz .LBB4_2588
.LBB4_2587:                             ;   in Loop: Header=BB4_1940 Depth=4
	v_and_b32_sdwa v5, v102, v14 dst_sel:DWORD dst_unused:UNUSED_PAD src0_sel:DWORD src1_sel:BYTE_1
	v_and_b32_e32 v16, 3, v5
	v_bfe_u32 v19, v5, 2, 5
	v_ffbh_u32_e32 v17, v16
	v_cmp_eq_u32_e32 vcc_lo, 0, v19
	v_min_u32_e32 v17, 32, v17
	v_subrev_nc_u32_e32 v18, 29, v17
	v_sub_nc_u32_e32 v17, 30, v17
	v_lshlrev_b32_e32 v5, v18, v5
	v_lshlrev_b32_sdwa v18, v103, v14 dst_sel:DWORD dst_unused:UNUSED_PAD src0_sel:DWORD src1_sel:BYTE_1
	v_cndmask_b32_e32 v17, v19, v17, vcc_lo
	v_and_b32_e32 v5, 3, v5
	v_lshl_add_u32 v17, v17, 23, 0x37800000
	v_cndmask_b32_e32 v5, v16, v5, vcc_lo
	v_and_b32_e32 v16, 0x80000000, v18
	v_lshlrev_b32_e32 v5, 21, v5
	v_or3_b32 v5, v16, v17, v5
.LBB4_2588:                             ;   in Loop: Header=BB4_1940 Depth=4
	s_or_b32 exec_lo, exec_lo, s16
	v_add_f32_e32 v4, v4, v5
	v_mov_b32_e32 v18, 0x8000
	s_mov_b32 s72, exec_lo
	v_and_b32_e32 v5, 0x7f800000, v4
	v_cmpx_ne_u32_e32 0x7f800000, v5
	s_cbranch_execz .LBB4_2596
; %bb.2589:                             ;   in Loop: Header=BB4_1940 Depth=4
	v_mov_b32_e32 v18, 0
	s_mov_b32 s73, exec_lo
	v_cmpx_ne_u32_e32 0, v4
	s_cbranch_execz .LBB4_2595
; %bb.2590:                             ;   in Loop: Header=BB4_1940 Depth=4
	v_bfe_u32 v16, v4, 23, 8
	v_and_b32_e32 v5, 0x7fffff, v4
	v_cmp_gt_u32_e64 s16, 0x71, v16
	v_sub_nc_u32_e32 v17, 0x70, v16
	v_cmp_eq_u32_e32 vcc_lo, 0, v16
	v_or_b32_e32 v18, 0x800000, v5
	v_cndmask_b32_e64 v17, 0, v17, s16
	v_cndmask_b32_e32 v5, v18, v5, vcc_lo
	v_cndmask_b32_e64 v17, v17, 0x6f, vcc_lo
	v_lshl_add_u32 v18, 0x200000, v17, -1
	v_lshlrev_b32_e64 v19, v17, 0x100000
	v_and_b32_e32 v18, v18, v5
	v_cmp_eq_u32_e64 s16, v18, v19
	v_lshrrev_b32_e32 v18, v17, v5
	v_add_nc_u32_e32 v5, 0xffffff91, v16
	v_lshrrev_b32_e32 v16, 23, v18
	v_cndmask_b32_e64 v5, v5, 0xffffff92, vcc_lo
	v_xor_b32_e32 v16, 1, v16
	v_add_nc_u32_e32 v5, v17, v5
	v_bfe_u32 v17, v18, 21, 1
	v_add_nc_u32_e32 v17, -1, v17
	v_cndmask_b32_e64 v17, 0, v17, s16
	s_mov_b32 s16, exec_lo
	v_add_nc_u32_e32 v17, v17, v18
	v_and_b32_e32 v17, 0x1fffff, v17
	v_add_nc_u32_e32 v17, v17, v18
                                        ; implicit-def: $vgpr18
	v_cmpx_ne_u32_e64 v5, v16
	s_xor_b32 s16, exec_lo, s16
; %bb.2591:                             ;   in Loop: Header=BB4_1940 Depth=4
	v_cmp_lt_u32_e32 vcc_lo, 0xffffff, v17
	v_sub_nc_u32_e32 v5, v5, v16
	v_cndmask_b32_e64 v16, 0, 1, vcc_lo
	v_add_co_ci_u32_e64 v18, null, 0, v5, vcc_lo
	v_lshrrev_b32_e32 v17, v16, v17
; %bb.2592:                             ;   in Loop: Header=BB4_1940 Depth=4
	s_andn2_saveexec_b32 s16, s16
; %bb.2593:                             ;   in Loop: Header=BB4_1940 Depth=4
	v_bfe_u32 v18, v17, 23, 1
; %bb.2594:                             ;   in Loop: Header=BB4_1940 Depth=4
	s_or_b32 exec_lo, exec_lo, s16
	v_lshrrev_b32_e32 v5, 21, v17
	v_min_i32_e32 v16, 31, v18
	v_cmp_gt_i32_e32 vcc_lo, 32, v18
	v_and_b32_sdwa v4, v4, v101 dst_sel:DWORD dst_unused:UNUSED_PAD src0_sel:BYTE_3 src1_sel:DWORD
	v_lshlrev_b32_e32 v16, 2, v16
	v_cndmask_b32_e32 v5, 3, v5, vcc_lo
	v_and_b32_e32 v16, 0xfc, v16
	v_or_b32_e32 v17, v18, v5
	v_and_b32_e32 v5, 3, v5
	v_cmp_ne_u32_e32 vcc_lo, 0, v17
	v_or3_b32 v4, v4, v16, v5
	v_lshlrev_b32_e32 v4, 8, v4
	v_cndmask_b32_e32 v18, 0, v4, vcc_lo
.LBB4_2595:                             ;   in Loop: Header=BB4_1940 Depth=4
	s_or_b32 exec_lo, exec_lo, s73
.LBB4_2596:                             ;   in Loop: Header=BB4_1940 Depth=4
	s_or_b32 exec_lo, exec_lo, s72
	v_or_b32_e32 v5, v111, v109
	s_mov_b32 s16, 0
	v_cmp_gt_i16_sdwa s72, v5, v100 src0_sel:BYTE_0 src1_sel:DWORD
	s_and_saveexec_b32 s73, s72
	s_xor_b32 s72, exec_lo, s73
	s_cbranch_execz .LBB4_3138
; %bb.2597:                             ;   in Loop: Header=BB4_1940 Depth=4
	v_cmp_eq_u16_sdwa s74, v5, v101 src0_sel:BYTE_0 src1_sel:DWORD
	s_mov_b32 s16, -1
	s_and_saveexec_b32 s73, s74
; %bb.2598:                             ;   in Loop: Header=BB4_1940 Depth=4
	s_xor_b32 s16, exec_lo, -1
; %bb.2599:                             ;   in Loop: Header=BB4_1940 Depth=4
	s_or_b32 exec_lo, exec_lo, s73
	s_and_b32 s16, s16, exec_lo
	s_or_saveexec_b32 s72, s72
	v_mov_b32_e32 v4, 0x7f800001
	s_xor_b32 exec_lo, exec_lo, s72
	s_cbranch_execnz .LBB4_3139
.LBB4_2600:                             ;   in Loop: Header=BB4_1940 Depth=4
	s_or_b32 exec_lo, exec_lo, s72
	v_lshl_or_b32 v1, v5, 16, v1
	s_and_saveexec_b32 s72, s16
	s_cbranch_execz .LBB4_2602
.LBB4_2601:                             ;   in Loop: Header=BB4_1940 Depth=4
	v_bfe_u32 v4, v1, 16, 2
	v_bfe_u32 v17, v1, 18, 5
	v_lshlrev_b32_e32 v19, 8, v1
	v_ffbh_u32_e32 v5, v4
	v_cmp_eq_u32_e32 vcc_lo, 0, v17
	v_min_u32_e32 v5, 32, v5
	v_subrev_nc_u32_e32 v16, 29, v5
	v_sub_nc_u32_e32 v5, 30, v5
	v_lshlrev_b32_sdwa v16, v16, v1 dst_sel:DWORD dst_unused:UNUSED_PAD src0_sel:DWORD src1_sel:WORD_1
	v_cndmask_b32_e32 v5, v17, v5, vcc_lo
	v_and_b32_e32 v16, 3, v16
	v_lshl_add_u32 v5, v5, 23, 0x37800000
	v_cndmask_b32_e32 v4, v4, v16, vcc_lo
	v_and_b32_e32 v16, 0x80000000, v19
	v_lshlrev_b32_e32 v4, 21, v4
	v_or3_b32 v4, v16, v5, v4
.LBB4_2602:                             ;   in Loop: Header=BB4_1940 Depth=4
	s_or_b32 exec_lo, exec_lo, s72
	v_and_b32_sdwa v16, v14, v112 dst_sel:DWORD dst_unused:UNUSED_PAD src0_sel:WORD_1 src1_sel:DWORD
	s_mov_b32 s72, 0
	s_mov_b32 s16, exec_lo
	v_cmpx_lt_i16_e32 0x7f, v16
	s_xor_b32 s16, exec_lo, s16
	s_cbranch_execz .LBB4_3140
; %bb.2603:                             ;   in Loop: Header=BB4_1940 Depth=4
	s_mov_b32 s72, -1
	s_mov_b32 s73, exec_lo
	v_cmpx_eq_u16_e32 0x80, v16
; %bb.2604:                             ;   in Loop: Header=BB4_1940 Depth=4
	s_xor_b32 s72, exec_lo, -1
; %bb.2605:                             ;   in Loop: Header=BB4_1940 Depth=4
	s_or_b32 exec_lo, exec_lo, s73
	s_and_b32 s72, s72, exec_lo
                                        ; implicit-def: $vgpr16
	s_or_saveexec_b32 s16, s16
	v_mov_b32_e32 v5, 0x7f800001
	s_xor_b32 exec_lo, exec_lo, s16
	s_cbranch_execnz .LBB4_3141
.LBB4_2606:                             ;   in Loop: Header=BB4_1940 Depth=4
	s_or_b32 exec_lo, exec_lo, s16
	s_and_saveexec_b32 s16, s72
	s_cbranch_execz .LBB4_2608
.LBB4_2607:                             ;   in Loop: Header=BB4_1940 Depth=4
	v_bfe_u32 v5, v14, 16, 2
	v_bfe_u32 v16, v14, 18, 5
	v_ffbh_u32_e32 v17, v5
	v_cmp_eq_u32_e32 vcc_lo, 0, v16
	v_min_u32_e32 v17, 32, v17
	v_subrev_nc_u32_e32 v19, 29, v17
	v_sub_nc_u32_e32 v17, 30, v17
	v_lshlrev_b32_sdwa v19, v19, v14 dst_sel:DWORD dst_unused:UNUSED_PAD src0_sel:DWORD src1_sel:WORD_1
	v_cndmask_b32_e32 v16, v16, v17, vcc_lo
	v_lshlrev_b32_e32 v17, 8, v14
	v_and_b32_e32 v19, 3, v19
	v_lshl_add_u32 v16, v16, 23, 0x37800000
	v_and_b32_e32 v17, 0x80000000, v17
	v_cndmask_b32_e32 v5, v5, v19, vcc_lo
	v_lshlrev_b32_e32 v5, 21, v5
	v_or3_b32 v5, v17, v16, v5
.LBB4_2608:                             ;   in Loop: Header=BB4_1940 Depth=4
	s_or_b32 exec_lo, exec_lo, s16
	v_add_f32_e32 v4, v4, v5
	v_mov_b32_e32 v19, 0x80
	s_mov_b32 s72, exec_lo
	v_and_b32_e32 v5, 0x7f800000, v4
	v_cmpx_ne_u32_e32 0x7f800000, v5
	s_cbranch_execz .LBB4_2616
; %bb.2609:                             ;   in Loop: Header=BB4_1940 Depth=4
	v_mov_b32_e32 v19, 0
	s_mov_b32 s73, exec_lo
	v_cmpx_ne_u32_e32 0, v4
	s_cbranch_execz .LBB4_2615
; %bb.2610:                             ;   in Loop: Header=BB4_1940 Depth=4
	v_bfe_u32 v16, v4, 23, 8
	v_and_b32_e32 v5, 0x7fffff, v4
	v_cmp_gt_u32_e64 s16, 0x71, v16
	v_sub_nc_u32_e32 v17, 0x70, v16
	v_cmp_eq_u32_e32 vcc_lo, 0, v16
	v_or_b32_e32 v19, 0x800000, v5
	v_cndmask_b32_e64 v17, 0, v17, s16
	v_cndmask_b32_e32 v5, v19, v5, vcc_lo
	v_cndmask_b32_e64 v17, v17, 0x6f, vcc_lo
	v_lshl_add_u32 v19, 0x200000, v17, -1
	v_lshlrev_b32_e64 v20, v17, 0x100000
	v_and_b32_e32 v19, v19, v5
	v_cmp_eq_u32_e64 s16, v19, v20
	v_lshrrev_b32_e32 v19, v17, v5
	v_add_nc_u32_e32 v5, 0xffffff91, v16
	v_lshrrev_b32_e32 v16, 23, v19
	v_cndmask_b32_e64 v5, v5, 0xffffff92, vcc_lo
	v_xor_b32_e32 v16, 1, v16
	v_add_nc_u32_e32 v5, v17, v5
	v_bfe_u32 v17, v19, 21, 1
	v_add_nc_u32_e32 v17, -1, v17
	v_cndmask_b32_e64 v17, 0, v17, s16
	s_mov_b32 s16, exec_lo
	v_add_nc_u32_e32 v17, v17, v19
	v_and_b32_e32 v17, 0x1fffff, v17
	v_add_nc_u32_e32 v19, v17, v19
                                        ; implicit-def: $vgpr17
	v_cmpx_ne_u32_e64 v5, v16
	s_xor_b32 s16, exec_lo, s16
; %bb.2611:                             ;   in Loop: Header=BB4_1940 Depth=4
	v_cmp_lt_u32_e32 vcc_lo, 0xffffff, v19
	v_sub_nc_u32_e32 v5, v5, v16
	v_cndmask_b32_e64 v16, 0, 1, vcc_lo
	v_add_co_ci_u32_e64 v17, null, 0, v5, vcc_lo
	v_lshrrev_b32_e32 v19, v16, v19
; %bb.2612:                             ;   in Loop: Header=BB4_1940 Depth=4
	s_andn2_saveexec_b32 s16, s16
; %bb.2613:                             ;   in Loop: Header=BB4_1940 Depth=4
	v_bfe_u32 v17, v19, 23, 1
; %bb.2614:                             ;   in Loop: Header=BB4_1940 Depth=4
	s_or_b32 exec_lo, exec_lo, s16
	v_lshrrev_b32_e32 v5, 21, v19
	v_min_i32_e32 v16, 31, v17
	v_cmp_gt_i32_e32 vcc_lo, 32, v17
	v_and_b32_sdwa v4, v4, v101 dst_sel:DWORD dst_unused:UNUSED_PAD src0_sel:BYTE_3 src1_sel:DWORD
	v_lshlrev_b32_e32 v16, 2, v16
	v_cndmask_b32_e32 v5, 3, v5, vcc_lo
	v_and_b32_e32 v16, 0xfc, v16
	v_and_b32_e32 v19, 3, v5
	v_or_b32_e32 v5, v17, v5
	v_or3_b32 v4, v16, v4, v19
	v_cmp_ne_u32_e32 vcc_lo, 0, v5
	v_cndmask_b32_e32 v19, 0, v4, vcc_lo
.LBB4_2615:                             ;   in Loop: Header=BB4_1940 Depth=4
	s_or_b32 exec_lo, exec_lo, s73
.LBB4_2616:                             ;   in Loop: Header=BB4_1940 Depth=4
	s_or_b32 exec_lo, exec_lo, s72
	v_cmp_gt_i16_sdwa s72, v1, v100 src0_sel:BYTE_3 src1_sel:DWORD
	s_mov_b32 s16, 0
	s_and_saveexec_b32 s73, s72
	s_xor_b32 s72, exec_lo, s73
	s_cbranch_execz .LBB4_3142
; %bb.2617:                             ;   in Loop: Header=BB4_1940 Depth=4
	v_cmp_eq_u16_sdwa s74, v1, v101 src0_sel:BYTE_3 src1_sel:DWORD
	s_mov_b32 s16, -1
	s_and_saveexec_b32 s73, s74
; %bb.2618:                             ;   in Loop: Header=BB4_1940 Depth=4
	s_xor_b32 s16, exec_lo, -1
; %bb.2619:                             ;   in Loop: Header=BB4_1940 Depth=4
	s_or_b32 exec_lo, exec_lo, s73
	s_and_b32 s16, s16, exec_lo
	s_or_saveexec_b32 s72, s72
	v_mov_b32_e32 v4, 0x7f800001
	s_xor_b32 exec_lo, exec_lo, s72
	s_cbranch_execnz .LBB4_3143
.LBB4_2620:                             ;   in Loop: Header=BB4_1940 Depth=4
	s_or_b32 exec_lo, exec_lo, s72
	s_and_saveexec_b32 s72, s16
	s_cbranch_execz .LBB4_2622
.LBB4_2621:                             ;   in Loop: Header=BB4_1940 Depth=4
	v_bfe_u32 v4, v1, 24, 2
	v_bfe_u32 v17, v1, 26, 5
	v_ffbh_u32_e32 v5, v4
	v_cmp_eq_u32_e32 vcc_lo, 0, v17
	v_min_u32_e32 v5, 32, v5
	v_subrev_nc_u32_e32 v16, 29, v5
	v_sub_nc_u32_e32 v5, 30, v5
	v_lshlrev_b32_sdwa v16, v16, v1 dst_sel:DWORD dst_unused:UNUSED_PAD src0_sel:DWORD src1_sel:BYTE_3
	v_cndmask_b32_e32 v5, v17, v5, vcc_lo
	v_and_b32_e32 v1, 0x80000000, v1
	v_and_b32_e32 v16, 3, v16
	v_lshl_add_u32 v5, v5, 23, 0x37800000
	v_cndmask_b32_e32 v4, v4, v16, vcc_lo
	v_lshlrev_b32_e32 v4, 21, v4
	v_or3_b32 v4, v1, v5, v4
.LBB4_2622:                             ;   in Loop: Header=BB4_1940 Depth=4
	s_or_b32 exec_lo, exec_lo, s72
	v_cmp_gt_i16_sdwa s72, v14, v100 src0_sel:BYTE_3 src1_sel:DWORD
	s_mov_b32 s16, 0
	s_and_saveexec_b32 s73, s72
	s_xor_b32 s72, exec_lo, s73
	s_cbranch_execz .LBB4_3144
; %bb.2623:                             ;   in Loop: Header=BB4_1940 Depth=4
	v_cmp_eq_u16_sdwa s74, v14, v101 src0_sel:BYTE_3 src1_sel:DWORD
	s_mov_b32 s16, -1
	s_and_saveexec_b32 s73, s74
; %bb.2624:                             ;   in Loop: Header=BB4_1940 Depth=4
	s_xor_b32 s16, exec_lo, -1
; %bb.2625:                             ;   in Loop: Header=BB4_1940 Depth=4
	s_or_b32 exec_lo, exec_lo, s73
	s_and_b32 s16, s16, exec_lo
	s_or_saveexec_b32 s72, s72
	v_mov_b32_e32 v1, 0x7f800001
	s_xor_b32 exec_lo, exec_lo, s72
	s_cbranch_execnz .LBB4_3145
.LBB4_2626:                             ;   in Loop: Header=BB4_1940 Depth=4
	s_or_b32 exec_lo, exec_lo, s72
	s_and_saveexec_b32 s72, s16
	s_cbranch_execz .LBB4_2628
.LBB4_2627:                             ;   in Loop: Header=BB4_1940 Depth=4
	v_bfe_u32 v1, v14, 24, 2
	v_bfe_u32 v17, v14, 26, 5
	v_ffbh_u32_e32 v5, v1
	v_cmp_eq_u32_e32 vcc_lo, 0, v17
	v_min_u32_e32 v5, 32, v5
	v_subrev_nc_u32_e32 v16, 29, v5
	v_sub_nc_u32_e32 v5, 30, v5
	v_lshlrev_b32_sdwa v16, v16, v14 dst_sel:DWORD dst_unused:UNUSED_PAD src0_sel:DWORD src1_sel:BYTE_3
	v_cndmask_b32_e32 v5, v17, v5, vcc_lo
	v_and_b32_e32 v14, 0x80000000, v14
	v_and_b32_e32 v16, 3, v16
	v_lshl_add_u32 v5, v5, 23, 0x37800000
	v_cndmask_b32_e32 v1, v1, v16, vcc_lo
	v_lshlrev_b32_e32 v1, 21, v1
	v_or3_b32 v1, v14, v5, v1
.LBB4_2628:                             ;   in Loop: Header=BB4_1940 Depth=4
	s_or_b32 exec_lo, exec_lo, s72
	v_add_f32_e32 v1, v4, v1
	v_mov_b32_e32 v14, 0x8000
	s_mov_b32 s72, exec_lo
	v_and_b32_e32 v4, 0x7f800000, v1
	v_cmpx_ne_u32_e32 0x7f800000, v4
	s_cbranch_execz .LBB4_2636
; %bb.2629:                             ;   in Loop: Header=BB4_1940 Depth=4
	v_mov_b32_e32 v14, 0
	s_mov_b32 s73, exec_lo
	v_cmpx_ne_u32_e32 0, v1
	s_cbranch_execz .LBB4_2635
; %bb.2630:                             ;   in Loop: Header=BB4_1940 Depth=4
	v_bfe_u32 v5, v1, 23, 8
	v_and_b32_e32 v4, 0x7fffff, v1
	v_cmp_gt_u32_e64 s16, 0x71, v5
	v_sub_nc_u32_e32 v14, 0x70, v5
	v_cmp_eq_u32_e32 vcc_lo, 0, v5
	v_or_b32_e32 v16, 0x800000, v4
	v_cndmask_b32_e64 v14, 0, v14, s16
	v_cndmask_b32_e32 v4, v16, v4, vcc_lo
	v_cndmask_b32_e64 v14, v14, 0x6f, vcc_lo
	v_lshl_add_u32 v16, 0x200000, v14, -1
	v_lshlrev_b32_e64 v17, v14, 0x100000
	v_and_b32_e32 v16, v16, v4
	v_cmp_eq_u32_e64 s16, v16, v17
	v_lshrrev_b32_e32 v16, v14, v4
	v_add_nc_u32_e32 v4, 0xffffff91, v5
	v_lshrrev_b32_e32 v5, 23, v16
	v_cndmask_b32_e64 v4, v4, 0xffffff92, vcc_lo
	v_xor_b32_e32 v5, 1, v5
	v_add_nc_u32_e32 v4, v14, v4
	v_bfe_u32 v14, v16, 21, 1
	v_add_nc_u32_e32 v14, -1, v14
	v_cndmask_b32_e64 v14, 0, v14, s16
	s_mov_b32 s16, exec_lo
	v_add_nc_u32_e32 v14, v14, v16
	v_and_b32_e32 v14, 0x1fffff, v14
	v_add_nc_u32_e32 v16, v14, v16
                                        ; implicit-def: $vgpr14
	v_cmpx_ne_u32_e64 v4, v5
	s_xor_b32 s16, exec_lo, s16
; %bb.2631:                             ;   in Loop: Header=BB4_1940 Depth=4
	v_cmp_lt_u32_e32 vcc_lo, 0xffffff, v16
	v_sub_nc_u32_e32 v4, v4, v5
	v_cndmask_b32_e64 v5, 0, 1, vcc_lo
	v_add_co_ci_u32_e64 v14, null, 0, v4, vcc_lo
	v_lshrrev_b32_e32 v16, v5, v16
; %bb.2632:                             ;   in Loop: Header=BB4_1940 Depth=4
	s_andn2_saveexec_b32 s16, s16
; %bb.2633:                             ;   in Loop: Header=BB4_1940 Depth=4
	v_bfe_u32 v14, v16, 23, 1
; %bb.2634:                             ;   in Loop: Header=BB4_1940 Depth=4
	s_or_b32 exec_lo, exec_lo, s16
	v_lshrrev_b32_e32 v4, 21, v16
	v_min_i32_e32 v5, 31, v14
	v_cmp_gt_i32_e32 vcc_lo, 32, v14
	v_and_b32_sdwa v1, v1, v101 dst_sel:DWORD dst_unused:UNUSED_PAD src0_sel:BYTE_3 src1_sel:DWORD
	v_lshlrev_b32_e32 v5, 2, v5
	v_cndmask_b32_e32 v4, 3, v4, vcc_lo
	v_and_b32_e32 v5, 0xfc, v5
	v_and_b32_e32 v16, 3, v4
	v_or_b32_e32 v4, v14, v4
	v_or3_b32 v1, v1, v5, v16
	v_cmp_ne_u32_e32 vcc_lo, 0, v4
	v_lshlrev_b32_e32 v1, 8, v1
	v_cndmask_b32_e32 v14, 0, v1, vcc_lo
.LBB4_2635:                             ;   in Loop: Header=BB4_1940 Depth=4
	s_or_b32 exec_lo, exec_lo, s73
.LBB4_2636:                             ;   in Loop: Header=BB4_1940 Depth=4
	s_or_b32 exec_lo, exec_lo, s72
	v_or_b32_e32 v1, v108, v106
	s_mov_b32 s16, 0
	v_cmp_gt_i16_sdwa s72, v1, v100 src0_sel:BYTE_0 src1_sel:DWORD
	s_and_saveexec_b32 s73, s72
	s_xor_b32 s72, exec_lo, s73
	s_cbranch_execz .LBB4_3146
; %bb.2637:                             ;   in Loop: Header=BB4_1940 Depth=4
	v_cmp_eq_u16_sdwa s74, v1, v101 src0_sel:BYTE_0 src1_sel:DWORD
	s_mov_b32 s16, -1
	s_and_saveexec_b32 s73, s74
; %bb.2638:                             ;   in Loop: Header=BB4_1940 Depth=4
	s_xor_b32 s16, exec_lo, -1
; %bb.2639:                             ;   in Loop: Header=BB4_1940 Depth=4
	s_or_b32 exec_lo, exec_lo, s73
	s_and_b32 s16, s16, exec_lo
	s_or_saveexec_b32 s72, s72
	v_mov_b32_e32 v4, 0x7f800001
	s_xor_b32 exec_lo, exec_lo, s72
	s_cbranch_execnz .LBB4_3147
.LBB4_2640:                             ;   in Loop: Header=BB4_1940 Depth=4
	s_or_b32 exec_lo, exec_lo, s72
	s_and_saveexec_b32 s72, s16
	s_cbranch_execz .LBB4_2642
.LBB4_2641:                             ;   in Loop: Header=BB4_1940 Depth=4
	v_and_b32_e32 v4, 3, v1
	v_bfe_u32 v17, v1, 2, 5
	v_lshlrev_b32_e32 v20, 24, v1
	v_ffbh_u32_e32 v5, v4
	v_cmp_eq_u32_e32 vcc_lo, 0, v17
	v_min_u32_e32 v5, 32, v5
	v_subrev_nc_u32_e32 v16, 29, v5
	v_sub_nc_u32_e32 v5, 30, v5
	v_lshlrev_b32_e32 v16, v16, v1
	v_cndmask_b32_e32 v5, v17, v5, vcc_lo
	v_and_b32_e32 v16, 3, v16
	v_lshl_add_u32 v5, v5, 23, 0x37800000
	v_cndmask_b32_e32 v4, v4, v16, vcc_lo
	v_and_b32_e32 v16, 0x80000000, v20
	v_lshlrev_b32_e32 v4, 21, v4
	v_or3_b32 v4, v16, v5, v4
.LBB4_2642:                             ;   in Loop: Header=BB4_1940 Depth=4
	s_or_b32 exec_lo, exec_lo, s72
	v_cmp_gt_i16_sdwa s72, v15, v100 src0_sel:BYTE_0 src1_sel:DWORD
	s_mov_b32 s16, 0
	s_and_saveexec_b32 s73, s72
	s_xor_b32 s72, exec_lo, s73
	s_cbranch_execz .LBB4_3148
; %bb.2643:                             ;   in Loop: Header=BB4_1940 Depth=4
	v_cmp_eq_u16_sdwa s74, v15, v101 src0_sel:BYTE_0 src1_sel:DWORD
	s_mov_b32 s16, -1
	s_and_saveexec_b32 s73, s74
; %bb.2644:                             ;   in Loop: Header=BB4_1940 Depth=4
	s_xor_b32 s16, exec_lo, -1
; %bb.2645:                             ;   in Loop: Header=BB4_1940 Depth=4
	s_or_b32 exec_lo, exec_lo, s73
	s_and_b32 s16, s16, exec_lo
	s_or_saveexec_b32 s72, s72
	v_mov_b32_e32 v5, 0x7f800001
	s_xor_b32 exec_lo, exec_lo, s72
	s_cbranch_execnz .LBB4_3149
.LBB4_2646:                             ;   in Loop: Header=BB4_1940 Depth=4
	s_or_b32 exec_lo, exec_lo, s72
	s_and_saveexec_b32 s72, s16
	s_cbranch_execz .LBB4_2648
.LBB4_2647:                             ;   in Loop: Header=BB4_1940 Depth=4
	v_and_b32_e32 v5, 3, v15
	v_bfe_u32 v20, v15, 2, 5
	v_lshlrev_b32_e32 v21, 24, v15
	v_ffbh_u32_e32 v16, v5
	v_cmp_eq_u32_e32 vcc_lo, 0, v20
	v_min_u32_e32 v16, 32, v16
	v_subrev_nc_u32_e32 v17, 29, v16
	v_sub_nc_u32_e32 v16, 30, v16
	v_lshlrev_b32_e32 v17, v17, v15
	v_cndmask_b32_e32 v16, v20, v16, vcc_lo
	v_and_b32_e32 v17, 3, v17
	v_lshl_add_u32 v16, v16, 23, 0x37800000
	v_cndmask_b32_e32 v5, v5, v17, vcc_lo
	v_and_b32_e32 v17, 0x80000000, v21
	v_lshlrev_b32_e32 v5, 21, v5
	v_or3_b32 v5, v17, v16, v5
.LBB4_2648:                             ;   in Loop: Header=BB4_1940 Depth=4
	s_or_b32 exec_lo, exec_lo, s72
	v_add_f32_e32 v4, v4, v5
	v_mov_b32_e32 v20, 0x80
	s_mov_b32 s72, exec_lo
	v_and_b32_e32 v5, 0x7f800000, v4
	v_cmpx_ne_u32_e32 0x7f800000, v5
	s_cbranch_execz .LBB4_2656
; %bb.2649:                             ;   in Loop: Header=BB4_1940 Depth=4
	v_mov_b32_e32 v20, 0
	s_mov_b32 s73, exec_lo
	v_cmpx_ne_u32_e32 0, v4
	s_cbranch_execz .LBB4_2655
; %bb.2650:                             ;   in Loop: Header=BB4_1940 Depth=4
	v_bfe_u32 v16, v4, 23, 8
	v_and_b32_e32 v5, 0x7fffff, v4
	v_cmp_gt_u32_e64 s16, 0x71, v16
	v_sub_nc_u32_e32 v17, 0x70, v16
	v_cmp_eq_u32_e32 vcc_lo, 0, v16
	v_or_b32_e32 v20, 0x800000, v5
	v_cndmask_b32_e64 v17, 0, v17, s16
	v_cndmask_b32_e32 v5, v20, v5, vcc_lo
	v_cndmask_b32_e64 v17, v17, 0x6f, vcc_lo
	v_lshl_add_u32 v20, 0x200000, v17, -1
	v_lshlrev_b32_e64 v21, v17, 0x100000
	v_and_b32_e32 v20, v20, v5
	v_cmp_eq_u32_e64 s16, v20, v21
	v_lshrrev_b32_e32 v20, v17, v5
	v_add_nc_u32_e32 v5, 0xffffff91, v16
	v_lshrrev_b32_e32 v16, 23, v20
	v_cndmask_b32_e64 v5, v5, 0xffffff92, vcc_lo
	v_xor_b32_e32 v16, 1, v16
	v_add_nc_u32_e32 v5, v17, v5
	v_bfe_u32 v17, v20, 21, 1
	v_add_nc_u32_e32 v17, -1, v17
	v_cndmask_b32_e64 v17, 0, v17, s16
	s_mov_b32 s16, exec_lo
	v_add_nc_u32_e32 v17, v17, v20
	v_and_b32_e32 v17, 0x1fffff, v17
	v_add_nc_u32_e32 v20, v17, v20
                                        ; implicit-def: $vgpr17
	v_cmpx_ne_u32_e64 v5, v16
	s_xor_b32 s16, exec_lo, s16
; %bb.2651:                             ;   in Loop: Header=BB4_1940 Depth=4
	v_cmp_lt_u32_e32 vcc_lo, 0xffffff, v20
	v_sub_nc_u32_e32 v5, v5, v16
	v_cndmask_b32_e64 v16, 0, 1, vcc_lo
	v_add_co_ci_u32_e64 v17, null, 0, v5, vcc_lo
	v_lshrrev_b32_e32 v20, v16, v20
; %bb.2652:                             ;   in Loop: Header=BB4_1940 Depth=4
	s_andn2_saveexec_b32 s16, s16
; %bb.2653:                             ;   in Loop: Header=BB4_1940 Depth=4
	v_bfe_u32 v17, v20, 23, 1
; %bb.2654:                             ;   in Loop: Header=BB4_1940 Depth=4
	s_or_b32 exec_lo, exec_lo, s16
	v_lshrrev_b32_e32 v5, 21, v20
	v_min_i32_e32 v16, 31, v17
	v_cmp_gt_i32_e32 vcc_lo, 32, v17
	v_and_b32_sdwa v4, v4, v101 dst_sel:DWORD dst_unused:UNUSED_PAD src0_sel:BYTE_3 src1_sel:DWORD
	v_lshlrev_b32_e32 v16, 2, v16
	v_cndmask_b32_e32 v5, 3, v5, vcc_lo
	v_and_b32_e32 v16, 0xfc, v16
	v_and_b32_e32 v20, 3, v5
	v_or_b32_e32 v5, v17, v5
	v_or3_b32 v4, v16, v4, v20
	v_cmp_ne_u32_e32 vcc_lo, 0, v5
	v_cndmask_b32_e32 v20, 0, v4, vcc_lo
.LBB4_2655:                             ;   in Loop: Header=BB4_1940 Depth=4
	s_or_b32 exec_lo, exec_lo, s73
.LBB4_2656:                             ;   in Loop: Header=BB4_1940 Depth=4
	s_or_b32 exec_lo, exec_lo, s72
	v_cmp_gt_i16_sdwa s72, v1, v100 src0_sel:BYTE_1 src1_sel:DWORD
	s_mov_b32 s16, 0
	s_and_saveexec_b32 s73, s72
	s_xor_b32 s72, exec_lo, s73
	s_cbranch_execz .LBB4_3150
; %bb.2657:                             ;   in Loop: Header=BB4_1940 Depth=4
	v_cmp_eq_u16_sdwa s74, v1, v101 src0_sel:BYTE_1 src1_sel:DWORD
	s_mov_b32 s16, -1
	s_and_saveexec_b32 s73, s74
; %bb.2658:                             ;   in Loop: Header=BB4_1940 Depth=4
	s_xor_b32 s16, exec_lo, -1
; %bb.2659:                             ;   in Loop: Header=BB4_1940 Depth=4
	s_or_b32 exec_lo, exec_lo, s73
	s_and_b32 s16, s16, exec_lo
	s_or_saveexec_b32 s72, s72
	v_mov_b32_e32 v4, 0x7f800001
	s_xor_b32 exec_lo, exec_lo, s72
	s_cbranch_execnz .LBB4_3151
.LBB4_2660:                             ;   in Loop: Header=BB4_1940 Depth=4
	s_or_b32 exec_lo, exec_lo, s72
	s_and_saveexec_b32 s72, s16
	s_cbranch_execz .LBB4_2662
.LBB4_2661:                             ;   in Loop: Header=BB4_1940 Depth=4
	v_and_b32_sdwa v4, v102, v1 dst_sel:DWORD dst_unused:UNUSED_PAD src0_sel:DWORD src1_sel:BYTE_1
	v_and_b32_e32 v5, 3, v4
	v_bfe_u32 v21, v4, 2, 5
	v_ffbh_u32_e32 v16, v5
	v_cmp_eq_u32_e32 vcc_lo, 0, v21
	v_min_u32_e32 v16, 32, v16
	v_subrev_nc_u32_e32 v17, 29, v16
	v_sub_nc_u32_e32 v16, 30, v16
	v_lshlrev_b32_e32 v4, v17, v4
	v_lshlrev_b32_sdwa v17, v103, v1 dst_sel:DWORD dst_unused:UNUSED_PAD src0_sel:DWORD src1_sel:BYTE_1
	v_cndmask_b32_e32 v16, v21, v16, vcc_lo
	v_and_b32_e32 v4, 3, v4
	v_lshl_add_u32 v16, v16, 23, 0x37800000
	v_cndmask_b32_e32 v4, v5, v4, vcc_lo
	v_and_b32_e32 v5, 0x80000000, v17
	v_lshlrev_b32_e32 v4, 21, v4
	v_or3_b32 v4, v5, v16, v4
.LBB4_2662:                             ;   in Loop: Header=BB4_1940 Depth=4
	s_or_b32 exec_lo, exec_lo, s72
	v_cmp_gt_i16_sdwa s16, v15, v100 src0_sel:BYTE_1 src1_sel:DWORD
	s_mov_b32 s72, 0
	s_and_saveexec_b32 s73, s16
	s_xor_b32 s16, exec_lo, s73
	s_cbranch_execz .LBB4_3152
; %bb.2663:                             ;   in Loop: Header=BB4_1940 Depth=4
	v_cmp_eq_u16_sdwa s74, v15, v101 src0_sel:BYTE_1 src1_sel:DWORD
	s_mov_b32 s72, -1
	s_and_saveexec_b32 s73, s74
; %bb.2664:                             ;   in Loop: Header=BB4_1940 Depth=4
	s_xor_b32 s72, exec_lo, -1
; %bb.2665:                             ;   in Loop: Header=BB4_1940 Depth=4
	s_or_b32 exec_lo, exec_lo, s73
	s_and_b32 s72, s72, exec_lo
	s_or_saveexec_b32 s16, s16
	v_mov_b32_e32 v5, 0x7f800001
	s_xor_b32 exec_lo, exec_lo, s16
	s_cbranch_execnz .LBB4_3153
.LBB4_2666:                             ;   in Loop: Header=BB4_1940 Depth=4
	s_or_b32 exec_lo, exec_lo, s16
	s_and_saveexec_b32 s16, s72
	s_cbranch_execz .LBB4_2668
.LBB4_2667:                             ;   in Loop: Header=BB4_1940 Depth=4
	v_and_b32_sdwa v5, v102, v15 dst_sel:DWORD dst_unused:UNUSED_PAD src0_sel:DWORD src1_sel:BYTE_1
	v_and_b32_e32 v16, 3, v5
	v_bfe_u32 v30, v5, 2, 5
	v_ffbh_u32_e32 v17, v16
	v_cmp_eq_u32_e32 vcc_lo, 0, v30
	v_min_u32_e32 v17, 32, v17
	v_subrev_nc_u32_e32 v21, 29, v17
	v_sub_nc_u32_e32 v17, 30, v17
	v_lshlrev_b32_e32 v5, v21, v5
	v_lshlrev_b32_sdwa v21, v103, v15 dst_sel:DWORD dst_unused:UNUSED_PAD src0_sel:DWORD src1_sel:BYTE_1
	v_cndmask_b32_e32 v17, v30, v17, vcc_lo
	v_and_b32_e32 v5, 3, v5
	v_lshl_add_u32 v17, v17, 23, 0x37800000
	v_cndmask_b32_e32 v5, v16, v5, vcc_lo
	v_and_b32_e32 v16, 0x80000000, v21
	v_lshlrev_b32_e32 v5, 21, v5
	v_or3_b32 v5, v16, v17, v5
.LBB4_2668:                             ;   in Loop: Header=BB4_1940 Depth=4
	s_or_b32 exec_lo, exec_lo, s16
	v_add_f32_e32 v4, v4, v5
	v_mov_b32_e32 v16, 0x8000
	s_mov_b32 s72, exec_lo
	v_and_b32_e32 v5, 0x7f800000, v4
	v_cmpx_ne_u32_e32 0x7f800000, v5
	s_cbranch_execz .LBB4_2676
; %bb.2669:                             ;   in Loop: Header=BB4_1940 Depth=4
	v_mov_b32_e32 v16, 0
	s_mov_b32 s73, exec_lo
	v_cmpx_ne_u32_e32 0, v4
	s_cbranch_execz .LBB4_2675
; %bb.2670:                             ;   in Loop: Header=BB4_1940 Depth=4
	v_bfe_u32 v16, v4, 23, 8
	v_and_b32_e32 v5, 0x7fffff, v4
	v_cmp_gt_u32_e64 s16, 0x71, v16
	v_sub_nc_u32_e32 v17, 0x70, v16
	v_cmp_eq_u32_e32 vcc_lo, 0, v16
	v_or_b32_e32 v21, 0x800000, v5
	v_cndmask_b32_e64 v17, 0, v17, s16
	v_cndmask_b32_e32 v5, v21, v5, vcc_lo
	v_cndmask_b32_e64 v17, v17, 0x6f, vcc_lo
	v_lshl_add_u32 v21, 0x200000, v17, -1
	v_lshlrev_b32_e64 v30, v17, 0x100000
	v_and_b32_e32 v21, v21, v5
	v_cmp_eq_u32_e64 s16, v21, v30
	v_lshrrev_b32_e32 v21, v17, v5
	v_add_nc_u32_e32 v5, 0xffffff91, v16
	v_lshrrev_b32_e32 v16, 23, v21
	v_cndmask_b32_e64 v5, v5, 0xffffff92, vcc_lo
	v_xor_b32_e32 v16, 1, v16
	v_add_nc_u32_e32 v5, v17, v5
	v_bfe_u32 v17, v21, 21, 1
	v_add_nc_u32_e32 v17, -1, v17
	v_cndmask_b32_e64 v17, 0, v17, s16
	s_mov_b32 s16, exec_lo
	v_add_nc_u32_e32 v17, v17, v21
	v_and_b32_e32 v17, 0x1fffff, v17
	v_add_nc_u32_e32 v21, v17, v21
                                        ; implicit-def: $vgpr17
	v_cmpx_ne_u32_e64 v5, v16
	s_xor_b32 s16, exec_lo, s16
; %bb.2671:                             ;   in Loop: Header=BB4_1940 Depth=4
	v_cmp_lt_u32_e32 vcc_lo, 0xffffff, v21
	v_sub_nc_u32_e32 v5, v5, v16
	v_cndmask_b32_e64 v16, 0, 1, vcc_lo
	v_add_co_ci_u32_e64 v17, null, 0, v5, vcc_lo
	v_lshrrev_b32_e32 v21, v16, v21
; %bb.2672:                             ;   in Loop: Header=BB4_1940 Depth=4
	s_andn2_saveexec_b32 s16, s16
; %bb.2673:                             ;   in Loop: Header=BB4_1940 Depth=4
	v_bfe_u32 v17, v21, 23, 1
; %bb.2674:                             ;   in Loop: Header=BB4_1940 Depth=4
	s_or_b32 exec_lo, exec_lo, s16
	v_lshrrev_b32_e32 v5, 21, v21
	v_min_i32_e32 v16, 31, v17
	v_cmp_gt_i32_e32 vcc_lo, 32, v17
	v_and_b32_sdwa v4, v4, v101 dst_sel:DWORD dst_unused:UNUSED_PAD src0_sel:BYTE_3 src1_sel:DWORD
	v_lshlrev_b32_e32 v16, 2, v16
	v_cndmask_b32_e32 v5, 3, v5, vcc_lo
	v_and_b32_e32 v16, 0xfc, v16
	v_and_b32_e32 v21, 3, v5
	v_or_b32_e32 v5, v17, v5
	v_or3_b32 v4, v4, v16, v21
	v_cmp_ne_u32_e32 vcc_lo, 0, v5
	v_lshlrev_b32_e32 v4, 8, v4
	v_cndmask_b32_e32 v16, 0, v4, vcc_lo
.LBB4_2675:                             ;   in Loop: Header=BB4_1940 Depth=4
	s_or_b32 exec_lo, exec_lo, s73
.LBB4_2676:                             ;   in Loop: Header=BB4_1940 Depth=4
	s_or_b32 exec_lo, exec_lo, s72
	v_or_b32_e32 v5, v105, v104
	s_mov_b32 s16, 0
	v_cmp_gt_i16_sdwa s72, v5, v100 src0_sel:BYTE_0 src1_sel:DWORD
	s_and_saveexec_b32 s73, s72
	s_xor_b32 s72, exec_lo, s73
	s_cbranch_execz .LBB4_3154
; %bb.2677:                             ;   in Loop: Header=BB4_1940 Depth=4
	v_cmp_eq_u16_sdwa s74, v5, v101 src0_sel:BYTE_0 src1_sel:DWORD
	s_mov_b32 s16, -1
	s_and_saveexec_b32 s73, s74
; %bb.2678:                             ;   in Loop: Header=BB4_1940 Depth=4
	s_xor_b32 s16, exec_lo, -1
; %bb.2679:                             ;   in Loop: Header=BB4_1940 Depth=4
	s_or_b32 exec_lo, exec_lo, s73
	s_and_b32 s16, s16, exec_lo
	s_or_saveexec_b32 s72, s72
	v_mov_b32_e32 v4, 0x7f800001
	s_xor_b32 exec_lo, exec_lo, s72
	s_cbranch_execnz .LBB4_3155
.LBB4_2680:                             ;   in Loop: Header=BB4_1940 Depth=4
	s_or_b32 exec_lo, exec_lo, s72
	v_lshl_or_b32 v1, v5, 16, v1
	s_and_saveexec_b32 s72, s16
	s_cbranch_execz .LBB4_2682
.LBB4_2681:                             ;   in Loop: Header=BB4_1940 Depth=4
	v_bfe_u32 v4, v1, 16, 2
	v_bfe_u32 v21, v1, 18, 5
	v_lshlrev_b32_e32 v30, 8, v1
	v_ffbh_u32_e32 v5, v4
	v_cmp_eq_u32_e32 vcc_lo, 0, v21
	v_min_u32_e32 v5, 32, v5
	v_subrev_nc_u32_e32 v17, 29, v5
	v_sub_nc_u32_e32 v5, 30, v5
	v_lshlrev_b32_sdwa v17, v17, v1 dst_sel:DWORD dst_unused:UNUSED_PAD src0_sel:DWORD src1_sel:WORD_1
	v_cndmask_b32_e32 v5, v21, v5, vcc_lo
	v_and_b32_e32 v17, 3, v17
	v_lshl_add_u32 v5, v5, 23, 0x37800000
	v_cndmask_b32_e32 v4, v4, v17, vcc_lo
	v_and_b32_e32 v17, 0x80000000, v30
	v_lshlrev_b32_e32 v4, 21, v4
	v_or3_b32 v4, v17, v5, v4
.LBB4_2682:                             ;   in Loop: Header=BB4_1940 Depth=4
	s_or_b32 exec_lo, exec_lo, s72
	v_and_b32_sdwa v17, v15, v112 dst_sel:DWORD dst_unused:UNUSED_PAD src0_sel:WORD_1 src1_sel:DWORD
	s_mov_b32 s16, 0
	s_mov_b32 s72, exec_lo
	v_cmpx_lt_i16_e32 0x7f, v17
	s_xor_b32 s72, exec_lo, s72
	s_cbranch_execz .LBB4_3156
; %bb.2683:                             ;   in Loop: Header=BB4_1940 Depth=4
	s_mov_b32 s16, -1
	s_mov_b32 s73, exec_lo
	v_cmpx_eq_u16_e32 0x80, v17
; %bb.2684:                             ;   in Loop: Header=BB4_1940 Depth=4
	s_xor_b32 s16, exec_lo, -1
; %bb.2685:                             ;   in Loop: Header=BB4_1940 Depth=4
	s_or_b32 exec_lo, exec_lo, s73
	s_and_b32 s16, s16, exec_lo
                                        ; implicit-def: $vgpr17
	s_or_saveexec_b32 s72, s72
	v_mov_b32_e32 v5, 0x7f800001
	s_xor_b32 exec_lo, exec_lo, s72
	s_cbranch_execnz .LBB4_3157
.LBB4_2686:                             ;   in Loop: Header=BB4_1940 Depth=4
	s_or_b32 exec_lo, exec_lo, s72
	s_and_saveexec_b32 s72, s16
	s_cbranch_execz .LBB4_2688
.LBB4_2687:                             ;   in Loop: Header=BB4_1940 Depth=4
	v_bfe_u32 v5, v15, 16, 2
	v_bfe_u32 v30, v15, 18, 5
	v_lshlrev_b32_e32 v31, 8, v15
	v_ffbh_u32_e32 v17, v5
	v_cmp_eq_u32_e32 vcc_lo, 0, v30
	v_min_u32_e32 v17, 32, v17
	v_subrev_nc_u32_e32 v21, 29, v17
	v_sub_nc_u32_e32 v17, 30, v17
	v_lshlrev_b32_sdwa v21, v21, v15 dst_sel:DWORD dst_unused:UNUSED_PAD src0_sel:DWORD src1_sel:WORD_1
	v_cndmask_b32_e32 v17, v30, v17, vcc_lo
	v_and_b32_e32 v21, 3, v21
	v_lshl_add_u32 v17, v17, 23, 0x37800000
	v_cndmask_b32_e32 v5, v5, v21, vcc_lo
	v_and_b32_e32 v21, 0x80000000, v31
	v_lshlrev_b32_e32 v5, 21, v5
	v_or3_b32 v5, v21, v17, v5
.LBB4_2688:                             ;   in Loop: Header=BB4_1940 Depth=4
	s_or_b32 exec_lo, exec_lo, s72
	v_add_f32_e32 v4, v4, v5
	v_mov_b32_e32 v17, 0x80
	s_mov_b32 s72, exec_lo
	v_and_b32_e32 v5, 0x7f800000, v4
	v_cmpx_ne_u32_e32 0x7f800000, v5
	s_cbranch_execz .LBB4_2696
; %bb.2689:                             ;   in Loop: Header=BB4_1940 Depth=4
	v_mov_b32_e32 v17, 0
	s_mov_b32 s73, exec_lo
	v_cmpx_ne_u32_e32 0, v4
	s_cbranch_execz .LBB4_2695
; %bb.2690:                             ;   in Loop: Header=BB4_1940 Depth=4
	v_bfe_u32 v17, v4, 23, 8
	v_and_b32_e32 v5, 0x7fffff, v4
	v_cmp_gt_u32_e64 s16, 0x71, v17
	v_sub_nc_u32_e32 v21, 0x70, v17
	v_cmp_eq_u32_e32 vcc_lo, 0, v17
	v_or_b32_e32 v30, 0x800000, v5
	v_cndmask_b32_e64 v21, 0, v21, s16
	v_cndmask_b32_e32 v5, v30, v5, vcc_lo
	v_cndmask_b32_e64 v21, v21, 0x6f, vcc_lo
	v_lshl_add_u32 v30, 0x200000, v21, -1
	v_lshlrev_b32_e64 v31, v21, 0x100000
	v_and_b32_e32 v30, v30, v5
	v_cmp_eq_u32_e64 s16, v30, v31
	v_lshrrev_b32_e32 v30, v21, v5
	v_add_nc_u32_e32 v5, 0xffffff91, v17
	v_lshrrev_b32_e32 v17, 23, v30
	v_cndmask_b32_e64 v5, v5, 0xffffff92, vcc_lo
	v_xor_b32_e32 v17, 1, v17
	v_add_nc_u32_e32 v5, v21, v5
	v_bfe_u32 v21, v30, 21, 1
	v_add_nc_u32_e32 v21, -1, v21
	v_cndmask_b32_e64 v21, 0, v21, s16
	s_mov_b32 s16, exec_lo
	v_add_nc_u32_e32 v21, v21, v30
	v_and_b32_e32 v21, 0x1fffff, v21
	v_add_nc_u32_e32 v30, v21, v30
                                        ; implicit-def: $vgpr21
	v_cmpx_ne_u32_e64 v5, v17
	s_xor_b32 s16, exec_lo, s16
; %bb.2691:                             ;   in Loop: Header=BB4_1940 Depth=4
	v_cmp_lt_u32_e32 vcc_lo, 0xffffff, v30
	v_sub_nc_u32_e32 v5, v5, v17
	v_cndmask_b32_e64 v17, 0, 1, vcc_lo
	v_add_co_ci_u32_e64 v21, null, 0, v5, vcc_lo
	v_lshrrev_b32_e32 v30, v17, v30
; %bb.2692:                             ;   in Loop: Header=BB4_1940 Depth=4
	s_andn2_saveexec_b32 s16, s16
; %bb.2693:                             ;   in Loop: Header=BB4_1940 Depth=4
	v_bfe_u32 v21, v30, 23, 1
; %bb.2694:                             ;   in Loop: Header=BB4_1940 Depth=4
	s_or_b32 exec_lo, exec_lo, s16
	v_lshrrev_b32_e32 v5, 21, v30
	v_min_i32_e32 v17, 31, v21
	v_cmp_gt_i32_e32 vcc_lo, 32, v21
	v_and_b32_sdwa v4, v4, v101 dst_sel:DWORD dst_unused:UNUSED_PAD src0_sel:BYTE_3 src1_sel:DWORD
	v_lshlrev_b32_e32 v17, 2, v17
	v_cndmask_b32_e32 v5, 3, v5, vcc_lo
	v_and_b32_e32 v17, 0xfc, v17
	v_and_b32_e32 v30, 3, v5
	v_or_b32_e32 v5, v21, v5
	v_or3_b32 v4, v17, v4, v30
	v_cmp_ne_u32_e32 vcc_lo, 0, v5
	v_cndmask_b32_e32 v17, 0, v4, vcc_lo
.LBB4_2695:                             ;   in Loop: Header=BB4_1940 Depth=4
	s_or_b32 exec_lo, exec_lo, s73
.LBB4_2696:                             ;   in Loop: Header=BB4_1940 Depth=4
	s_or_b32 exec_lo, exec_lo, s72
	v_cmp_gt_i16_sdwa s72, v1, v100 src0_sel:BYTE_3 src1_sel:DWORD
	s_mov_b32 s16, 0
	s_and_saveexec_b32 s73, s72
	s_xor_b32 s72, exec_lo, s73
	s_cbranch_execz .LBB4_3158
; %bb.2697:                             ;   in Loop: Header=BB4_1940 Depth=4
	v_cmp_eq_u16_sdwa s74, v1, v101 src0_sel:BYTE_3 src1_sel:DWORD
	s_mov_b32 s16, -1
	s_and_saveexec_b32 s73, s74
; %bb.2698:                             ;   in Loop: Header=BB4_1940 Depth=4
	s_xor_b32 s16, exec_lo, -1
; %bb.2699:                             ;   in Loop: Header=BB4_1940 Depth=4
	s_or_b32 exec_lo, exec_lo, s73
	s_and_b32 s16, s16, exec_lo
	s_or_saveexec_b32 s72, s72
	v_mov_b32_e32 v4, 0x7f800001
	s_xor_b32 exec_lo, exec_lo, s72
	s_cbranch_execnz .LBB4_3159
.LBB4_2700:                             ;   in Loop: Header=BB4_1940 Depth=4
	s_or_b32 exec_lo, exec_lo, s72
	s_and_saveexec_b32 s72, s16
	s_cbranch_execz .LBB4_2702
.LBB4_2701:                             ;   in Loop: Header=BB4_1940 Depth=4
	v_bfe_u32 v4, v1, 24, 2
	v_bfe_u32 v30, v1, 26, 5
	v_ffbh_u32_e32 v5, v4
	v_cmp_eq_u32_e32 vcc_lo, 0, v30
	v_min_u32_e32 v5, 32, v5
	v_subrev_nc_u32_e32 v21, 29, v5
	v_sub_nc_u32_e32 v5, 30, v5
	v_lshlrev_b32_sdwa v21, v21, v1 dst_sel:DWORD dst_unused:UNUSED_PAD src0_sel:DWORD src1_sel:BYTE_3
	v_cndmask_b32_e32 v5, v30, v5, vcc_lo
	v_and_b32_e32 v1, 0x80000000, v1
	v_and_b32_e32 v21, 3, v21
	v_lshl_add_u32 v5, v5, 23, 0x37800000
	v_cndmask_b32_e32 v4, v4, v21, vcc_lo
	v_lshlrev_b32_e32 v4, 21, v4
	v_or3_b32 v4, v1, v5, v4
.LBB4_2702:                             ;   in Loop: Header=BB4_1940 Depth=4
	s_or_b32 exec_lo, exec_lo, s72
	v_cmp_gt_i16_sdwa s72, v15, v100 src0_sel:BYTE_3 src1_sel:DWORD
	s_mov_b32 s16, 0
	s_and_saveexec_b32 s73, s72
	s_xor_b32 s72, exec_lo, s73
	s_cbranch_execz .LBB4_3160
; %bb.2703:                             ;   in Loop: Header=BB4_1940 Depth=4
	v_cmp_eq_u16_sdwa s74, v15, v101 src0_sel:BYTE_3 src1_sel:DWORD
	s_mov_b32 s16, -1
	s_and_saveexec_b32 s73, s74
; %bb.2704:                             ;   in Loop: Header=BB4_1940 Depth=4
	s_xor_b32 s16, exec_lo, -1
; %bb.2705:                             ;   in Loop: Header=BB4_1940 Depth=4
	s_or_b32 exec_lo, exec_lo, s73
	s_and_b32 s16, s16, exec_lo
	s_or_saveexec_b32 s72, s72
	v_mov_b32_e32 v1, 0x7f800001
	s_xor_b32 exec_lo, exec_lo, s72
	s_cbranch_execnz .LBB4_3161
.LBB4_2706:                             ;   in Loop: Header=BB4_1940 Depth=4
	s_or_b32 exec_lo, exec_lo, s72
	s_and_saveexec_b32 s72, s16
	s_cbranch_execz .LBB4_2708
.LBB4_2707:                             ;   in Loop: Header=BB4_1940 Depth=4
	v_bfe_u32 v1, v15, 24, 2
	v_bfe_u32 v30, v15, 26, 5
	v_ffbh_u32_e32 v5, v1
	v_cmp_eq_u32_e32 vcc_lo, 0, v30
	v_min_u32_e32 v5, 32, v5
	v_subrev_nc_u32_e32 v21, 29, v5
	v_sub_nc_u32_e32 v5, 30, v5
	v_lshlrev_b32_sdwa v21, v21, v15 dst_sel:DWORD dst_unused:UNUSED_PAD src0_sel:DWORD src1_sel:BYTE_3
	v_cndmask_b32_e32 v5, v30, v5, vcc_lo
	v_and_b32_e32 v15, 0x80000000, v15
	v_and_b32_e32 v21, 3, v21
	v_lshl_add_u32 v5, v5, 23, 0x37800000
	v_cndmask_b32_e32 v1, v1, v21, vcc_lo
	v_lshlrev_b32_e32 v1, 21, v1
	v_or3_b32 v1, v15, v5, v1
.LBB4_2708:                             ;   in Loop: Header=BB4_1940 Depth=4
	s_or_b32 exec_lo, exec_lo, s72
	v_add_f32_e32 v1, v4, v1
	v_mov_b32_e32 v15, 0x8000
	s_mov_b32 s72, exec_lo
	v_and_b32_e32 v4, 0x7f800000, v1
	v_cmpx_ne_u32_e32 0x7f800000, v4
	s_cbranch_execz .LBB4_2716
; %bb.2709:                             ;   in Loop: Header=BB4_1940 Depth=4
	v_mov_b32_e32 v15, 0
	s_mov_b32 s73, exec_lo
	v_cmpx_ne_u32_e32 0, v1
	s_cbranch_execz .LBB4_2715
; %bb.2710:                             ;   in Loop: Header=BB4_1940 Depth=4
	v_bfe_u32 v5, v1, 23, 8
	v_and_b32_e32 v4, 0x7fffff, v1
	v_cmp_gt_u32_e64 s16, 0x71, v5
	v_sub_nc_u32_e32 v15, 0x70, v5
	v_cmp_eq_u32_e32 vcc_lo, 0, v5
	v_or_b32_e32 v21, 0x800000, v4
	v_cndmask_b32_e64 v15, 0, v15, s16
	v_cndmask_b32_e32 v4, v21, v4, vcc_lo
	v_cndmask_b32_e64 v15, v15, 0x6f, vcc_lo
	v_lshl_add_u32 v21, 0x200000, v15, -1
	v_lshlrev_b32_e64 v30, v15, 0x100000
	v_and_b32_e32 v21, v21, v4
	v_cmp_eq_u32_e64 s16, v21, v30
	v_lshrrev_b32_e32 v21, v15, v4
	v_add_nc_u32_e32 v4, 0xffffff91, v5
	v_lshrrev_b32_e32 v5, 23, v21
	v_cndmask_b32_e64 v4, v4, 0xffffff92, vcc_lo
	v_xor_b32_e32 v5, 1, v5
	v_add_nc_u32_e32 v4, v15, v4
	v_bfe_u32 v15, v21, 21, 1
	v_add_nc_u32_e32 v15, -1, v15
	v_cndmask_b32_e64 v15, 0, v15, s16
	s_mov_b32 s16, exec_lo
	v_add_nc_u32_e32 v15, v15, v21
	v_and_b32_e32 v15, 0x1fffff, v15
	v_add_nc_u32_e32 v21, v15, v21
                                        ; implicit-def: $vgpr15
	v_cmpx_ne_u32_e64 v4, v5
	s_xor_b32 s16, exec_lo, s16
; %bb.2711:                             ;   in Loop: Header=BB4_1940 Depth=4
	v_cmp_lt_u32_e32 vcc_lo, 0xffffff, v21
	v_sub_nc_u32_e32 v4, v4, v5
	v_cndmask_b32_e64 v5, 0, 1, vcc_lo
	v_add_co_ci_u32_e64 v15, null, 0, v4, vcc_lo
	v_lshrrev_b32_e32 v21, v5, v21
; %bb.2712:                             ;   in Loop: Header=BB4_1940 Depth=4
	s_andn2_saveexec_b32 s16, s16
; %bb.2713:                             ;   in Loop: Header=BB4_1940 Depth=4
	v_bfe_u32 v15, v21, 23, 1
; %bb.2714:                             ;   in Loop: Header=BB4_1940 Depth=4
	s_or_b32 exec_lo, exec_lo, s16
	v_lshrrev_b32_e32 v4, 21, v21
	v_min_i32_e32 v5, 31, v15
	v_cmp_gt_i32_e32 vcc_lo, 32, v15
	v_and_b32_sdwa v1, v1, v101 dst_sel:DWORD dst_unused:UNUSED_PAD src0_sel:BYTE_3 src1_sel:DWORD
	v_lshlrev_b32_e32 v5, 2, v5
	v_cndmask_b32_e32 v4, 3, v4, vcc_lo
	v_and_b32_e32 v5, 0xfc, v5
	v_and_b32_e32 v21, 3, v4
	v_or_b32_e32 v4, v15, v4
	v_or3_b32 v1, v1, v5, v21
	v_cmp_ne_u32_e32 vcc_lo, 0, v4
	v_lshlrev_b32_e32 v1, 8, v1
	v_cndmask_b32_e32 v15, 0, v1, vcc_lo
.LBB4_2715:                             ;   in Loop: Header=BB4_1940 Depth=4
	s_or_b32 exec_lo, exec_lo, s73
.LBB4_2716:                             ;   in Loop: Header=BB4_1940 Depth=4
	s_or_b32 exec_lo, exec_lo, s72
	v_or_b32_e32 v1, v94, v93
	s_mov_b32 s16, 0
	v_cmp_gt_i16_sdwa s72, v1, v100 src0_sel:BYTE_0 src1_sel:DWORD
	s_and_saveexec_b32 s73, s72
	s_xor_b32 s72, exec_lo, s73
	s_cbranch_execz .LBB4_3162
; %bb.2717:                             ;   in Loop: Header=BB4_1940 Depth=4
	v_cmp_eq_u16_sdwa s74, v1, v101 src0_sel:BYTE_0 src1_sel:DWORD
	s_mov_b32 s16, -1
	s_and_saveexec_b32 s73, s74
; %bb.2718:                             ;   in Loop: Header=BB4_1940 Depth=4
	s_xor_b32 s16, exec_lo, -1
; %bb.2719:                             ;   in Loop: Header=BB4_1940 Depth=4
	s_or_b32 exec_lo, exec_lo, s73
	s_and_b32 s16, s16, exec_lo
	s_or_saveexec_b32 s72, s72
	v_mov_b32_e32 v4, 0x7f800001
	s_xor_b32 exec_lo, exec_lo, s72
	s_cbranch_execnz .LBB4_3163
.LBB4_2720:                             ;   in Loop: Header=BB4_1940 Depth=4
	s_or_b32 exec_lo, exec_lo, s72
	s_and_saveexec_b32 s72, s16
	s_cbranch_execz .LBB4_2722
.LBB4_2721:                             ;   in Loop: Header=BB4_1940 Depth=4
	v_and_b32_e32 v4, 3, v1
	v_bfe_u32 v30, v1, 2, 5
	v_lshlrev_b32_e32 v31, 24, v1
	v_ffbh_u32_e32 v5, v4
	v_cmp_eq_u32_e32 vcc_lo, 0, v30
	v_min_u32_e32 v5, 32, v5
	v_subrev_nc_u32_e32 v21, 29, v5
	v_sub_nc_u32_e32 v5, 30, v5
	v_lshlrev_b32_e32 v21, v21, v1
	v_cndmask_b32_e32 v5, v30, v5, vcc_lo
	v_and_b32_e32 v21, 3, v21
	v_lshl_add_u32 v5, v5, 23, 0x37800000
	v_cndmask_b32_e32 v4, v4, v21, vcc_lo
	v_and_b32_e32 v21, 0x80000000, v31
	v_lshlrev_b32_e32 v4, 21, v4
	v_or3_b32 v4, v21, v5, v4
.LBB4_2722:                             ;   in Loop: Header=BB4_1940 Depth=4
	s_or_b32 exec_lo, exec_lo, s72
	s_waitcnt vmcnt(0)
	v_cmp_gt_i16_sdwa s72, v8, v100 src0_sel:BYTE_0 src1_sel:DWORD
	s_mov_b32 s16, 0
	s_and_saveexec_b32 s73, s72
	s_xor_b32 s72, exec_lo, s73
	s_cbranch_execz .LBB4_3164
; %bb.2723:                             ;   in Loop: Header=BB4_1940 Depth=4
	v_cmp_eq_u16_sdwa s74, v8, v101 src0_sel:BYTE_0 src1_sel:DWORD
	s_mov_b32 s16, -1
	s_and_saveexec_b32 s73, s74
; %bb.2724:                             ;   in Loop: Header=BB4_1940 Depth=4
	s_xor_b32 s16, exec_lo, -1
; %bb.2725:                             ;   in Loop: Header=BB4_1940 Depth=4
	s_or_b32 exec_lo, exec_lo, s73
	s_and_b32 s16, s16, exec_lo
	s_or_saveexec_b32 s72, s72
	v_mov_b32_e32 v5, 0x7f800001
	s_xor_b32 exec_lo, exec_lo, s72
	s_cbranch_execnz .LBB4_3165
.LBB4_2726:                             ;   in Loop: Header=BB4_1940 Depth=4
	s_or_b32 exec_lo, exec_lo, s72
	s_and_saveexec_b32 s72, s16
	s_cbranch_execz .LBB4_2728
.LBB4_2727:                             ;   in Loop: Header=BB4_1940 Depth=4
	v_and_b32_e32 v5, 3, v8
	v_bfe_u32 v31, v8, 2, 5
	v_lshlrev_b32_e32 v34, 24, v8
	v_ffbh_u32_e32 v21, v5
	v_cmp_eq_u32_e32 vcc_lo, 0, v31
	v_min_u32_e32 v21, 32, v21
	v_subrev_nc_u32_e32 v30, 29, v21
	v_sub_nc_u32_e32 v21, 30, v21
	v_lshlrev_b32_e32 v30, v30, v8
	v_cndmask_b32_e32 v21, v31, v21, vcc_lo
	v_and_b32_e32 v30, 3, v30
	v_lshl_add_u32 v21, v21, 23, 0x37800000
	v_cndmask_b32_e32 v5, v5, v30, vcc_lo
	v_and_b32_e32 v30, 0x80000000, v34
	v_lshlrev_b32_e32 v5, 21, v5
	v_or3_b32 v5, v30, v21, v5
.LBB4_2728:                             ;   in Loop: Header=BB4_1940 Depth=4
	s_or_b32 exec_lo, exec_lo, s72
	v_add_f32_e32 v4, v4, v5
	v_mov_b32_e32 v21, 0x80
	s_mov_b32 s72, exec_lo
	v_and_b32_e32 v5, 0x7f800000, v4
	v_cmpx_ne_u32_e32 0x7f800000, v5
	s_cbranch_execz .LBB4_2736
; %bb.2729:                             ;   in Loop: Header=BB4_1940 Depth=4
	v_mov_b32_e32 v21, 0
	s_mov_b32 s73, exec_lo
	v_cmpx_ne_u32_e32 0, v4
	s_cbranch_execz .LBB4_2735
; %bb.2730:                             ;   in Loop: Header=BB4_1940 Depth=4
	v_bfe_u32 v21, v4, 23, 8
	v_and_b32_e32 v5, 0x7fffff, v4
	v_cmp_gt_u32_e64 s16, 0x71, v21
	v_sub_nc_u32_e32 v30, 0x70, v21
	v_cmp_eq_u32_e32 vcc_lo, 0, v21
	v_or_b32_e32 v31, 0x800000, v5
	v_cndmask_b32_e64 v30, 0, v30, s16
	v_cndmask_b32_e32 v5, v31, v5, vcc_lo
	v_cndmask_b32_e64 v30, v30, 0x6f, vcc_lo
	v_lshl_add_u32 v31, 0x200000, v30, -1
	v_lshlrev_b32_e64 v34, v30, 0x100000
	v_and_b32_e32 v31, v31, v5
	v_cmp_eq_u32_e64 s16, v31, v34
	v_lshrrev_b32_e32 v31, v30, v5
	v_add_nc_u32_e32 v5, 0xffffff91, v21
	v_lshrrev_b32_e32 v21, 23, v31
	v_cndmask_b32_e64 v5, v5, 0xffffff92, vcc_lo
	v_xor_b32_e32 v21, 1, v21
	v_add_nc_u32_e32 v5, v30, v5
	v_bfe_u32 v30, v31, 21, 1
	v_add_nc_u32_e32 v30, -1, v30
	v_cndmask_b32_e64 v30, 0, v30, s16
	s_mov_b32 s16, exec_lo
	v_add_nc_u32_e32 v30, v30, v31
	v_and_b32_e32 v30, 0x1fffff, v30
	v_add_nc_u32_e32 v31, v30, v31
                                        ; implicit-def: $vgpr30
	v_cmpx_ne_u32_e64 v5, v21
	s_xor_b32 s16, exec_lo, s16
; %bb.2731:                             ;   in Loop: Header=BB4_1940 Depth=4
	v_cmp_lt_u32_e32 vcc_lo, 0xffffff, v31
	v_sub_nc_u32_e32 v5, v5, v21
	v_cndmask_b32_e64 v21, 0, 1, vcc_lo
	v_add_co_ci_u32_e64 v30, null, 0, v5, vcc_lo
	v_lshrrev_b32_e32 v31, v21, v31
; %bb.2732:                             ;   in Loop: Header=BB4_1940 Depth=4
	s_andn2_saveexec_b32 s16, s16
; %bb.2733:                             ;   in Loop: Header=BB4_1940 Depth=4
	v_bfe_u32 v30, v31, 23, 1
; %bb.2734:                             ;   in Loop: Header=BB4_1940 Depth=4
	s_or_b32 exec_lo, exec_lo, s16
	v_lshrrev_b32_e32 v5, 21, v31
	v_min_i32_e32 v21, 31, v30
	v_cmp_gt_i32_e32 vcc_lo, 32, v30
	v_and_b32_sdwa v4, v4, v101 dst_sel:DWORD dst_unused:UNUSED_PAD src0_sel:BYTE_3 src1_sel:DWORD
	v_lshlrev_b32_e32 v21, 2, v21
	v_cndmask_b32_e32 v5, 3, v5, vcc_lo
	v_and_b32_e32 v21, 0xfc, v21
	v_and_b32_e32 v31, 3, v5
	v_or_b32_e32 v5, v30, v5
	v_or3_b32 v4, v21, v4, v31
	v_cmp_ne_u32_e32 vcc_lo, 0, v5
	v_cndmask_b32_e32 v21, 0, v4, vcc_lo
.LBB4_2735:                             ;   in Loop: Header=BB4_1940 Depth=4
	s_or_b32 exec_lo, exec_lo, s73
.LBB4_2736:                             ;   in Loop: Header=BB4_1940 Depth=4
	s_or_b32 exec_lo, exec_lo, s72
	v_cmp_gt_i16_sdwa s72, v1, v100 src0_sel:BYTE_1 src1_sel:DWORD
	s_mov_b32 s16, 0
	s_and_saveexec_b32 s73, s72
	s_xor_b32 s72, exec_lo, s73
	s_cbranch_execz .LBB4_3166
; %bb.2737:                             ;   in Loop: Header=BB4_1940 Depth=4
	v_cmp_eq_u16_sdwa s74, v1, v101 src0_sel:BYTE_1 src1_sel:DWORD
	s_mov_b32 s16, -1
	s_and_saveexec_b32 s73, s74
; %bb.2738:                             ;   in Loop: Header=BB4_1940 Depth=4
	s_xor_b32 s16, exec_lo, -1
; %bb.2739:                             ;   in Loop: Header=BB4_1940 Depth=4
	s_or_b32 exec_lo, exec_lo, s73
	s_and_b32 s16, s16, exec_lo
	s_or_saveexec_b32 s72, s72
	v_mov_b32_e32 v4, 0x7f800001
	s_xor_b32 exec_lo, exec_lo, s72
	s_cbranch_execnz .LBB4_3167
.LBB4_2740:                             ;   in Loop: Header=BB4_1940 Depth=4
	s_or_b32 exec_lo, exec_lo, s72
	s_and_saveexec_b32 s72, s16
	s_cbranch_execz .LBB4_2742
.LBB4_2741:                             ;   in Loop: Header=BB4_1940 Depth=4
	v_and_b32_sdwa v4, v102, v1 dst_sel:DWORD dst_unused:UNUSED_PAD src0_sel:DWORD src1_sel:BYTE_1
	v_and_b32_e32 v5, 3, v4
	v_bfe_u32 v34, v4, 2, 5
	v_ffbh_u32_e32 v30, v5
	v_cmp_eq_u32_e32 vcc_lo, 0, v34
	v_min_u32_e32 v30, 32, v30
	v_subrev_nc_u32_e32 v31, 29, v30
	v_sub_nc_u32_e32 v30, 30, v30
	v_lshlrev_b32_e32 v4, v31, v4
	v_lshlrev_b32_sdwa v31, v103, v1 dst_sel:DWORD dst_unused:UNUSED_PAD src0_sel:DWORD src1_sel:BYTE_1
	v_cndmask_b32_e32 v30, v34, v30, vcc_lo
	v_and_b32_e32 v4, 3, v4
	v_lshl_add_u32 v30, v30, 23, 0x37800000
	v_cndmask_b32_e32 v4, v5, v4, vcc_lo
	v_and_b32_e32 v5, 0x80000000, v31
	v_lshlrev_b32_e32 v4, 21, v4
	v_or3_b32 v4, v5, v30, v4
.LBB4_2742:                             ;   in Loop: Header=BB4_1940 Depth=4
	s_or_b32 exec_lo, exec_lo, s72
	v_cmp_gt_i16_sdwa s72, v8, v100 src0_sel:BYTE_1 src1_sel:DWORD
	s_mov_b32 s16, 0
	s_and_saveexec_b32 s73, s72
	s_xor_b32 s72, exec_lo, s73
	s_cbranch_execz .LBB4_3168
; %bb.2743:                             ;   in Loop: Header=BB4_1940 Depth=4
	v_cmp_eq_u16_sdwa s74, v8, v101 src0_sel:BYTE_1 src1_sel:DWORD
	s_mov_b32 s16, -1
	s_and_saveexec_b32 s73, s74
; %bb.2744:                             ;   in Loop: Header=BB4_1940 Depth=4
	s_xor_b32 s16, exec_lo, -1
; %bb.2745:                             ;   in Loop: Header=BB4_1940 Depth=4
	s_or_b32 exec_lo, exec_lo, s73
	s_and_b32 s16, s16, exec_lo
	s_or_saveexec_b32 s72, s72
	v_mov_b32_e32 v5, 0x7f800001
	s_xor_b32 exec_lo, exec_lo, s72
	s_cbranch_execnz .LBB4_3169
.LBB4_2746:                             ;   in Loop: Header=BB4_1940 Depth=4
	s_or_b32 exec_lo, exec_lo, s72
	s_and_saveexec_b32 s72, s16
	s_cbranch_execz .LBB4_2748
.LBB4_2747:                             ;   in Loop: Header=BB4_1940 Depth=4
	v_and_b32_sdwa v5, v102, v8 dst_sel:DWORD dst_unused:UNUSED_PAD src0_sel:DWORD src1_sel:BYTE_1
	v_and_b32_e32 v30, 3, v5
	v_bfe_u32 v35, v5, 2, 5
	v_ffbh_u32_e32 v31, v30
	v_cmp_eq_u32_e32 vcc_lo, 0, v35
	v_min_u32_e32 v31, 32, v31
	v_subrev_nc_u32_e32 v34, 29, v31
	v_sub_nc_u32_e32 v31, 30, v31
	v_lshlrev_b32_e32 v5, v34, v5
	v_lshlrev_b32_sdwa v34, v103, v8 dst_sel:DWORD dst_unused:UNUSED_PAD src0_sel:DWORD src1_sel:BYTE_1
	v_cndmask_b32_e32 v31, v35, v31, vcc_lo
	v_and_b32_e32 v5, 3, v5
	v_lshl_add_u32 v31, v31, 23, 0x37800000
	v_cndmask_b32_e32 v5, v30, v5, vcc_lo
	v_and_b32_e32 v30, 0x80000000, v34
	v_lshlrev_b32_e32 v5, 21, v5
	v_or3_b32 v5, v30, v31, v5
.LBB4_2748:                             ;   in Loop: Header=BB4_1940 Depth=4
	s_or_b32 exec_lo, exec_lo, s72
	v_add_f32_e32 v4, v4, v5
	v_mov_b32_e32 v30, 0x8000
	s_mov_b32 s72, exec_lo
	v_and_b32_e32 v5, 0x7f800000, v4
	v_cmpx_ne_u32_e32 0x7f800000, v5
	s_cbranch_execz .LBB4_2756
; %bb.2749:                             ;   in Loop: Header=BB4_1940 Depth=4
	v_mov_b32_e32 v30, 0
	s_mov_b32 s73, exec_lo
	v_cmpx_ne_u32_e32 0, v4
	s_cbranch_execz .LBB4_2755
; %bb.2750:                             ;   in Loop: Header=BB4_1940 Depth=4
	v_bfe_u32 v30, v4, 23, 8
	v_and_b32_e32 v5, 0x7fffff, v4
	v_cmp_gt_u32_e64 s16, 0x71, v30
	v_sub_nc_u32_e32 v31, 0x70, v30
	v_cmp_eq_u32_e32 vcc_lo, 0, v30
	v_or_b32_e32 v34, 0x800000, v5
	v_cndmask_b32_e64 v31, 0, v31, s16
	v_cndmask_b32_e32 v5, v34, v5, vcc_lo
	v_cndmask_b32_e64 v31, v31, 0x6f, vcc_lo
	v_lshl_add_u32 v34, 0x200000, v31, -1
	v_lshlrev_b32_e64 v35, v31, 0x100000
	v_and_b32_e32 v34, v34, v5
	v_cmp_eq_u32_e64 s16, v34, v35
	v_lshrrev_b32_e32 v34, v31, v5
	v_add_nc_u32_e32 v5, 0xffffff91, v30
	v_lshrrev_b32_e32 v30, 23, v34
	v_cndmask_b32_e64 v5, v5, 0xffffff92, vcc_lo
	v_xor_b32_e32 v30, 1, v30
	v_add_nc_u32_e32 v5, v31, v5
	v_bfe_u32 v31, v34, 21, 1
	v_add_nc_u32_e32 v31, -1, v31
	v_cndmask_b32_e64 v31, 0, v31, s16
	s_mov_b32 s16, exec_lo
	v_add_nc_u32_e32 v31, v31, v34
	v_and_b32_e32 v31, 0x1fffff, v31
	v_add_nc_u32_e32 v34, v31, v34
                                        ; implicit-def: $vgpr31
	v_cmpx_ne_u32_e64 v5, v30
	s_xor_b32 s16, exec_lo, s16
; %bb.2751:                             ;   in Loop: Header=BB4_1940 Depth=4
	v_cmp_lt_u32_e32 vcc_lo, 0xffffff, v34
	v_sub_nc_u32_e32 v5, v5, v30
	v_cndmask_b32_e64 v30, 0, 1, vcc_lo
	v_add_co_ci_u32_e64 v31, null, 0, v5, vcc_lo
	v_lshrrev_b32_e32 v34, v30, v34
; %bb.2752:                             ;   in Loop: Header=BB4_1940 Depth=4
	s_andn2_saveexec_b32 s16, s16
; %bb.2753:                             ;   in Loop: Header=BB4_1940 Depth=4
	v_bfe_u32 v31, v34, 23, 1
; %bb.2754:                             ;   in Loop: Header=BB4_1940 Depth=4
	s_or_b32 exec_lo, exec_lo, s16
	v_lshrrev_b32_e32 v5, 21, v34
	v_min_i32_e32 v30, 31, v31
	v_cmp_gt_i32_e32 vcc_lo, 32, v31
	v_and_b32_sdwa v4, v4, v101 dst_sel:DWORD dst_unused:UNUSED_PAD src0_sel:BYTE_3 src1_sel:DWORD
	v_lshlrev_b32_e32 v30, 2, v30
	v_cndmask_b32_e32 v5, 3, v5, vcc_lo
	v_and_b32_e32 v30, 0xfc, v30
	v_and_b32_e32 v34, 3, v5
	v_or_b32_e32 v5, v31, v5
	v_or3_b32 v4, v4, v30, v34
	v_cmp_ne_u32_e32 vcc_lo, 0, v5
	v_lshlrev_b32_e32 v4, 8, v4
	v_cndmask_b32_e32 v30, 0, v4, vcc_lo
.LBB4_2755:                             ;   in Loop: Header=BB4_1940 Depth=4
	s_or_b32 exec_lo, exec_lo, s73
.LBB4_2756:                             ;   in Loop: Header=BB4_1940 Depth=4
	s_or_b32 exec_lo, exec_lo, s72
	v_or_b32_e32 v5, v92, v91
	s_mov_b32 s16, 0
	v_cmp_gt_i16_sdwa s72, v5, v100 src0_sel:BYTE_0 src1_sel:DWORD
	s_and_saveexec_b32 s73, s72
	s_xor_b32 s72, exec_lo, s73
	s_cbranch_execz .LBB4_3170
; %bb.2757:                             ;   in Loop: Header=BB4_1940 Depth=4
	v_cmp_eq_u16_sdwa s74, v5, v101 src0_sel:BYTE_0 src1_sel:DWORD
	s_mov_b32 s16, -1
	s_and_saveexec_b32 s73, s74
; %bb.2758:                             ;   in Loop: Header=BB4_1940 Depth=4
	s_xor_b32 s16, exec_lo, -1
; %bb.2759:                             ;   in Loop: Header=BB4_1940 Depth=4
	s_or_b32 exec_lo, exec_lo, s73
	s_and_b32 s16, s16, exec_lo
	s_or_saveexec_b32 s72, s72
	v_mov_b32_e32 v4, 0x7f800001
	s_xor_b32 exec_lo, exec_lo, s72
	s_cbranch_execnz .LBB4_3171
.LBB4_2760:                             ;   in Loop: Header=BB4_1940 Depth=4
	s_or_b32 exec_lo, exec_lo, s72
	v_lshl_or_b32 v1, v5, 16, v1
	s_and_saveexec_b32 s72, s16
	s_cbranch_execz .LBB4_2762
.LBB4_2761:                             ;   in Loop: Header=BB4_1940 Depth=4
	v_bfe_u32 v4, v1, 16, 2
	v_bfe_u32 v34, v1, 18, 5
	v_lshlrev_b32_e32 v35, 8, v1
	v_ffbh_u32_e32 v5, v4
	v_cmp_eq_u32_e32 vcc_lo, 0, v34
	v_min_u32_e32 v5, 32, v5
	v_subrev_nc_u32_e32 v31, 29, v5
	v_sub_nc_u32_e32 v5, 30, v5
	v_lshlrev_b32_sdwa v31, v31, v1 dst_sel:DWORD dst_unused:UNUSED_PAD src0_sel:DWORD src1_sel:WORD_1
	v_cndmask_b32_e32 v5, v34, v5, vcc_lo
	v_and_b32_e32 v31, 3, v31
	v_lshl_add_u32 v5, v5, 23, 0x37800000
	v_cndmask_b32_e32 v4, v4, v31, vcc_lo
	v_and_b32_e32 v31, 0x80000000, v35
	v_lshlrev_b32_e32 v4, 21, v4
	v_or3_b32 v4, v31, v5, v4
.LBB4_2762:                             ;   in Loop: Header=BB4_1940 Depth=4
	s_or_b32 exec_lo, exec_lo, s72
	v_and_b32_sdwa v31, v8, v112 dst_sel:DWORD dst_unused:UNUSED_PAD src0_sel:WORD_1 src1_sel:DWORD
	s_mov_b32 s16, 0
	s_mov_b32 s72, exec_lo
	v_cmpx_lt_i16_e32 0x7f, v31
	s_xor_b32 s72, exec_lo, s72
	s_cbranch_execz .LBB4_3172
; %bb.2763:                             ;   in Loop: Header=BB4_1940 Depth=4
	s_mov_b32 s16, -1
	s_mov_b32 s73, exec_lo
	v_cmpx_eq_u16_e32 0x80, v31
; %bb.2764:                             ;   in Loop: Header=BB4_1940 Depth=4
	s_xor_b32 s16, exec_lo, -1
; %bb.2765:                             ;   in Loop: Header=BB4_1940 Depth=4
	s_or_b32 exec_lo, exec_lo, s73
	s_and_b32 s16, s16, exec_lo
                                        ; implicit-def: $vgpr31
	s_or_saveexec_b32 s72, s72
	v_mov_b32_e32 v5, 0x7f800001
	s_xor_b32 exec_lo, exec_lo, s72
	s_cbranch_execnz .LBB4_3173
.LBB4_2766:                             ;   in Loop: Header=BB4_1940 Depth=4
	s_or_b32 exec_lo, exec_lo, s72
	s_and_saveexec_b32 s72, s16
	s_cbranch_execz .LBB4_2768
.LBB4_2767:                             ;   in Loop: Header=BB4_1940 Depth=4
	v_bfe_u32 v5, v8, 16, 2
	v_bfe_u32 v35, v8, 18, 5
	v_lshlrev_b32_e32 v36, 8, v8
	v_ffbh_u32_e32 v31, v5
	v_cmp_eq_u32_e32 vcc_lo, 0, v35
	v_min_u32_e32 v31, 32, v31
	v_subrev_nc_u32_e32 v34, 29, v31
	v_sub_nc_u32_e32 v31, 30, v31
	v_lshlrev_b32_sdwa v34, v34, v8 dst_sel:DWORD dst_unused:UNUSED_PAD src0_sel:DWORD src1_sel:WORD_1
	v_cndmask_b32_e32 v31, v35, v31, vcc_lo
	v_and_b32_e32 v34, 3, v34
	v_lshl_add_u32 v31, v31, 23, 0x37800000
	v_cndmask_b32_e32 v5, v5, v34, vcc_lo
	v_and_b32_e32 v34, 0x80000000, v36
	v_lshlrev_b32_e32 v5, 21, v5
	v_or3_b32 v5, v34, v31, v5
.LBB4_2768:                             ;   in Loop: Header=BB4_1940 Depth=4
	s_or_b32 exec_lo, exec_lo, s72
	v_add_f32_e32 v5, v4, v5
	v_and_b32_e32 v4, 0x7f800000, v5
	v_cmp_ne_u32_e32 vcc_lo, 0x7f800000, v4
	v_mov_b32_e32 v4, 0x80
	s_and_saveexec_b32 s72, vcc_lo
	s_cbranch_execz .LBB4_2776
; %bb.2769:                             ;   in Loop: Header=BB4_1940 Depth=4
	v_mov_b32_e32 v4, 0
	s_mov_b32 s73, exec_lo
	v_cmpx_ne_u32_e32 0, v5
	s_cbranch_execz .LBB4_2775
; %bb.2770:                             ;   in Loop: Header=BB4_1940 Depth=4
	v_bfe_u32 v31, v5, 23, 8
	v_and_b32_e32 v4, 0x7fffff, v5
	v_cmp_gt_u32_e64 s16, 0x71, v31
	v_sub_nc_u32_e32 v34, 0x70, v31
	v_cmp_eq_u32_e32 vcc_lo, 0, v31
	v_or_b32_e32 v35, 0x800000, v4
	v_cndmask_b32_e64 v34, 0, v34, s16
	v_cndmask_b32_e32 v4, v35, v4, vcc_lo
	v_cndmask_b32_e64 v34, v34, 0x6f, vcc_lo
	v_lshl_add_u32 v35, 0x200000, v34, -1
	v_lshlrev_b32_e64 v36, v34, 0x100000
	v_and_b32_e32 v35, v35, v4
	v_cmp_eq_u32_e64 s16, v35, v36
	v_lshrrev_b32_e32 v35, v34, v4
	v_add_nc_u32_e32 v4, 0xffffff91, v31
	v_lshrrev_b32_e32 v31, 23, v35
	v_cndmask_b32_e64 v4, v4, 0xffffff92, vcc_lo
	v_xor_b32_e32 v31, 1, v31
	v_add_nc_u32_e32 v4, v34, v4
	v_bfe_u32 v34, v35, 21, 1
	v_add_nc_u32_e32 v34, -1, v34
	v_cndmask_b32_e64 v34, 0, v34, s16
	s_mov_b32 s16, exec_lo
	v_add_nc_u32_e32 v34, v34, v35
	v_and_b32_e32 v34, 0x1fffff, v34
	v_add_nc_u32_e32 v35, v34, v35
                                        ; implicit-def: $vgpr34
	v_cmpx_ne_u32_e64 v4, v31
	s_xor_b32 s16, exec_lo, s16
; %bb.2771:                             ;   in Loop: Header=BB4_1940 Depth=4
	v_cmp_lt_u32_e32 vcc_lo, 0xffffff, v35
	v_sub_nc_u32_e32 v4, v4, v31
	v_cndmask_b32_e64 v31, 0, 1, vcc_lo
	v_add_co_ci_u32_e64 v34, null, 0, v4, vcc_lo
	v_lshrrev_b32_e32 v35, v31, v35
; %bb.2772:                             ;   in Loop: Header=BB4_1940 Depth=4
	s_andn2_saveexec_b32 s16, s16
; %bb.2773:                             ;   in Loop: Header=BB4_1940 Depth=4
	v_bfe_u32 v34, v35, 23, 1
; %bb.2774:                             ;   in Loop: Header=BB4_1940 Depth=4
	s_or_b32 exec_lo, exec_lo, s16
	v_lshrrev_b32_e32 v4, 21, v35
	v_min_i32_e32 v31, 31, v34
	v_cmp_gt_i32_e32 vcc_lo, 32, v34
	v_and_b32_sdwa v5, v5, v101 dst_sel:DWORD dst_unused:UNUSED_PAD src0_sel:BYTE_3 src1_sel:DWORD
	v_lshlrev_b32_e32 v31, 2, v31
	v_cndmask_b32_e32 v4, 3, v4, vcc_lo
	v_and_b32_e32 v31, 0xfc, v31
	v_and_b32_e32 v35, 3, v4
	v_or_b32_e32 v4, v34, v4
	v_or3_b32 v5, v31, v5, v35
	v_cmp_ne_u32_e32 vcc_lo, 0, v4
	v_cndmask_b32_e32 v4, 0, v5, vcc_lo
.LBB4_2775:                             ;   in Loop: Header=BB4_1940 Depth=4
	s_or_b32 exec_lo, exec_lo, s73
.LBB4_2776:                             ;   in Loop: Header=BB4_1940 Depth=4
	s_or_b32 exec_lo, exec_lo, s72
	v_cmp_gt_i16_sdwa s72, v1, v100 src0_sel:BYTE_3 src1_sel:DWORD
	s_mov_b32 s16, 0
	s_and_saveexec_b32 s73, s72
	s_xor_b32 s72, exec_lo, s73
	s_cbranch_execz .LBB4_3174
; %bb.2777:                             ;   in Loop: Header=BB4_1940 Depth=4
	v_cmp_eq_u16_sdwa s74, v1, v101 src0_sel:BYTE_3 src1_sel:DWORD
	s_mov_b32 s16, -1
	s_and_saveexec_b32 s73, s74
; %bb.2778:                             ;   in Loop: Header=BB4_1940 Depth=4
	s_xor_b32 s16, exec_lo, -1
; %bb.2779:                             ;   in Loop: Header=BB4_1940 Depth=4
	s_or_b32 exec_lo, exec_lo, s73
	s_and_b32 s16, s16, exec_lo
	s_or_saveexec_b32 s72, s72
	v_mov_b32_e32 v5, 0x7f800001
	s_xor_b32 exec_lo, exec_lo, s72
	s_cbranch_execnz .LBB4_3175
.LBB4_2780:                             ;   in Loop: Header=BB4_1940 Depth=4
	s_or_b32 exec_lo, exec_lo, s72
	s_and_saveexec_b32 s72, s16
	s_cbranch_execz .LBB4_2782
.LBB4_2781:                             ;   in Loop: Header=BB4_1940 Depth=4
	v_bfe_u32 v5, v1, 24, 2
	v_bfe_u32 v35, v1, 26, 5
	v_ffbh_u32_e32 v31, v5
	v_cmp_eq_u32_e32 vcc_lo, 0, v35
	v_min_u32_e32 v31, 32, v31
	v_subrev_nc_u32_e32 v34, 29, v31
	v_sub_nc_u32_e32 v31, 30, v31
	v_lshlrev_b32_sdwa v34, v34, v1 dst_sel:DWORD dst_unused:UNUSED_PAD src0_sel:DWORD src1_sel:BYTE_3
	v_cndmask_b32_e32 v31, v35, v31, vcc_lo
	v_and_b32_e32 v1, 0x80000000, v1
	v_and_b32_e32 v34, 3, v34
	v_lshl_add_u32 v31, v31, 23, 0x37800000
	v_cndmask_b32_e32 v5, v5, v34, vcc_lo
	v_lshlrev_b32_e32 v5, 21, v5
	v_or3_b32 v5, v1, v31, v5
.LBB4_2782:                             ;   in Loop: Header=BB4_1940 Depth=4
	s_or_b32 exec_lo, exec_lo, s72
	v_cmp_gt_i16_sdwa s72, v8, v100 src0_sel:BYTE_3 src1_sel:DWORD
	s_mov_b32 s16, 0
	s_and_saveexec_b32 s73, s72
	s_xor_b32 s72, exec_lo, s73
	s_cbranch_execz .LBB4_3176
; %bb.2783:                             ;   in Loop: Header=BB4_1940 Depth=4
	v_cmp_eq_u16_sdwa s74, v8, v101 src0_sel:BYTE_3 src1_sel:DWORD
	s_mov_b32 s16, -1
	s_and_saveexec_b32 s73, s74
; %bb.2784:                             ;   in Loop: Header=BB4_1940 Depth=4
	s_xor_b32 s16, exec_lo, -1
; %bb.2785:                             ;   in Loop: Header=BB4_1940 Depth=4
	s_or_b32 exec_lo, exec_lo, s73
	s_and_b32 s16, s16, exec_lo
	s_or_saveexec_b32 s72, s72
	v_mov_b32_e32 v1, 0x7f800001
	s_xor_b32 exec_lo, exec_lo, s72
	s_cbranch_execnz .LBB4_3177
.LBB4_2786:                             ;   in Loop: Header=BB4_1940 Depth=4
	s_or_b32 exec_lo, exec_lo, s72
	s_and_saveexec_b32 s72, s16
	s_cbranch_execz .LBB4_2788
.LBB4_2787:                             ;   in Loop: Header=BB4_1940 Depth=4
	v_bfe_u32 v1, v8, 24, 2
	v_bfe_u32 v35, v8, 26, 5
	v_ffbh_u32_e32 v31, v1
	v_cmp_eq_u32_e32 vcc_lo, 0, v35
	v_min_u32_e32 v31, 32, v31
	v_subrev_nc_u32_e32 v34, 29, v31
	v_sub_nc_u32_e32 v31, 30, v31
	v_lshlrev_b32_sdwa v34, v34, v8 dst_sel:DWORD dst_unused:UNUSED_PAD src0_sel:DWORD src1_sel:BYTE_3
	v_cndmask_b32_e32 v31, v35, v31, vcc_lo
	v_and_b32_e32 v8, 0x80000000, v8
	v_and_b32_e32 v34, 3, v34
	v_lshl_add_u32 v31, v31, 23, 0x37800000
	v_cndmask_b32_e32 v1, v1, v34, vcc_lo
	v_lshlrev_b32_e32 v1, 21, v1
	v_or3_b32 v1, v8, v31, v1
.LBB4_2788:                             ;   in Loop: Header=BB4_1940 Depth=4
	s_or_b32 exec_lo, exec_lo, s72
	v_add_f32_e32 v1, v5, v1
	v_and_b32_e32 v5, 0x7f800000, v1
	v_cmp_ne_u32_e32 vcc_lo, 0x7f800000, v5
	v_mov_b32_e32 v5, 0x8000
	s_and_saveexec_b32 s72, vcc_lo
	s_cbranch_execz .LBB4_2796
; %bb.2789:                             ;   in Loop: Header=BB4_1940 Depth=4
	v_mov_b32_e32 v5, 0
	s_mov_b32 s73, exec_lo
	v_cmpx_ne_u32_e32 0, v1
	s_cbranch_execz .LBB4_2795
; %bb.2790:                             ;   in Loop: Header=BB4_1940 Depth=4
	v_bfe_u32 v5, v1, 23, 8
	v_and_b32_e32 v8, 0x7fffff, v1
	v_sub_nc_u32_e32 v31, 0x70, v5
	v_cmp_gt_u32_e32 vcc_lo, 0x71, v5
	v_or_b32_e32 v34, 0x800000, v8
	v_cndmask_b32_e32 v31, 0, v31, vcc_lo
	v_cmp_eq_u32_e32 vcc_lo, 0, v5
	v_add_nc_u32_e32 v5, 0xffffff91, v5
	v_cndmask_b32_e64 v31, v31, 0x6f, vcc_lo
	v_cndmask_b32_e32 v8, v34, v8, vcc_lo
	v_cndmask_b32_e64 v5, v5, 0xffffff92, vcc_lo
	v_lshl_add_u32 v34, 0x200000, v31, -1
	v_lshrrev_b32_e32 v35, v31, v8
	v_lshlrev_b32_e64 v37, v31, 0x100000
	v_add_nc_u32_e32 v31, v31, v5
	v_and_b32_e32 v8, v34, v8
	v_bfe_u32 v36, v35, 21, 1
	v_cmp_eq_u32_e64 s16, v8, v37
	v_add_nc_u32_e32 v34, -1, v36
	v_cndmask_b32_e64 v8, 0, v34, s16
	v_lshrrev_b32_e32 v34, 23, v35
	s_mov_b32 s16, exec_lo
	v_add_nc_u32_e32 v8, v8, v35
	v_xor_b32_e32 v34, 1, v34
	v_and_b32_e32 v5, 0x1fffff, v8
	v_add_nc_u32_e32 v8, v5, v35
                                        ; implicit-def: $vgpr5
	v_cmpx_ne_u32_e64 v31, v34
	s_xor_b32 s16, exec_lo, s16
; %bb.2791:                             ;   in Loop: Header=BB4_1940 Depth=4
	v_cmp_lt_u32_e32 vcc_lo, 0xffffff, v8
	v_sub_nc_u32_e32 v5, v31, v34
	v_cndmask_b32_e64 v31, 0, 1, vcc_lo
	v_add_co_ci_u32_e64 v5, null, 0, v5, vcc_lo
	v_lshrrev_b32_e32 v8, v31, v8
; %bb.2792:                             ;   in Loop: Header=BB4_1940 Depth=4
	s_andn2_saveexec_b32 s16, s16
; %bb.2793:                             ;   in Loop: Header=BB4_1940 Depth=4
	v_bfe_u32 v5, v8, 23, 1
; %bb.2794:                             ;   in Loop: Header=BB4_1940 Depth=4
	s_or_b32 exec_lo, exec_lo, s16
	v_lshrrev_b32_e32 v8, 21, v8
	v_min_i32_e32 v31, 31, v5
	v_cmp_gt_i32_e32 vcc_lo, 32, v5
	v_and_b32_sdwa v1, v1, v101 dst_sel:DWORD dst_unused:UNUSED_PAD src0_sel:BYTE_3 src1_sel:DWORD
	v_lshlrev_b32_e32 v31, 2, v31
	v_cndmask_b32_e32 v8, 3, v8, vcc_lo
	v_and_b32_e32 v31, 0xfc, v31
	v_and_b32_e32 v34, 3, v8
	v_or_b32_e32 v5, v5, v8
	v_or3_b32 v1, v1, v31, v34
	v_cmp_ne_u32_e32 vcc_lo, 0, v5
	v_lshlrev_b32_e32 v1, 8, v1
	v_cndmask_b32_e32 v5, 0, v1, vcc_lo
.LBB4_2795:                             ;   in Loop: Header=BB4_1940 Depth=4
	s_or_b32 exec_lo, exec_lo, s73
.LBB4_2796:                             ;   in Loop: Header=BB4_1940 Depth=4
	s_or_b32 exec_lo, exec_lo, s72
	v_or_b32_e32 v1, v90, v89
	s_mov_b32 s16, 0
	v_cmp_gt_i16_sdwa s72, v1, v100 src0_sel:BYTE_0 src1_sel:DWORD
	s_and_saveexec_b32 s73, s72
	s_xor_b32 s72, exec_lo, s73
	s_cbranch_execz .LBB4_3178
; %bb.2797:                             ;   in Loop: Header=BB4_1940 Depth=4
	v_cmp_eq_u16_sdwa s74, v1, v101 src0_sel:BYTE_0 src1_sel:DWORD
	s_mov_b32 s16, -1
	s_and_saveexec_b32 s73, s74
; %bb.2798:                             ;   in Loop: Header=BB4_1940 Depth=4
	s_xor_b32 s16, exec_lo, -1
; %bb.2799:                             ;   in Loop: Header=BB4_1940 Depth=4
	s_or_b32 exec_lo, exec_lo, s73
	s_and_b32 s16, s16, exec_lo
	s_or_saveexec_b32 s72, s72
	v_mov_b32_e32 v8, 0x7f800001
	s_xor_b32 exec_lo, exec_lo, s72
	s_cbranch_execnz .LBB4_3179
.LBB4_2800:                             ;   in Loop: Header=BB4_1940 Depth=4
	s_or_b32 exec_lo, exec_lo, s72
	s_and_saveexec_b32 s72, s16
	s_cbranch_execz .LBB4_2802
.LBB4_2801:                             ;   in Loop: Header=BB4_1940 Depth=4
	v_and_b32_e32 v8, 3, v1
	v_bfe_u32 v35, v1, 2, 5
	v_lshlrev_b32_e32 v36, 24, v1
	v_ffbh_u32_e32 v31, v8
	v_cmp_eq_u32_e32 vcc_lo, 0, v35
	v_min_u32_e32 v31, 32, v31
	v_subrev_nc_u32_e32 v34, 29, v31
	v_sub_nc_u32_e32 v31, 30, v31
	v_lshlrev_b32_e32 v34, v34, v1
	v_cndmask_b32_e32 v31, v35, v31, vcc_lo
	v_and_b32_e32 v34, 3, v34
	v_lshl_add_u32 v31, v31, 23, 0x37800000
	v_cndmask_b32_e32 v8, v8, v34, vcc_lo
	v_and_b32_e32 v34, 0x80000000, v36
	v_lshlrev_b32_e32 v8, 21, v8
	v_or3_b32 v8, v34, v31, v8
.LBB4_2802:                             ;   in Loop: Header=BB4_1940 Depth=4
	s_or_b32 exec_lo, exec_lo, s72
	v_cmp_gt_i16_sdwa s72, v9, v100 src0_sel:BYTE_0 src1_sel:DWORD
	s_mov_b32 s16, 0
	s_and_saveexec_b32 s73, s72
	s_xor_b32 s72, exec_lo, s73
	s_cbranch_execz .LBB4_3180
; %bb.2803:                             ;   in Loop: Header=BB4_1940 Depth=4
	v_cmp_eq_u16_sdwa s74, v9, v101 src0_sel:BYTE_0 src1_sel:DWORD
	s_mov_b32 s16, -1
	s_and_saveexec_b32 s73, s74
; %bb.2804:                             ;   in Loop: Header=BB4_1940 Depth=4
	s_xor_b32 s16, exec_lo, -1
; %bb.2805:                             ;   in Loop: Header=BB4_1940 Depth=4
	s_or_b32 exec_lo, exec_lo, s73
	s_and_b32 s16, s16, exec_lo
	s_or_saveexec_b32 s72, s72
	v_mov_b32_e32 v31, 0x7f800001
	s_xor_b32 exec_lo, exec_lo, s72
	s_cbranch_execnz .LBB4_3181
.LBB4_2806:                             ;   in Loop: Header=BB4_1940 Depth=4
	s_or_b32 exec_lo, exec_lo, s72
	s_and_saveexec_b32 s72, s16
	s_cbranch_execz .LBB4_2808
.LBB4_2807:                             ;   in Loop: Header=BB4_1940 Depth=4
	v_and_b32_e32 v31, 3, v9
	v_bfe_u32 v36, v9, 2, 5
	v_lshlrev_b32_e32 v37, 24, v9
	v_ffbh_u32_e32 v34, v31
	v_cmp_eq_u32_e32 vcc_lo, 0, v36
	v_min_u32_e32 v34, 32, v34
	v_subrev_nc_u32_e32 v35, 29, v34
	v_sub_nc_u32_e32 v34, 30, v34
	v_lshlrev_b32_e32 v35, v35, v9
	v_cndmask_b32_e32 v34, v36, v34, vcc_lo
	v_and_b32_e32 v35, 3, v35
	v_lshl_add_u32 v34, v34, 23, 0x37800000
	v_cndmask_b32_e32 v31, v31, v35, vcc_lo
	v_and_b32_e32 v35, 0x80000000, v37
	v_lshlrev_b32_e32 v31, 21, v31
	v_or3_b32 v31, v35, v34, v31
.LBB4_2808:                             ;   in Loop: Header=BB4_1940 Depth=4
	s_or_b32 exec_lo, exec_lo, s72
	v_add_f32_e32 v31, v8, v31
	v_and_b32_e32 v8, 0x7f800000, v31
	v_cmp_ne_u32_e32 vcc_lo, 0x7f800000, v8
	v_mov_b32_e32 v8, 0x80
	s_and_saveexec_b32 s72, vcc_lo
	s_cbranch_execz .LBB4_2816
; %bb.2809:                             ;   in Loop: Header=BB4_1940 Depth=4
	v_mov_b32_e32 v8, 0
	s_mov_b32 s73, exec_lo
	v_cmpx_ne_u32_e32 0, v31
	s_cbranch_execz .LBB4_2815
; %bb.2810:                             ;   in Loop: Header=BB4_1940 Depth=4
	v_bfe_u32 v8, v31, 23, 8
	v_and_b32_e32 v34, 0x7fffff, v31
	v_sub_nc_u32_e32 v35, 0x70, v8
	v_cmp_gt_u32_e32 vcc_lo, 0x71, v8
	v_or_b32_e32 v36, 0x800000, v34
	v_cndmask_b32_e32 v35, 0, v35, vcc_lo
	v_cmp_eq_u32_e32 vcc_lo, 0, v8
	v_add_nc_u32_e32 v8, 0xffffff91, v8
	v_cndmask_b32_e64 v35, v35, 0x6f, vcc_lo
	v_cndmask_b32_e32 v34, v36, v34, vcc_lo
	v_cndmask_b32_e64 v8, v8, 0xffffff92, vcc_lo
	v_lshl_add_u32 v36, 0x200000, v35, -1
	v_lshrrev_b32_e32 v37, v35, v34
	v_lshlrev_b32_e64 v51, v35, 0x100000
	v_add_nc_u32_e32 v35, v35, v8
	v_and_b32_e32 v34, v36, v34
	v_bfe_u32 v50, v37, 21, 1
	v_cmp_eq_u32_e64 s16, v34, v51
	v_add_nc_u32_e32 v36, -1, v50
	v_cndmask_b32_e64 v34, 0, v36, s16
	v_lshrrev_b32_e32 v36, 23, v37
	s_mov_b32 s16, exec_lo
	v_add_nc_u32_e32 v34, v34, v37
	v_xor_b32_e32 v36, 1, v36
	v_and_b32_e32 v8, 0x1fffff, v34
	v_add_nc_u32_e32 v34, v8, v37
                                        ; implicit-def: $vgpr8
	v_cmpx_ne_u32_e64 v35, v36
	s_xor_b32 s16, exec_lo, s16
; %bb.2811:                             ;   in Loop: Header=BB4_1940 Depth=4
	v_cmp_lt_u32_e32 vcc_lo, 0xffffff, v34
	v_sub_nc_u32_e32 v8, v35, v36
	v_cndmask_b32_e64 v35, 0, 1, vcc_lo
	v_add_co_ci_u32_e64 v8, null, 0, v8, vcc_lo
	v_lshrrev_b32_e32 v34, v35, v34
; %bb.2812:                             ;   in Loop: Header=BB4_1940 Depth=4
	s_andn2_saveexec_b32 s16, s16
; %bb.2813:                             ;   in Loop: Header=BB4_1940 Depth=4
	v_bfe_u32 v8, v34, 23, 1
; %bb.2814:                             ;   in Loop: Header=BB4_1940 Depth=4
	s_or_b32 exec_lo, exec_lo, s16
	v_lshrrev_b32_e32 v34, 21, v34
	v_min_i32_e32 v35, 31, v8
	v_cmp_gt_i32_e32 vcc_lo, 32, v8
	v_and_b32_sdwa v31, v31, v101 dst_sel:DWORD dst_unused:UNUSED_PAD src0_sel:BYTE_3 src1_sel:DWORD
	v_lshlrev_b32_e32 v35, 2, v35
	v_cndmask_b32_e32 v34, 3, v34, vcc_lo
	v_and_b32_e32 v35, 0xfc, v35
	v_and_b32_e32 v36, 3, v34
	v_or_b32_e32 v8, v8, v34
	v_or3_b32 v31, v35, v31, v36
	v_cmp_ne_u32_e32 vcc_lo, 0, v8
	v_cndmask_b32_e32 v8, 0, v31, vcc_lo
.LBB4_2815:                             ;   in Loop: Header=BB4_1940 Depth=4
	s_or_b32 exec_lo, exec_lo, s73
.LBB4_2816:                             ;   in Loop: Header=BB4_1940 Depth=4
	s_or_b32 exec_lo, exec_lo, s72
	v_cmp_gt_i16_sdwa s72, v1, v100 src0_sel:BYTE_1 src1_sel:DWORD
	s_mov_b32 s16, 0
	s_and_saveexec_b32 s73, s72
	s_xor_b32 s72, exec_lo, s73
	s_cbranch_execz .LBB4_3182
; %bb.2817:                             ;   in Loop: Header=BB4_1940 Depth=4
	v_cmp_eq_u16_sdwa s74, v1, v101 src0_sel:BYTE_1 src1_sel:DWORD
	s_mov_b32 s16, -1
	s_and_saveexec_b32 s73, s74
; %bb.2818:                             ;   in Loop: Header=BB4_1940 Depth=4
	s_xor_b32 s16, exec_lo, -1
; %bb.2819:                             ;   in Loop: Header=BB4_1940 Depth=4
	s_or_b32 exec_lo, exec_lo, s73
	s_and_b32 s16, s16, exec_lo
	s_or_saveexec_b32 s72, s72
	v_mov_b32_e32 v31, 0x7f800001
	s_xor_b32 exec_lo, exec_lo, s72
	s_cbranch_execnz .LBB4_3183
.LBB4_2820:                             ;   in Loop: Header=BB4_1940 Depth=4
	s_or_b32 exec_lo, exec_lo, s72
	s_and_saveexec_b32 s72, s16
	s_cbranch_execz .LBB4_2822
.LBB4_2821:                             ;   in Loop: Header=BB4_1940 Depth=4
	v_and_b32_sdwa v31, v102, v1 dst_sel:DWORD dst_unused:UNUSED_PAD src0_sel:DWORD src1_sel:BYTE_1
	v_and_b32_e32 v34, 3, v31
	v_bfe_u32 v37, v31, 2, 5
	v_ffbh_u32_e32 v35, v34
	v_cmp_eq_u32_e32 vcc_lo, 0, v37
	v_min_u32_e32 v35, 32, v35
	v_subrev_nc_u32_e32 v36, 29, v35
	v_sub_nc_u32_e32 v35, 30, v35
	v_lshlrev_b32_e32 v31, v36, v31
	v_lshlrev_b32_sdwa v36, v103, v1 dst_sel:DWORD dst_unused:UNUSED_PAD src0_sel:DWORD src1_sel:BYTE_1
	v_cndmask_b32_e32 v35, v37, v35, vcc_lo
	v_and_b32_e32 v31, 3, v31
	v_lshl_add_u32 v35, v35, 23, 0x37800000
	v_cndmask_b32_e32 v31, v34, v31, vcc_lo
	v_and_b32_e32 v34, 0x80000000, v36
	v_lshlrev_b32_e32 v31, 21, v31
	v_or3_b32 v31, v34, v35, v31
.LBB4_2822:                             ;   in Loop: Header=BB4_1940 Depth=4
	s_or_b32 exec_lo, exec_lo, s72
	v_cmp_gt_i16_sdwa s72, v9, v100 src0_sel:BYTE_1 src1_sel:DWORD
	s_mov_b32 s16, 0
	s_and_saveexec_b32 s73, s72
	s_xor_b32 s72, exec_lo, s73
	s_cbranch_execz .LBB4_3184
; %bb.2823:                             ;   in Loop: Header=BB4_1940 Depth=4
	v_cmp_eq_u16_sdwa s74, v9, v101 src0_sel:BYTE_1 src1_sel:DWORD
	s_mov_b32 s16, -1
	s_and_saveexec_b32 s73, s74
; %bb.2824:                             ;   in Loop: Header=BB4_1940 Depth=4
	s_xor_b32 s16, exec_lo, -1
; %bb.2825:                             ;   in Loop: Header=BB4_1940 Depth=4
	s_or_b32 exec_lo, exec_lo, s73
	s_and_b32 s16, s16, exec_lo
	s_or_saveexec_b32 s72, s72
	v_mov_b32_e32 v34, 0x7f800001
	s_xor_b32 exec_lo, exec_lo, s72
	s_cbranch_execnz .LBB4_3185
.LBB4_2826:                             ;   in Loop: Header=BB4_1940 Depth=4
	s_or_b32 exec_lo, exec_lo, s72
	s_and_saveexec_b32 s72, s16
	s_cbranch_execz .LBB4_2828
.LBB4_2827:                             ;   in Loop: Header=BB4_1940 Depth=4
	v_and_b32_sdwa v34, v102, v9 dst_sel:DWORD dst_unused:UNUSED_PAD src0_sel:DWORD src1_sel:BYTE_1
	v_and_b32_e32 v35, 3, v34
	v_bfe_u32 v50, v34, 2, 5
	v_ffbh_u32_e32 v36, v35
	v_cmp_eq_u32_e32 vcc_lo, 0, v50
	v_min_u32_e32 v36, 32, v36
	v_subrev_nc_u32_e32 v37, 29, v36
	v_sub_nc_u32_e32 v36, 30, v36
	v_lshlrev_b32_e32 v34, v37, v34
	v_lshlrev_b32_sdwa v37, v103, v9 dst_sel:DWORD dst_unused:UNUSED_PAD src0_sel:DWORD src1_sel:BYTE_1
	v_cndmask_b32_e32 v36, v50, v36, vcc_lo
	v_and_b32_e32 v34, 3, v34
	v_lshl_add_u32 v36, v36, 23, 0x37800000
	v_cndmask_b32_e32 v34, v35, v34, vcc_lo
	v_and_b32_e32 v35, 0x80000000, v37
	v_lshlrev_b32_e32 v34, 21, v34
	v_or3_b32 v34, v35, v36, v34
.LBB4_2828:                             ;   in Loop: Header=BB4_1940 Depth=4
	s_or_b32 exec_lo, exec_lo, s72
	v_add_f32_e32 v31, v31, v34
	v_and_b32_e32 v34, 0x7f800000, v31
	v_cmp_ne_u32_e32 vcc_lo, 0x7f800000, v34
	v_mov_b32_e32 v34, 0x8000
	s_and_saveexec_b32 s72, vcc_lo
	s_cbranch_execz .LBB4_2836
; %bb.2829:                             ;   in Loop: Header=BB4_1940 Depth=4
	v_mov_b32_e32 v34, 0
	s_mov_b32 s73, exec_lo
	v_cmpx_ne_u32_e32 0, v31
	s_cbranch_execz .LBB4_2835
; %bb.2830:                             ;   in Loop: Header=BB4_1940 Depth=4
	v_bfe_u32 v35, v31, 23, 8
	v_and_b32_e32 v34, 0x7fffff, v31
	v_cmp_gt_u32_e64 s16, 0x71, v35
	v_sub_nc_u32_e32 v36, 0x70, v35
	v_cmp_eq_u32_e32 vcc_lo, 0, v35
	v_or_b32_e32 v37, 0x800000, v34
	v_cndmask_b32_e64 v36, 0, v36, s16
	v_cndmask_b32_e32 v34, v37, v34, vcc_lo
	v_cndmask_b32_e64 v36, v36, 0x6f, vcc_lo
	v_lshl_add_u32 v37, 0x200000, v36, -1
	v_lshlrev_b32_e64 v50, v36, 0x100000
	v_and_b32_e32 v37, v37, v34
	v_cmp_eq_u32_e64 s16, v37, v50
	v_lshrrev_b32_e32 v37, v36, v34
	v_add_nc_u32_e32 v34, 0xffffff91, v35
	v_lshrrev_b32_e32 v35, 23, v37
	v_cndmask_b32_e64 v34, v34, 0xffffff92, vcc_lo
	v_xor_b32_e32 v35, 1, v35
	v_add_nc_u32_e32 v34, v36, v34
	v_bfe_u32 v36, v37, 21, 1
	v_add_nc_u32_e32 v36, -1, v36
	v_cndmask_b32_e64 v36, 0, v36, s16
	s_mov_b32 s16, exec_lo
	v_add_nc_u32_e32 v36, v36, v37
	v_and_b32_e32 v36, 0x1fffff, v36
	v_add_nc_u32_e32 v37, v36, v37
                                        ; implicit-def: $vgpr36
	v_cmpx_ne_u32_e64 v34, v35
	s_xor_b32 s16, exec_lo, s16
; %bb.2831:                             ;   in Loop: Header=BB4_1940 Depth=4
	v_cmp_lt_u32_e32 vcc_lo, 0xffffff, v37
	v_sub_nc_u32_e32 v34, v34, v35
	v_cndmask_b32_e64 v35, 0, 1, vcc_lo
	v_add_co_ci_u32_e64 v36, null, 0, v34, vcc_lo
	v_lshrrev_b32_e32 v37, v35, v37
; %bb.2832:                             ;   in Loop: Header=BB4_1940 Depth=4
	s_andn2_saveexec_b32 s16, s16
; %bb.2833:                             ;   in Loop: Header=BB4_1940 Depth=4
	v_bfe_u32 v36, v37, 23, 1
; %bb.2834:                             ;   in Loop: Header=BB4_1940 Depth=4
	s_or_b32 exec_lo, exec_lo, s16
	v_lshrrev_b32_e32 v34, 21, v37
	v_min_i32_e32 v35, 31, v36
	v_cmp_gt_i32_e32 vcc_lo, 32, v36
	v_and_b32_sdwa v31, v31, v101 dst_sel:DWORD dst_unused:UNUSED_PAD src0_sel:BYTE_3 src1_sel:DWORD
	v_lshlrev_b32_e32 v35, 2, v35
	v_cndmask_b32_e32 v34, 3, v34, vcc_lo
	v_and_b32_e32 v35, 0xfc, v35
	v_and_b32_e32 v37, 3, v34
	v_or_b32_e32 v34, v36, v34
	v_or3_b32 v31, v31, v35, v37
	v_cmp_ne_u32_e32 vcc_lo, 0, v34
	v_lshlrev_b32_e32 v31, 8, v31
	v_cndmask_b32_e32 v34, 0, v31, vcc_lo
.LBB4_2835:                             ;   in Loop: Header=BB4_1940 Depth=4
	s_or_b32 exec_lo, exec_lo, s73
.LBB4_2836:                             ;   in Loop: Header=BB4_1940 Depth=4
	s_or_b32 exec_lo, exec_lo, s72
	v_or_b32_e32 v35, v88, v77
	s_mov_b32 s16, 0
	v_cmp_gt_i16_sdwa s72, v35, v100 src0_sel:BYTE_0 src1_sel:DWORD
	s_and_saveexec_b32 s73, s72
	s_xor_b32 s72, exec_lo, s73
	s_cbranch_execz .LBB4_3186
; %bb.2837:                             ;   in Loop: Header=BB4_1940 Depth=4
	v_cmp_eq_u16_sdwa s74, v35, v101 src0_sel:BYTE_0 src1_sel:DWORD
	s_mov_b32 s16, -1
	s_and_saveexec_b32 s73, s74
; %bb.2838:                             ;   in Loop: Header=BB4_1940 Depth=4
	s_xor_b32 s16, exec_lo, -1
; %bb.2839:                             ;   in Loop: Header=BB4_1940 Depth=4
	s_or_b32 exec_lo, exec_lo, s73
	s_and_b32 s16, s16, exec_lo
	s_or_saveexec_b32 s72, s72
	v_mov_b32_e32 v31, 0x7f800001
	s_xor_b32 exec_lo, exec_lo, s72
	s_cbranch_execnz .LBB4_3187
.LBB4_2840:                             ;   in Loop: Header=BB4_1940 Depth=4
	s_or_b32 exec_lo, exec_lo, s72
	v_lshl_or_b32 v1, v35, 16, v1
	s_and_saveexec_b32 s72, s16
	s_cbranch_execz .LBB4_2842
.LBB4_2841:                             ;   in Loop: Header=BB4_1940 Depth=4
	v_bfe_u32 v31, v1, 16, 2
	v_bfe_u32 v37, v1, 18, 5
	v_lshlrev_b32_e32 v50, 8, v1
	v_ffbh_u32_e32 v35, v31
	v_cmp_eq_u32_e32 vcc_lo, 0, v37
	v_min_u32_e32 v35, 32, v35
	v_subrev_nc_u32_e32 v36, 29, v35
	v_sub_nc_u32_e32 v35, 30, v35
	v_lshlrev_b32_sdwa v36, v36, v1 dst_sel:DWORD dst_unused:UNUSED_PAD src0_sel:DWORD src1_sel:WORD_1
	v_cndmask_b32_e32 v35, v37, v35, vcc_lo
	v_and_b32_e32 v36, 3, v36
	v_lshl_add_u32 v35, v35, 23, 0x37800000
	v_cndmask_b32_e32 v31, v31, v36, vcc_lo
	v_and_b32_e32 v36, 0x80000000, v50
	v_lshlrev_b32_e32 v31, 21, v31
	v_or3_b32 v31, v36, v35, v31
.LBB4_2842:                             ;   in Loop: Header=BB4_1940 Depth=4
	s_or_b32 exec_lo, exec_lo, s72
	v_and_b32_sdwa v36, v9, v112 dst_sel:DWORD dst_unused:UNUSED_PAD src0_sel:WORD_1 src1_sel:DWORD
	s_mov_b32 s16, 0
	s_mov_b32 s72, exec_lo
	v_cmpx_lt_i16_e32 0x7f, v36
	s_xor_b32 s72, exec_lo, s72
	s_cbranch_execz .LBB4_3188
; %bb.2843:                             ;   in Loop: Header=BB4_1940 Depth=4
	s_mov_b32 s16, -1
	s_mov_b32 s73, exec_lo
	v_cmpx_eq_u16_e32 0x80, v36
; %bb.2844:                             ;   in Loop: Header=BB4_1940 Depth=4
	s_xor_b32 s16, exec_lo, -1
; %bb.2845:                             ;   in Loop: Header=BB4_1940 Depth=4
	s_or_b32 exec_lo, exec_lo, s73
	s_and_b32 s16, s16, exec_lo
                                        ; implicit-def: $vgpr36
	s_or_saveexec_b32 s72, s72
	v_mov_b32_e32 v35, 0x7f800001
	s_xor_b32 exec_lo, exec_lo, s72
	s_cbranch_execnz .LBB4_3189
.LBB4_2846:                             ;   in Loop: Header=BB4_1940 Depth=4
	s_or_b32 exec_lo, exec_lo, s72
	s_and_saveexec_b32 s72, s16
	s_cbranch_execz .LBB4_2848
.LBB4_2847:                             ;   in Loop: Header=BB4_1940 Depth=4
	v_bfe_u32 v35, v9, 16, 2
	v_bfe_u32 v50, v9, 18, 5
	v_lshlrev_b32_e32 v51, 8, v9
	v_ffbh_u32_e32 v36, v35
	v_cmp_eq_u32_e32 vcc_lo, 0, v50
	v_min_u32_e32 v36, 32, v36
	v_subrev_nc_u32_e32 v37, 29, v36
	v_sub_nc_u32_e32 v36, 30, v36
	v_lshlrev_b32_sdwa v37, v37, v9 dst_sel:DWORD dst_unused:UNUSED_PAD src0_sel:DWORD src1_sel:WORD_1
	v_cndmask_b32_e32 v36, v50, v36, vcc_lo
	v_and_b32_e32 v37, 3, v37
	v_lshl_add_u32 v36, v36, 23, 0x37800000
	v_cndmask_b32_e32 v35, v35, v37, vcc_lo
	v_and_b32_e32 v37, 0x80000000, v51
	v_lshlrev_b32_e32 v35, 21, v35
	v_or3_b32 v35, v37, v36, v35
.LBB4_2848:                             ;   in Loop: Header=BB4_1940 Depth=4
	s_or_b32 exec_lo, exec_lo, s72
	v_add_f32_e32 v31, v31, v35
	v_and_b32_e32 v35, 0x7f800000, v31
	v_cmp_ne_u32_e32 vcc_lo, 0x7f800000, v35
	v_mov_b32_e32 v35, 0x80
	s_and_saveexec_b32 s72, vcc_lo
	s_cbranch_execz .LBB4_2856
; %bb.2849:                             ;   in Loop: Header=BB4_1940 Depth=4
	v_mov_b32_e32 v35, 0
	s_mov_b32 s73, exec_lo
	v_cmpx_ne_u32_e32 0, v31
	s_cbranch_execz .LBB4_2855
; %bb.2850:                             ;   in Loop: Header=BB4_1940 Depth=4
	v_bfe_u32 v35, v31, 23, 8
	v_and_b32_e32 v36, 0x7fffff, v31
	v_sub_nc_u32_e32 v37, 0x70, v35
	v_cmp_gt_u32_e32 vcc_lo, 0x71, v35
	v_or_b32_e32 v50, 0x800000, v36
	v_cndmask_b32_e32 v37, 0, v37, vcc_lo
	v_cmp_eq_u32_e32 vcc_lo, 0, v35
	v_add_nc_u32_e32 v35, 0xffffff91, v35
	v_cndmask_b32_e64 v37, v37, 0x6f, vcc_lo
	v_cndmask_b32_e32 v36, v50, v36, vcc_lo
	v_cndmask_b32_e64 v35, v35, 0xffffff92, vcc_lo
	v_lshl_add_u32 v50, 0x200000, v37, -1
	v_lshrrev_b32_e32 v51, v37, v36
	v_lshlrev_b32_e64 v97, v37, 0x100000
	v_add_nc_u32_e32 v37, v37, v35
	v_and_b32_e32 v36, v50, v36
	v_bfe_u32 v96, v51, 21, 1
	v_cmp_eq_u32_e64 s16, v36, v97
	v_add_nc_u32_e32 v50, -1, v96
	v_cndmask_b32_e64 v36, 0, v50, s16
	v_lshrrev_b32_e32 v50, 23, v51
	s_mov_b32 s16, exec_lo
	v_add_nc_u32_e32 v36, v36, v51
	v_xor_b32_e32 v50, 1, v50
	v_and_b32_e32 v35, 0x1fffff, v36
	v_add_nc_u32_e32 v36, v35, v51
                                        ; implicit-def: $vgpr35
	v_cmpx_ne_u32_e64 v37, v50
	s_xor_b32 s16, exec_lo, s16
; %bb.2851:                             ;   in Loop: Header=BB4_1940 Depth=4
	v_cmp_lt_u32_e32 vcc_lo, 0xffffff, v36
	v_sub_nc_u32_e32 v35, v37, v50
	v_cndmask_b32_e64 v37, 0, 1, vcc_lo
	v_add_co_ci_u32_e64 v35, null, 0, v35, vcc_lo
	v_lshrrev_b32_e32 v36, v37, v36
; %bb.2852:                             ;   in Loop: Header=BB4_1940 Depth=4
	s_andn2_saveexec_b32 s16, s16
; %bb.2853:                             ;   in Loop: Header=BB4_1940 Depth=4
	v_bfe_u32 v35, v36, 23, 1
; %bb.2854:                             ;   in Loop: Header=BB4_1940 Depth=4
	s_or_b32 exec_lo, exec_lo, s16
	v_lshrrev_b32_e32 v36, 21, v36
	v_min_i32_e32 v37, 31, v35
	v_cmp_gt_i32_e32 vcc_lo, 32, v35
	v_and_b32_sdwa v31, v31, v101 dst_sel:DWORD dst_unused:UNUSED_PAD src0_sel:BYTE_3 src1_sel:DWORD
	v_lshlrev_b32_e32 v37, 2, v37
	v_cndmask_b32_e32 v36, 3, v36, vcc_lo
	v_and_b32_e32 v37, 0xfc, v37
	v_and_b32_e32 v50, 3, v36
	v_or_b32_e32 v35, v35, v36
	v_or3_b32 v31, v37, v31, v50
	v_cmp_ne_u32_e32 vcc_lo, 0, v35
	v_cndmask_b32_e32 v35, 0, v31, vcc_lo
.LBB4_2855:                             ;   in Loop: Header=BB4_1940 Depth=4
	s_or_b32 exec_lo, exec_lo, s73
.LBB4_2856:                             ;   in Loop: Header=BB4_1940 Depth=4
	s_or_b32 exec_lo, exec_lo, s72
	v_cmp_gt_i16_sdwa s72, v1, v100 src0_sel:BYTE_3 src1_sel:DWORD
	s_mov_b32 s16, 0
	s_and_saveexec_b32 s73, s72
	s_xor_b32 s72, exec_lo, s73
	s_cbranch_execz .LBB4_3190
; %bb.2857:                             ;   in Loop: Header=BB4_1940 Depth=4
	v_cmp_eq_u16_sdwa s74, v1, v101 src0_sel:BYTE_3 src1_sel:DWORD
	s_mov_b32 s16, -1
	s_and_saveexec_b32 s73, s74
; %bb.2858:                             ;   in Loop: Header=BB4_1940 Depth=4
	s_xor_b32 s16, exec_lo, -1
; %bb.2859:                             ;   in Loop: Header=BB4_1940 Depth=4
	s_or_b32 exec_lo, exec_lo, s73
	s_and_b32 s16, s16, exec_lo
	s_or_saveexec_b32 s72, s72
	v_mov_b32_e32 v31, 0x7f800001
	s_xor_b32 exec_lo, exec_lo, s72
	s_cbranch_execnz .LBB4_3191
.LBB4_2860:                             ;   in Loop: Header=BB4_1940 Depth=4
	s_or_b32 exec_lo, exec_lo, s72
	s_and_saveexec_b32 s72, s16
	s_cbranch_execz .LBB4_2862
.LBB4_2861:                             ;   in Loop: Header=BB4_1940 Depth=4
	v_bfe_u32 v31, v1, 24, 2
	v_bfe_u32 v50, v1, 26, 5
	v_ffbh_u32_e32 v36, v31
	v_cmp_eq_u32_e32 vcc_lo, 0, v50
	v_min_u32_e32 v36, 32, v36
	v_subrev_nc_u32_e32 v37, 29, v36
	v_sub_nc_u32_e32 v36, 30, v36
	v_lshlrev_b32_sdwa v37, v37, v1 dst_sel:DWORD dst_unused:UNUSED_PAD src0_sel:DWORD src1_sel:BYTE_3
	v_cndmask_b32_e32 v36, v50, v36, vcc_lo
	v_and_b32_e32 v1, 0x80000000, v1
	v_and_b32_e32 v37, 3, v37
	v_lshl_add_u32 v36, v36, 23, 0x37800000
	v_cndmask_b32_e32 v31, v31, v37, vcc_lo
	v_lshlrev_b32_e32 v31, 21, v31
	v_or3_b32 v31, v1, v36, v31
.LBB4_2862:                             ;   in Loop: Header=BB4_1940 Depth=4
	s_or_b32 exec_lo, exec_lo, s72
	v_cmp_gt_i16_sdwa s72, v9, v100 src0_sel:BYTE_3 src1_sel:DWORD
	s_mov_b32 s16, 0
	s_and_saveexec_b32 s73, s72
	s_xor_b32 s72, exec_lo, s73
	s_cbranch_execz .LBB4_3192
; %bb.2863:                             ;   in Loop: Header=BB4_1940 Depth=4
	v_cmp_eq_u16_sdwa s74, v9, v101 src0_sel:BYTE_3 src1_sel:DWORD
	s_mov_b32 s16, -1
	s_and_saveexec_b32 s73, s74
; %bb.2864:                             ;   in Loop: Header=BB4_1940 Depth=4
	s_xor_b32 s16, exec_lo, -1
; %bb.2865:                             ;   in Loop: Header=BB4_1940 Depth=4
	s_or_b32 exec_lo, exec_lo, s73
	s_and_b32 s16, s16, exec_lo
	s_or_saveexec_b32 s72, s72
	v_mov_b32_e32 v1, 0x7f800001
	s_xor_b32 exec_lo, exec_lo, s72
	s_cbranch_execnz .LBB4_3193
.LBB4_2866:                             ;   in Loop: Header=BB4_1940 Depth=4
	s_or_b32 exec_lo, exec_lo, s72
	s_and_saveexec_b32 s72, s16
	s_cbranch_execz .LBB4_2868
.LBB4_2867:                             ;   in Loop: Header=BB4_1940 Depth=4
	v_bfe_u32 v1, v9, 24, 2
	v_bfe_u32 v50, v9, 26, 5
	v_ffbh_u32_e32 v36, v1
	v_cmp_eq_u32_e32 vcc_lo, 0, v50
	v_min_u32_e32 v36, 32, v36
	v_subrev_nc_u32_e32 v37, 29, v36
	v_sub_nc_u32_e32 v36, 30, v36
	v_lshlrev_b32_sdwa v37, v37, v9 dst_sel:DWORD dst_unused:UNUSED_PAD src0_sel:DWORD src1_sel:BYTE_3
	v_cndmask_b32_e32 v36, v50, v36, vcc_lo
	v_and_b32_e32 v9, 0x80000000, v9
	v_and_b32_e32 v37, 3, v37
	v_lshl_add_u32 v36, v36, 23, 0x37800000
	v_cndmask_b32_e32 v1, v1, v37, vcc_lo
	v_lshlrev_b32_e32 v1, 21, v1
	v_or3_b32 v1, v9, v36, v1
.LBB4_2868:                             ;   in Loop: Header=BB4_1940 Depth=4
	s_or_b32 exec_lo, exec_lo, s72
	v_add_f32_e32 v1, v31, v1
	v_and_b32_e32 v9, 0x7f800000, v1
	v_cmp_ne_u32_e32 vcc_lo, 0x7f800000, v9
	v_mov_b32_e32 v9, 0x8000
	s_and_saveexec_b32 s72, vcc_lo
	s_cbranch_execz .LBB4_2876
; %bb.2869:                             ;   in Loop: Header=BB4_1940 Depth=4
	v_mov_b32_e32 v9, 0
	s_mov_b32 s73, exec_lo
	v_cmpx_ne_u32_e32 0, v1
	s_cbranch_execz .LBB4_2875
; %bb.2870:                             ;   in Loop: Header=BB4_1940 Depth=4
	v_bfe_u32 v9, v1, 23, 8
	v_and_b32_e32 v31, 0x7fffff, v1
	v_sub_nc_u32_e32 v36, 0x70, v9
	v_cmp_gt_u32_e32 vcc_lo, 0x71, v9
	v_or_b32_e32 v37, 0x800000, v31
	v_cndmask_b32_e32 v36, 0, v36, vcc_lo
	v_cmp_eq_u32_e32 vcc_lo, 0, v9
	v_add_nc_u32_e32 v9, 0xffffff91, v9
	v_cndmask_b32_e64 v36, v36, 0x6f, vcc_lo
	v_cndmask_b32_e32 v31, v37, v31, vcc_lo
	v_cndmask_b32_e64 v9, v9, 0xffffff92, vcc_lo
	v_lshl_add_u32 v37, 0x200000, v36, -1
	v_lshrrev_b32_e32 v50, v36, v31
	v_lshlrev_b32_e64 v96, v36, 0x100000
	v_add_nc_u32_e32 v36, v36, v9
	v_and_b32_e32 v31, v37, v31
	v_bfe_u32 v51, v50, 21, 1
	v_cmp_eq_u32_e64 s16, v31, v96
	v_add_nc_u32_e32 v37, -1, v51
	v_cndmask_b32_e64 v31, 0, v37, s16
	v_lshrrev_b32_e32 v37, 23, v50
	s_mov_b32 s16, exec_lo
	v_add_nc_u32_e32 v31, v31, v50
	v_xor_b32_e32 v37, 1, v37
	v_and_b32_e32 v9, 0x1fffff, v31
	v_add_nc_u32_e32 v31, v9, v50
                                        ; implicit-def: $vgpr9
	v_cmpx_ne_u32_e64 v36, v37
	s_xor_b32 s16, exec_lo, s16
; %bb.2871:                             ;   in Loop: Header=BB4_1940 Depth=4
	v_cmp_lt_u32_e32 vcc_lo, 0xffffff, v31
	v_sub_nc_u32_e32 v9, v36, v37
	v_cndmask_b32_e64 v36, 0, 1, vcc_lo
	v_add_co_ci_u32_e64 v9, null, 0, v9, vcc_lo
	v_lshrrev_b32_e32 v31, v36, v31
; %bb.2872:                             ;   in Loop: Header=BB4_1940 Depth=4
	s_andn2_saveexec_b32 s16, s16
; %bb.2873:                             ;   in Loop: Header=BB4_1940 Depth=4
	v_bfe_u32 v9, v31, 23, 1
; %bb.2874:                             ;   in Loop: Header=BB4_1940 Depth=4
	s_or_b32 exec_lo, exec_lo, s16
	v_lshrrev_b32_e32 v31, 21, v31
	v_min_i32_e32 v36, 31, v9
	v_cmp_gt_i32_e32 vcc_lo, 32, v9
	v_and_b32_sdwa v1, v1, v101 dst_sel:DWORD dst_unused:UNUSED_PAD src0_sel:BYTE_3 src1_sel:DWORD
	v_lshlrev_b32_e32 v36, 2, v36
	v_cndmask_b32_e32 v31, 3, v31, vcc_lo
	v_and_b32_e32 v36, 0xfc, v36
	v_and_b32_e32 v37, 3, v31
	v_or_b32_e32 v9, v9, v31
	v_or3_b32 v1, v1, v36, v37
	v_cmp_ne_u32_e32 vcc_lo, 0, v9
	v_lshlrev_b32_e32 v1, 8, v1
	v_cndmask_b32_e32 v9, 0, v1, vcc_lo
.LBB4_2875:                             ;   in Loop: Header=BB4_1940 Depth=4
	s_or_b32 exec_lo, exec_lo, s73
.LBB4_2876:                             ;   in Loop: Header=BB4_1940 Depth=4
	s_or_b32 exec_lo, exec_lo, s72
	v_or_b32_e32 v1, v78, v75
	s_mov_b32 s16, 0
	v_cmp_gt_i16_sdwa s72, v1, v100 src0_sel:BYTE_0 src1_sel:DWORD
	s_and_saveexec_b32 s73, s72
	s_xor_b32 s72, exec_lo, s73
	s_cbranch_execz .LBB4_3194
; %bb.2877:                             ;   in Loop: Header=BB4_1940 Depth=4
	v_cmp_eq_u16_sdwa s74, v1, v101 src0_sel:BYTE_0 src1_sel:DWORD
	s_mov_b32 s16, -1
	s_and_saveexec_b32 s73, s74
; %bb.2878:                             ;   in Loop: Header=BB4_1940 Depth=4
	s_xor_b32 s16, exec_lo, -1
; %bb.2879:                             ;   in Loop: Header=BB4_1940 Depth=4
	s_or_b32 exec_lo, exec_lo, s73
	s_and_b32 s16, s16, exec_lo
	s_or_saveexec_b32 s72, s72
	v_mov_b32_e32 v31, 0x7f800001
	s_xor_b32 exec_lo, exec_lo, s72
	s_cbranch_execnz .LBB4_3195
.LBB4_2880:                             ;   in Loop: Header=BB4_1940 Depth=4
	s_or_b32 exec_lo, exec_lo, s72
	s_and_saveexec_b32 s72, s16
	s_cbranch_execz .LBB4_2882
.LBB4_2881:                             ;   in Loop: Header=BB4_1940 Depth=4
	v_and_b32_e32 v31, 3, v1
	v_bfe_u32 v50, v1, 2, 5
	v_lshlrev_b32_e32 v51, 24, v1
	v_ffbh_u32_e32 v36, v31
	v_cmp_eq_u32_e32 vcc_lo, 0, v50
	v_min_u32_e32 v36, 32, v36
	v_subrev_nc_u32_e32 v37, 29, v36
	v_sub_nc_u32_e32 v36, 30, v36
	v_lshlrev_b32_e32 v37, v37, v1
	v_cndmask_b32_e32 v36, v50, v36, vcc_lo
	v_and_b32_e32 v37, 3, v37
	v_lshl_add_u32 v36, v36, 23, 0x37800000
	v_cndmask_b32_e32 v31, v31, v37, vcc_lo
	v_and_b32_e32 v37, 0x80000000, v51
	v_lshlrev_b32_e32 v31, 21, v31
	v_or3_b32 v31, v37, v36, v31
.LBB4_2882:                             ;   in Loop: Header=BB4_1940 Depth=4
	s_or_b32 exec_lo, exec_lo, s72
	v_cmp_gt_i16_sdwa s72, v10, v100 src0_sel:BYTE_0 src1_sel:DWORD
	s_mov_b32 s16, 0
	s_and_saveexec_b32 s73, s72
	s_xor_b32 s72, exec_lo, s73
	s_cbranch_execz .LBB4_3196
; %bb.2883:                             ;   in Loop: Header=BB4_1940 Depth=4
	v_cmp_eq_u16_sdwa s74, v10, v101 src0_sel:BYTE_0 src1_sel:DWORD
	s_mov_b32 s16, -1
	s_and_saveexec_b32 s73, s74
; %bb.2884:                             ;   in Loop: Header=BB4_1940 Depth=4
	s_xor_b32 s16, exec_lo, -1
; %bb.2885:                             ;   in Loop: Header=BB4_1940 Depth=4
	s_or_b32 exec_lo, exec_lo, s73
	s_and_b32 s16, s16, exec_lo
	s_or_saveexec_b32 s72, s72
	v_mov_b32_e32 v36, 0x7f800001
	s_xor_b32 exec_lo, exec_lo, s72
	s_cbranch_execnz .LBB4_3197
.LBB4_2886:                             ;   in Loop: Header=BB4_1940 Depth=4
	s_or_b32 exec_lo, exec_lo, s72
	s_and_saveexec_b32 s72, s16
	s_cbranch_execz .LBB4_2888
.LBB4_2887:                             ;   in Loop: Header=BB4_1940 Depth=4
	v_and_b32_e32 v36, 3, v10
	v_bfe_u32 v51, v10, 2, 5
	v_lshlrev_b32_e32 v96, 24, v10
	v_ffbh_u32_e32 v37, v36
	v_cmp_eq_u32_e32 vcc_lo, 0, v51
	v_min_u32_e32 v37, 32, v37
	v_subrev_nc_u32_e32 v50, 29, v37
	v_sub_nc_u32_e32 v37, 30, v37
	v_lshlrev_b32_e32 v50, v50, v10
	v_cndmask_b32_e32 v37, v51, v37, vcc_lo
	v_and_b32_e32 v50, 3, v50
	v_lshl_add_u32 v37, v37, 23, 0x37800000
	v_cndmask_b32_e32 v36, v36, v50, vcc_lo
	v_and_b32_e32 v50, 0x80000000, v96
	v_lshlrev_b32_e32 v36, 21, v36
	v_or3_b32 v36, v50, v37, v36
.LBB4_2888:                             ;   in Loop: Header=BB4_1940 Depth=4
	s_or_b32 exec_lo, exec_lo, s72
	v_add_f32_e32 v31, v31, v36
	v_and_b32_e32 v36, 0x7f800000, v31
	v_cmp_ne_u32_e32 vcc_lo, 0x7f800000, v36
	v_mov_b32_e32 v36, 0x80
	s_and_saveexec_b32 s72, vcc_lo
	s_cbranch_execz .LBB4_2896
; %bb.2889:                             ;   in Loop: Header=BB4_1940 Depth=4
	v_mov_b32_e32 v36, 0
	s_mov_b32 s73, exec_lo
	v_cmpx_ne_u32_e32 0, v31
	s_cbranch_execz .LBB4_2895
; %bb.2890:                             ;   in Loop: Header=BB4_1940 Depth=4
	v_bfe_u32 v36, v31, 23, 8
	v_and_b32_e32 v37, 0x7fffff, v31
	v_sub_nc_u32_e32 v50, 0x70, v36
	v_cmp_gt_u32_e32 vcc_lo, 0x71, v36
	v_or_b32_e32 v51, 0x800000, v37
	v_cndmask_b32_e32 v50, 0, v50, vcc_lo
	v_cmp_eq_u32_e32 vcc_lo, 0, v36
	v_add_nc_u32_e32 v36, 0xffffff91, v36
	v_cndmask_b32_e64 v50, v50, 0x6f, vcc_lo
	v_cndmask_b32_e32 v37, v51, v37, vcc_lo
	v_cndmask_b32_e64 v36, v36, 0xffffff92, vcc_lo
	v_lshl_add_u32 v51, 0x200000, v50, -1
	v_lshrrev_b32_e32 v96, v50, v37
	v_lshlrev_b32_e64 v115, v50, 0x100000
	v_add_nc_u32_e32 v50, v50, v36
	v_and_b32_e32 v37, v51, v37
	v_bfe_u32 v97, v96, 21, 1
	v_cmp_eq_u32_e64 s16, v37, v115
	v_add_nc_u32_e32 v51, -1, v97
	v_cndmask_b32_e64 v37, 0, v51, s16
	v_lshrrev_b32_e32 v51, 23, v96
	s_mov_b32 s16, exec_lo
	v_add_nc_u32_e32 v37, v37, v96
	v_xor_b32_e32 v51, 1, v51
	v_and_b32_e32 v36, 0x1fffff, v37
	v_add_nc_u32_e32 v37, v36, v96
                                        ; implicit-def: $vgpr36
	v_cmpx_ne_u32_e64 v50, v51
	s_xor_b32 s16, exec_lo, s16
; %bb.2891:                             ;   in Loop: Header=BB4_1940 Depth=4
	v_cmp_lt_u32_e32 vcc_lo, 0xffffff, v37
	v_sub_nc_u32_e32 v36, v50, v51
	v_cndmask_b32_e64 v50, 0, 1, vcc_lo
	v_add_co_ci_u32_e64 v36, null, 0, v36, vcc_lo
	v_lshrrev_b32_e32 v37, v50, v37
; %bb.2892:                             ;   in Loop: Header=BB4_1940 Depth=4
	s_andn2_saveexec_b32 s16, s16
; %bb.2893:                             ;   in Loop: Header=BB4_1940 Depth=4
	v_bfe_u32 v36, v37, 23, 1
; %bb.2894:                             ;   in Loop: Header=BB4_1940 Depth=4
	s_or_b32 exec_lo, exec_lo, s16
	v_lshrrev_b32_e32 v37, 21, v37
	v_min_i32_e32 v50, 31, v36
	v_cmp_gt_i32_e32 vcc_lo, 32, v36
	v_and_b32_sdwa v31, v31, v101 dst_sel:DWORD dst_unused:UNUSED_PAD src0_sel:BYTE_3 src1_sel:DWORD
	v_lshlrev_b32_e32 v50, 2, v50
	v_cndmask_b32_e32 v37, 3, v37, vcc_lo
	v_and_b32_e32 v50, 0xfc, v50
	v_and_b32_e32 v51, 3, v37
	v_or_b32_e32 v36, v36, v37
	v_or3_b32 v31, v50, v31, v51
	v_cmp_ne_u32_e32 vcc_lo, 0, v36
	v_cndmask_b32_e32 v36, 0, v31, vcc_lo
.LBB4_2895:                             ;   in Loop: Header=BB4_1940 Depth=4
	s_or_b32 exec_lo, exec_lo, s73
.LBB4_2896:                             ;   in Loop: Header=BB4_1940 Depth=4
	s_or_b32 exec_lo, exec_lo, s72
	v_cmp_gt_i16_sdwa s72, v1, v100 src0_sel:BYTE_1 src1_sel:DWORD
	s_mov_b32 s16, 0
	s_and_saveexec_b32 s73, s72
	s_xor_b32 s72, exec_lo, s73
	s_cbranch_execz .LBB4_3198
; %bb.2897:                             ;   in Loop: Header=BB4_1940 Depth=4
	v_cmp_eq_u16_sdwa s74, v1, v101 src0_sel:BYTE_1 src1_sel:DWORD
	s_mov_b32 s16, -1
	s_and_saveexec_b32 s73, s74
; %bb.2898:                             ;   in Loop: Header=BB4_1940 Depth=4
	s_xor_b32 s16, exec_lo, -1
; %bb.2899:                             ;   in Loop: Header=BB4_1940 Depth=4
	s_or_b32 exec_lo, exec_lo, s73
	s_and_b32 s16, s16, exec_lo
	s_or_saveexec_b32 s72, s72
	v_mov_b32_e32 v31, 0x7f800001
	s_xor_b32 exec_lo, exec_lo, s72
	s_cbranch_execnz .LBB4_3199
.LBB4_2900:                             ;   in Loop: Header=BB4_1940 Depth=4
	s_or_b32 exec_lo, exec_lo, s72
	s_and_saveexec_b32 s72, s16
	s_cbranch_execz .LBB4_2902
.LBB4_2901:                             ;   in Loop: Header=BB4_1940 Depth=4
	v_and_b32_sdwa v31, v102, v1 dst_sel:DWORD dst_unused:UNUSED_PAD src0_sel:DWORD src1_sel:BYTE_1
	v_and_b32_e32 v37, 3, v31
	v_bfe_u32 v96, v31, 2, 5
	v_ffbh_u32_e32 v50, v37
	v_cmp_eq_u32_e32 vcc_lo, 0, v96
	v_min_u32_e32 v50, 32, v50
	v_subrev_nc_u32_e32 v51, 29, v50
	v_sub_nc_u32_e32 v50, 30, v50
	v_lshlrev_b32_e32 v31, v51, v31
	v_lshlrev_b32_sdwa v51, v103, v1 dst_sel:DWORD dst_unused:UNUSED_PAD src0_sel:DWORD src1_sel:BYTE_1
	v_cndmask_b32_e32 v50, v96, v50, vcc_lo
	v_and_b32_e32 v31, 3, v31
	v_lshl_add_u32 v50, v50, 23, 0x37800000
	v_cndmask_b32_e32 v31, v37, v31, vcc_lo
	v_and_b32_e32 v37, 0x80000000, v51
	v_lshlrev_b32_e32 v31, 21, v31
	v_or3_b32 v31, v37, v50, v31
.LBB4_2902:                             ;   in Loop: Header=BB4_1940 Depth=4
	s_or_b32 exec_lo, exec_lo, s72
	v_cmp_gt_i16_sdwa s72, v10, v100 src0_sel:BYTE_1 src1_sel:DWORD
	s_mov_b32 s16, 0
	s_and_saveexec_b32 s73, s72
	s_xor_b32 s72, exec_lo, s73
	s_cbranch_execz .LBB4_3200
; %bb.2903:                             ;   in Loop: Header=BB4_1940 Depth=4
	v_cmp_eq_u16_sdwa s74, v10, v101 src0_sel:BYTE_1 src1_sel:DWORD
	s_mov_b32 s16, -1
	s_and_saveexec_b32 s73, s74
; %bb.2904:                             ;   in Loop: Header=BB4_1940 Depth=4
	s_xor_b32 s16, exec_lo, -1
; %bb.2905:                             ;   in Loop: Header=BB4_1940 Depth=4
	s_or_b32 exec_lo, exec_lo, s73
	s_and_b32 s16, s16, exec_lo
	s_or_saveexec_b32 s72, s72
	v_mov_b32_e32 v37, 0x7f800001
	s_xor_b32 exec_lo, exec_lo, s72
	s_cbranch_execnz .LBB4_3201
.LBB4_2906:                             ;   in Loop: Header=BB4_1940 Depth=4
	s_or_b32 exec_lo, exec_lo, s72
	s_and_saveexec_b32 s72, s16
	s_cbranch_execz .LBB4_2908
.LBB4_2907:                             ;   in Loop: Header=BB4_1940 Depth=4
	v_and_b32_sdwa v37, v102, v10 dst_sel:DWORD dst_unused:UNUSED_PAD src0_sel:DWORD src1_sel:BYTE_1
	v_and_b32_e32 v50, 3, v37
	v_bfe_u32 v97, v37, 2, 5
	v_ffbh_u32_e32 v51, v50
	v_cmp_eq_u32_e32 vcc_lo, 0, v97
	v_min_u32_e32 v51, 32, v51
	v_subrev_nc_u32_e32 v96, 29, v51
	v_sub_nc_u32_e32 v51, 30, v51
	v_lshlrev_b32_e32 v37, v96, v37
	v_lshlrev_b32_sdwa v96, v103, v10 dst_sel:DWORD dst_unused:UNUSED_PAD src0_sel:DWORD src1_sel:BYTE_1
	v_cndmask_b32_e32 v51, v97, v51, vcc_lo
	v_and_b32_e32 v37, 3, v37
	v_lshl_add_u32 v51, v51, 23, 0x37800000
	v_cndmask_b32_e32 v37, v50, v37, vcc_lo
	v_and_b32_e32 v50, 0x80000000, v96
	v_lshlrev_b32_e32 v37, 21, v37
	v_or3_b32 v37, v50, v51, v37
.LBB4_2908:                             ;   in Loop: Header=BB4_1940 Depth=4
	s_or_b32 exec_lo, exec_lo, s72
	v_add_f32_e32 v37, v31, v37
	v_and_b32_e32 v31, 0x7f800000, v37
	v_cmp_ne_u32_e32 vcc_lo, 0x7f800000, v31
	v_mov_b32_e32 v31, 0x8000
	s_and_saveexec_b32 s72, vcc_lo
	s_cbranch_execz .LBB4_2916
; %bb.2909:                             ;   in Loop: Header=BB4_1940 Depth=4
	v_mov_b32_e32 v31, 0
	s_mov_b32 s73, exec_lo
	v_cmpx_ne_u32_e32 0, v37
	s_cbranch_execz .LBB4_2915
; %bb.2910:                             ;   in Loop: Header=BB4_1940 Depth=4
	v_bfe_u32 v31, v37, 23, 8
	v_and_b32_e32 v50, 0x7fffff, v37
	v_sub_nc_u32_e32 v51, 0x70, v31
	v_cmp_gt_u32_e32 vcc_lo, 0x71, v31
	v_or_b32_e32 v96, 0x800000, v50
	v_cndmask_b32_e32 v51, 0, v51, vcc_lo
	v_cmp_eq_u32_e32 vcc_lo, 0, v31
	v_add_nc_u32_e32 v31, 0xffffff91, v31
	v_cndmask_b32_e64 v51, v51, 0x6f, vcc_lo
	v_cndmask_b32_e32 v50, v96, v50, vcc_lo
	v_cndmask_b32_e64 v31, v31, 0xffffff92, vcc_lo
	v_lshl_add_u32 v96, 0x200000, v51, -1
	v_lshrrev_b32_e32 v97, v51, v50
	v_lshlrev_b32_e64 v40, v51, 0x100000
	v_add_nc_u32_e32 v51, v51, v31
	v_and_b32_e32 v50, v96, v50
	v_bfe_u32 v115, v97, 21, 1
	v_cmp_eq_u32_e64 s16, v50, v40
	v_add_nc_u32_e32 v96, -1, v115
	v_cndmask_b32_e64 v50, 0, v96, s16
	v_lshrrev_b32_e32 v96, 23, v97
	s_mov_b32 s16, exec_lo
	v_add_nc_u32_e32 v50, v50, v97
	v_xor_b32_e32 v96, 1, v96
	v_and_b32_e32 v31, 0x1fffff, v50
	v_add_nc_u32_e32 v50, v31, v97
                                        ; implicit-def: $vgpr31
	v_cmpx_ne_u32_e64 v51, v96
	s_xor_b32 s16, exec_lo, s16
; %bb.2911:                             ;   in Loop: Header=BB4_1940 Depth=4
	v_cmp_lt_u32_e32 vcc_lo, 0xffffff, v50
	v_sub_nc_u32_e32 v31, v51, v96
	v_cndmask_b32_e64 v51, 0, 1, vcc_lo
	v_add_co_ci_u32_e64 v31, null, 0, v31, vcc_lo
	v_lshrrev_b32_e32 v50, v51, v50
; %bb.2912:                             ;   in Loop: Header=BB4_1940 Depth=4
	s_andn2_saveexec_b32 s16, s16
; %bb.2913:                             ;   in Loop: Header=BB4_1940 Depth=4
	v_bfe_u32 v31, v50, 23, 1
; %bb.2914:                             ;   in Loop: Header=BB4_1940 Depth=4
	s_or_b32 exec_lo, exec_lo, s16
	v_lshrrev_b32_e32 v50, 21, v50
	v_min_i32_e32 v51, 31, v31
	v_cmp_gt_i32_e32 vcc_lo, 32, v31
	v_and_b32_sdwa v37, v37, v101 dst_sel:DWORD dst_unused:UNUSED_PAD src0_sel:BYTE_3 src1_sel:DWORD
	v_lshlrev_b32_e32 v51, 2, v51
	v_cndmask_b32_e32 v50, 3, v50, vcc_lo
	v_and_b32_e32 v51, 0xfc, v51
	v_and_b32_e32 v96, 3, v50
	v_or_b32_e32 v31, v31, v50
	v_or3_b32 v37, v37, v51, v96
	v_cmp_ne_u32_e32 vcc_lo, 0, v31
	v_lshlrev_b32_e32 v37, 8, v37
	v_cndmask_b32_e32 v31, 0, v37, vcc_lo
.LBB4_2915:                             ;   in Loop: Header=BB4_1940 Depth=4
	s_or_b32 exec_lo, exec_lo, s73
.LBB4_2916:                             ;   in Loop: Header=BB4_1940 Depth=4
	s_or_b32 exec_lo, exec_lo, s72
	v_or_b32_e32 v37, v76, v72
	s_mov_b32 s16, 0
	v_cmp_gt_i16_sdwa s72, v37, v100 src0_sel:BYTE_0 src1_sel:DWORD
	s_and_saveexec_b32 s73, s72
	s_xor_b32 s72, exec_lo, s73
	s_cbranch_execz .LBB4_3202
; %bb.2917:                             ;   in Loop: Header=BB4_1940 Depth=4
	v_cmp_eq_u16_sdwa s74, v37, v101 src0_sel:BYTE_0 src1_sel:DWORD
	s_mov_b32 s16, -1
	s_and_saveexec_b32 s73, s74
; %bb.2918:                             ;   in Loop: Header=BB4_1940 Depth=4
	s_xor_b32 s16, exec_lo, -1
; %bb.2919:                             ;   in Loop: Header=BB4_1940 Depth=4
	s_or_b32 exec_lo, exec_lo, s73
	s_and_b32 s16, s16, exec_lo
	s_or_saveexec_b32 s72, s72
	v_mov_b32_e32 v50, 0x7f800001
	s_xor_b32 exec_lo, exec_lo, s72
	s_cbranch_execnz .LBB4_3203
.LBB4_2920:                             ;   in Loop: Header=BB4_1940 Depth=4
	s_or_b32 exec_lo, exec_lo, s72
	v_lshl_or_b32 v37, v37, 16, v1
	s_and_saveexec_b32 s72, s16
	s_cbranch_execz .LBB4_2922
.LBB4_2921:                             ;   in Loop: Header=BB4_1940 Depth=4
	v_bfe_u32 v1, v37, 16, 2
	v_bfe_u32 v96, v37, 18, 5
	v_lshlrev_b32_e32 v97, 8, v37
	v_ffbh_u32_e32 v50, v1
	v_cmp_eq_u32_e32 vcc_lo, 0, v96
	v_min_u32_e32 v50, 32, v50
	v_subrev_nc_u32_e32 v51, 29, v50
	v_sub_nc_u32_e32 v50, 30, v50
	v_lshlrev_b32_sdwa v51, v51, v37 dst_sel:DWORD dst_unused:UNUSED_PAD src0_sel:DWORD src1_sel:WORD_1
	v_cndmask_b32_e32 v50, v96, v50, vcc_lo
	v_and_b32_e32 v51, 3, v51
	v_lshl_add_u32 v50, v50, 23, 0x37800000
	v_cndmask_b32_e32 v1, v1, v51, vcc_lo
	v_and_b32_e32 v51, 0x80000000, v97
	v_lshlrev_b32_e32 v1, 21, v1
	v_or3_b32 v50, v51, v50, v1
.LBB4_2922:                             ;   in Loop: Header=BB4_1940 Depth=4
	s_or_b32 exec_lo, exec_lo, s72
	v_and_b32_sdwa v51, v10, v112 dst_sel:DWORD dst_unused:UNUSED_PAD src0_sel:WORD_1 src1_sel:DWORD
	s_mov_b32 s16, 0
	s_mov_b32 s72, exec_lo
	v_cmpx_lt_i16_e32 0x7f, v51
	s_xor_b32 s72, exec_lo, s72
	s_cbranch_execz .LBB4_3204
; %bb.2923:                             ;   in Loop: Header=BB4_1940 Depth=4
	s_mov_b32 s16, -1
	s_mov_b32 s73, exec_lo
	v_cmpx_eq_u16_e32 0x80, v51
; %bb.2924:                             ;   in Loop: Header=BB4_1940 Depth=4
	s_xor_b32 s16, exec_lo, -1
; %bb.2925:                             ;   in Loop: Header=BB4_1940 Depth=4
	s_or_b32 exec_lo, exec_lo, s73
	s_and_b32 s16, s16, exec_lo
                                        ; implicit-def: $vgpr51
	s_or_saveexec_b32 s72, s72
	v_mov_b32_e32 v1, 0x7f800001
	s_xor_b32 exec_lo, exec_lo, s72
	s_cbranch_execnz .LBB4_3205
.LBB4_2926:                             ;   in Loop: Header=BB4_1940 Depth=4
	s_or_b32 exec_lo, exec_lo, s72
	s_and_saveexec_b32 s72, s16
	s_cbranch_execz .LBB4_2928
.LBB4_2927:                             ;   in Loop: Header=BB4_1940 Depth=4
	v_bfe_u32 v1, v10, 16, 2
	v_bfe_u32 v97, v10, 18, 5
	v_lshlrev_b32_e32 v115, 8, v10
	v_ffbh_u32_e32 v51, v1
	v_cmp_eq_u32_e32 vcc_lo, 0, v97
	v_min_u32_e32 v51, 32, v51
	v_subrev_nc_u32_e32 v96, 29, v51
	v_sub_nc_u32_e32 v51, 30, v51
	v_lshlrev_b32_sdwa v96, v96, v10 dst_sel:DWORD dst_unused:UNUSED_PAD src0_sel:DWORD src1_sel:WORD_1
	v_cndmask_b32_e32 v51, v97, v51, vcc_lo
	v_and_b32_e32 v96, 3, v96
	v_lshl_add_u32 v51, v51, 23, 0x37800000
	v_cndmask_b32_e32 v1, v1, v96, vcc_lo
	v_and_b32_e32 v96, 0x80000000, v115
	v_lshlrev_b32_e32 v1, 21, v1
	v_or3_b32 v1, v96, v51, v1
.LBB4_2928:                             ;   in Loop: Header=BB4_1940 Depth=4
	s_or_b32 exec_lo, exec_lo, s72
	v_add_f32_e32 v50, v50, v1
	v_and_b32_e32 v1, 0x7f800000, v50
	v_cmp_ne_u32_e32 vcc_lo, 0x7f800000, v1
	v_mov_b32_e32 v1, 0x80
	s_and_saveexec_b32 s72, vcc_lo
	s_cbranch_execz .LBB4_2936
; %bb.2929:                             ;   in Loop: Header=BB4_1940 Depth=4
	v_mov_b32_e32 v1, 0
	s_mov_b32 s73, exec_lo
	v_cmpx_ne_u32_e32 0, v50
	s_cbranch_execz .LBB4_2935
; %bb.2930:                             ;   in Loop: Header=BB4_1940 Depth=4
	v_bfe_u32 v1, v50, 23, 8
	v_and_b32_e32 v51, 0x7fffff, v50
	v_sub_nc_u32_e32 v96, 0x70, v1
	v_cmp_gt_u32_e32 vcc_lo, 0x71, v1
	v_or_b32_e32 v97, 0x800000, v51
	v_cndmask_b32_e32 v96, 0, v96, vcc_lo
	v_cmp_eq_u32_e32 vcc_lo, 0, v1
	v_add_nc_u32_e32 v1, 0xffffff91, v1
	v_cndmask_b32_e64 v96, v96, 0x6f, vcc_lo
	v_cndmask_b32_e32 v51, v97, v51, vcc_lo
	v_cndmask_b32_e64 v1, v1, 0xffffff92, vcc_lo
	v_lshl_add_u32 v97, 0x200000, v96, -1
	v_lshrrev_b32_e32 v115, v96, v51
	v_lshlrev_b32_e64 v72, v96, 0x100000
	v_add_nc_u32_e32 v96, v96, v1
	v_and_b32_e32 v51, v97, v51
	v_bfe_u32 v40, v115, 21, 1
	v_cmp_eq_u32_e64 s16, v51, v72
	v_add_nc_u32_e32 v97, -1, v40
	v_cndmask_b32_e64 v51, 0, v97, s16
	v_lshrrev_b32_e32 v97, 23, v115
	s_mov_b32 s16, exec_lo
	v_add_nc_u32_e32 v51, v51, v115
	v_xor_b32_e32 v97, 1, v97
	v_and_b32_e32 v1, 0x1fffff, v51
	v_add_nc_u32_e32 v51, v1, v115
                                        ; implicit-def: $vgpr1
	v_cmpx_ne_u32_e64 v96, v97
	s_xor_b32 s16, exec_lo, s16
; %bb.2931:                             ;   in Loop: Header=BB4_1940 Depth=4
	v_cmp_lt_u32_e32 vcc_lo, 0xffffff, v51
	v_sub_nc_u32_e32 v1, v96, v97
	v_cndmask_b32_e64 v96, 0, 1, vcc_lo
	v_add_co_ci_u32_e64 v1, null, 0, v1, vcc_lo
	v_lshrrev_b32_e32 v51, v96, v51
; %bb.2932:                             ;   in Loop: Header=BB4_1940 Depth=4
	s_andn2_saveexec_b32 s16, s16
; %bb.2933:                             ;   in Loop: Header=BB4_1940 Depth=4
	v_bfe_u32 v1, v51, 23, 1
; %bb.2934:                             ;   in Loop: Header=BB4_1940 Depth=4
	s_or_b32 exec_lo, exec_lo, s16
	v_lshrrev_b32_e32 v51, 21, v51
	v_min_i32_e32 v96, 31, v1
	v_cmp_gt_i32_e32 vcc_lo, 32, v1
	v_and_b32_sdwa v50, v50, v101 dst_sel:DWORD dst_unused:UNUSED_PAD src0_sel:BYTE_3 src1_sel:DWORD
	v_lshlrev_b32_e32 v96, 2, v96
	v_cndmask_b32_e32 v51, 3, v51, vcc_lo
	v_and_b32_e32 v96, 0xfc, v96
	v_and_b32_e32 v97, 3, v51
	v_or_b32_e32 v1, v1, v51
	v_or3_b32 v50, v96, v50, v97
	v_cmp_ne_u32_e32 vcc_lo, 0, v1
	v_cndmask_b32_e32 v1, 0, v50, vcc_lo
.LBB4_2935:                             ;   in Loop: Header=BB4_1940 Depth=4
	s_or_b32 exec_lo, exec_lo, s73
.LBB4_2936:                             ;   in Loop: Header=BB4_1940 Depth=4
	s_or_b32 exec_lo, exec_lo, s72
	v_cmp_gt_i16_sdwa s72, v37, v100 src0_sel:BYTE_3 src1_sel:DWORD
	s_mov_b32 s16, 0
	s_and_saveexec_b32 s73, s72
	s_xor_b32 s72, exec_lo, s73
	s_cbranch_execz .LBB4_3206
; %bb.2937:                             ;   in Loop: Header=BB4_1940 Depth=4
	v_cmp_eq_u16_sdwa s74, v37, v101 src0_sel:BYTE_3 src1_sel:DWORD
	s_mov_b32 s16, -1
	s_and_saveexec_b32 s73, s74
; %bb.2938:                             ;   in Loop: Header=BB4_1940 Depth=4
	s_xor_b32 s16, exec_lo, -1
; %bb.2939:                             ;   in Loop: Header=BB4_1940 Depth=4
	s_or_b32 exec_lo, exec_lo, s73
	s_and_b32 s16, s16, exec_lo
	s_or_saveexec_b32 s72, s72
	v_mov_b32_e32 v50, 0x7f800001
	s_xor_b32 exec_lo, exec_lo, s72
	s_cbranch_execnz .LBB4_3207
.LBB4_2940:                             ;   in Loop: Header=BB4_1940 Depth=4
	s_or_b32 exec_lo, exec_lo, s72
	s_and_saveexec_b32 s72, s16
	s_cbranch_execz .LBB4_2942
.LBB4_2941:                             ;   in Loop: Header=BB4_1940 Depth=4
	v_bfe_u32 v50, v37, 24, 2
	v_bfe_u32 v97, v37, 26, 5
	v_ffbh_u32_e32 v51, v50
	v_cmp_eq_u32_e32 vcc_lo, 0, v97
	v_min_u32_e32 v51, 32, v51
	v_subrev_nc_u32_e32 v96, 29, v51
	v_sub_nc_u32_e32 v51, 30, v51
	v_lshlrev_b32_sdwa v96, v96, v37 dst_sel:DWORD dst_unused:UNUSED_PAD src0_sel:DWORD src1_sel:BYTE_3
	v_cndmask_b32_e32 v51, v97, v51, vcc_lo
	v_and_b32_e32 v37, 0x80000000, v37
	v_and_b32_e32 v96, 3, v96
	v_lshl_add_u32 v51, v51, 23, 0x37800000
	v_cndmask_b32_e32 v50, v50, v96, vcc_lo
	v_lshlrev_b32_e32 v50, 21, v50
	v_or3_b32 v50, v37, v51, v50
.LBB4_2942:                             ;   in Loop: Header=BB4_1940 Depth=4
	s_or_b32 exec_lo, exec_lo, s72
	v_cmp_gt_i16_sdwa s72, v10, v100 src0_sel:BYTE_3 src1_sel:DWORD
	s_mov_b32 s16, 0
	s_and_saveexec_b32 s73, s72
	s_xor_b32 s72, exec_lo, s73
	s_cbranch_execz .LBB4_3208
; %bb.2943:                             ;   in Loop: Header=BB4_1940 Depth=4
	v_cmp_eq_u16_sdwa s74, v10, v101 src0_sel:BYTE_3 src1_sel:DWORD
	s_mov_b32 s16, -1
	s_and_saveexec_b32 s73, s74
; %bb.2944:                             ;   in Loop: Header=BB4_1940 Depth=4
	s_xor_b32 s16, exec_lo, -1
; %bb.2945:                             ;   in Loop: Header=BB4_1940 Depth=4
	s_or_b32 exec_lo, exec_lo, s73
	s_and_b32 s16, s16, exec_lo
	s_or_saveexec_b32 s72, s72
	v_mov_b32_e32 v37, 0x7f800001
	s_xor_b32 exec_lo, exec_lo, s72
	s_cbranch_execnz .LBB4_3209
.LBB4_2946:                             ;   in Loop: Header=BB4_1940 Depth=4
	s_or_b32 exec_lo, exec_lo, s72
	s_and_saveexec_b32 s72, s16
	s_cbranch_execz .LBB4_2948
.LBB4_2947:                             ;   in Loop: Header=BB4_1940 Depth=4
	v_bfe_u32 v37, v10, 24, 2
	v_bfe_u32 v97, v10, 26, 5
	v_ffbh_u32_e32 v51, v37
	v_cmp_eq_u32_e32 vcc_lo, 0, v97
	v_min_u32_e32 v51, 32, v51
	v_subrev_nc_u32_e32 v96, 29, v51
	v_sub_nc_u32_e32 v51, 30, v51
	v_lshlrev_b32_sdwa v96, v96, v10 dst_sel:DWORD dst_unused:UNUSED_PAD src0_sel:DWORD src1_sel:BYTE_3
	v_cndmask_b32_e32 v51, v97, v51, vcc_lo
	v_and_b32_e32 v10, 0x80000000, v10
	v_and_b32_e32 v96, 3, v96
	v_lshl_add_u32 v51, v51, 23, 0x37800000
	v_cndmask_b32_e32 v37, v37, v96, vcc_lo
	v_lshlrev_b32_e32 v37, 21, v37
	v_or3_b32 v37, v10, v51, v37
.LBB4_2948:                             ;   in Loop: Header=BB4_1940 Depth=4
	s_or_b32 exec_lo, exec_lo, s72
	v_add_f32_e32 v37, v50, v37
	v_and_b32_e32 v10, 0x7f800000, v37
	v_cmp_ne_u32_e32 vcc_lo, 0x7f800000, v10
	v_mov_b32_e32 v10, 0x8000
	s_and_saveexec_b32 s72, vcc_lo
	s_cbranch_execz .LBB4_2956
; %bb.2949:                             ;   in Loop: Header=BB4_1940 Depth=4
	v_mov_b32_e32 v10, 0
	s_mov_b32 s73, exec_lo
	v_cmpx_ne_u32_e32 0, v37
	s_cbranch_execz .LBB4_2955
; %bb.2950:                             ;   in Loop: Header=BB4_1940 Depth=4
	v_bfe_u32 v10, v37, 23, 8
	v_and_b32_e32 v50, 0x7fffff, v37
	v_sub_nc_u32_e32 v51, 0x70, v10
	v_cmp_gt_u32_e32 vcc_lo, 0x71, v10
	v_or_b32_e32 v96, 0x800000, v50
	v_cndmask_b32_e32 v51, 0, v51, vcc_lo
	v_cmp_eq_u32_e32 vcc_lo, 0, v10
	v_add_nc_u32_e32 v10, 0xffffff91, v10
	v_cndmask_b32_e64 v51, v51, 0x6f, vcc_lo
	v_cndmask_b32_e32 v50, v96, v50, vcc_lo
	v_cndmask_b32_e64 v10, v10, 0xffffff92, vcc_lo
	v_lshl_add_u32 v96, 0x200000, v51, -1
	v_lshrrev_b32_e32 v97, v51, v50
	v_lshlrev_b32_e64 v40, v51, 0x100000
	v_add_nc_u32_e32 v51, v51, v10
	v_and_b32_e32 v50, v96, v50
	v_bfe_u32 v115, v97, 21, 1
	v_cmp_eq_u32_e64 s16, v50, v40
	v_add_nc_u32_e32 v96, -1, v115
	v_cndmask_b32_e64 v50, 0, v96, s16
	v_lshrrev_b32_e32 v96, 23, v97
	s_mov_b32 s16, exec_lo
	v_add_nc_u32_e32 v50, v50, v97
	v_xor_b32_e32 v96, 1, v96
	v_and_b32_e32 v10, 0x1fffff, v50
	v_add_nc_u32_e32 v50, v10, v97
                                        ; implicit-def: $vgpr10
	v_cmpx_ne_u32_e64 v51, v96
	s_xor_b32 s16, exec_lo, s16
; %bb.2951:                             ;   in Loop: Header=BB4_1940 Depth=4
	v_cmp_lt_u32_e32 vcc_lo, 0xffffff, v50
	v_sub_nc_u32_e32 v10, v51, v96
	v_cndmask_b32_e64 v51, 0, 1, vcc_lo
	v_add_co_ci_u32_e64 v10, null, 0, v10, vcc_lo
	v_lshrrev_b32_e32 v50, v51, v50
; %bb.2952:                             ;   in Loop: Header=BB4_1940 Depth=4
	s_andn2_saveexec_b32 s16, s16
; %bb.2953:                             ;   in Loop: Header=BB4_1940 Depth=4
	v_bfe_u32 v10, v50, 23, 1
; %bb.2954:                             ;   in Loop: Header=BB4_1940 Depth=4
	s_or_b32 exec_lo, exec_lo, s16
	v_lshrrev_b32_e32 v50, 21, v50
	v_min_i32_e32 v51, 31, v10
	v_cmp_gt_i32_e32 vcc_lo, 32, v10
	v_and_b32_sdwa v37, v37, v101 dst_sel:DWORD dst_unused:UNUSED_PAD src0_sel:BYTE_3 src1_sel:DWORD
	v_lshlrev_b32_e32 v51, 2, v51
	v_cndmask_b32_e32 v50, 3, v50, vcc_lo
	v_and_b32_e32 v51, 0xfc, v51
	v_and_b32_e32 v96, 3, v50
	v_or_b32_e32 v10, v10, v50
	v_or3_b32 v37, v37, v51, v96
	v_cmp_ne_u32_e32 vcc_lo, 0, v10
	v_lshlrev_b32_e32 v37, 8, v37
	v_cndmask_b32_e32 v10, 0, v37, vcc_lo
.LBB4_2955:                             ;   in Loop: Header=BB4_1940 Depth=4
	s_or_b32 exec_lo, exec_lo, s73
.LBB4_2956:                             ;   in Loop: Header=BB4_1940 Depth=4
	s_or_b32 exec_lo, exec_lo, s72
	v_or_b32_e32 v96, v73, v62
	s_mov_b32 s16, 0
	v_cmp_gt_i16_sdwa s72, v96, v100 src0_sel:BYTE_0 src1_sel:DWORD
	s_and_saveexec_b32 s73, s72
	s_xor_b32 s72, exec_lo, s73
	s_cbranch_execz .LBB4_3210
; %bb.2957:                             ;   in Loop: Header=BB4_1940 Depth=4
	v_cmp_eq_u16_sdwa s74, v96, v101 src0_sel:BYTE_0 src1_sel:DWORD
	s_mov_b32 s16, -1
	s_and_saveexec_b32 s73, s74
; %bb.2958:                             ;   in Loop: Header=BB4_1940 Depth=4
	s_xor_b32 s16, exec_lo, -1
; %bb.2959:                             ;   in Loop: Header=BB4_1940 Depth=4
	s_or_b32 exec_lo, exec_lo, s73
	s_and_b32 s16, s16, exec_lo
	s_or_saveexec_b32 s72, s72
	v_mov_b32_e32 v37, 0x7f800001
	s_xor_b32 exec_lo, exec_lo, s72
	s_cbranch_execnz .LBB4_3211
.LBB4_2960:                             ;   in Loop: Header=BB4_1940 Depth=4
	s_or_b32 exec_lo, exec_lo, s72
	s_and_saveexec_b32 s72, s16
	s_cbranch_execz .LBB4_2962
.LBB4_2961:                             ;   in Loop: Header=BB4_1940 Depth=4
	v_and_b32_e32 v37, 3, v96
	v_bfe_u32 v97, v96, 2, 5
	v_lshlrev_b32_e32 v115, 24, v96
	v_ffbh_u32_e32 v50, v37
	v_cmp_eq_u32_e32 vcc_lo, 0, v97
	v_min_u32_e32 v50, 32, v50
	v_subrev_nc_u32_e32 v51, 29, v50
	v_sub_nc_u32_e32 v50, 30, v50
	v_lshlrev_b32_e32 v51, v51, v96
	v_cndmask_b32_e32 v50, v97, v50, vcc_lo
	v_and_b32_e32 v51, 3, v51
	v_lshl_add_u32 v50, v50, 23, 0x37800000
	v_cndmask_b32_e32 v37, v37, v51, vcc_lo
	v_and_b32_e32 v51, 0x80000000, v115
	v_lshlrev_b32_e32 v37, 21, v37
	v_or3_b32 v37, v51, v50, v37
.LBB4_2962:                             ;   in Loop: Header=BB4_1940 Depth=4
	s_or_b32 exec_lo, exec_lo, s72
	v_cmp_gt_i16_sdwa s72, v11, v100 src0_sel:BYTE_0 src1_sel:DWORD
	s_mov_b32 s16, 0
	s_and_saveexec_b32 s73, s72
	s_xor_b32 s72, exec_lo, s73
	s_cbranch_execz .LBB4_3212
; %bb.2963:                             ;   in Loop: Header=BB4_1940 Depth=4
	v_cmp_eq_u16_sdwa s74, v11, v101 src0_sel:BYTE_0 src1_sel:DWORD
	s_mov_b32 s16, -1
	s_and_saveexec_b32 s73, s74
; %bb.2964:                             ;   in Loop: Header=BB4_1940 Depth=4
	s_xor_b32 s16, exec_lo, -1
; %bb.2965:                             ;   in Loop: Header=BB4_1940 Depth=4
	s_or_b32 exec_lo, exec_lo, s73
	s_and_b32 s16, s16, exec_lo
	s_or_saveexec_b32 s72, s72
	v_mov_b32_e32 v50, 0x7f800001
	s_xor_b32 exec_lo, exec_lo, s72
	s_cbranch_execnz .LBB4_3213
.LBB4_2966:                             ;   in Loop: Header=BB4_1940 Depth=4
	s_or_b32 exec_lo, exec_lo, s72
	s_and_saveexec_b32 s72, s16
	s_cbranch_execz .LBB4_2968
.LBB4_2967:                             ;   in Loop: Header=BB4_1940 Depth=4
	v_and_b32_e32 v50, 3, v11
	v_bfe_u32 v115, v11, 2, 5
	v_lshlrev_b32_e32 v40, 24, v11
	v_ffbh_u32_e32 v51, v50
	v_cmp_eq_u32_e32 vcc_lo, 0, v115
	v_min_u32_e32 v51, 32, v51
	v_subrev_nc_u32_e32 v97, 29, v51
	v_sub_nc_u32_e32 v51, 30, v51
	v_lshlrev_b32_e32 v97, v97, v11
	v_cndmask_b32_e32 v51, v115, v51, vcc_lo
	v_and_b32_e32 v97, 3, v97
	v_lshl_add_u32 v51, v51, 23, 0x37800000
	v_cndmask_b32_e32 v50, v50, v97, vcc_lo
	v_and_b32_e32 v97, 0x80000000, v40
	v_lshlrev_b32_e32 v50, 21, v50
	v_or3_b32 v50, v97, v51, v50
.LBB4_2968:                             ;   in Loop: Header=BB4_1940 Depth=4
	s_or_b32 exec_lo, exec_lo, s72
	v_add_f32_e32 v50, v37, v50
	v_and_b32_e32 v37, 0x7f800000, v50
	v_cmp_ne_u32_e32 vcc_lo, 0x7f800000, v37
	v_mov_b32_e32 v37, 0x80
	s_and_saveexec_b32 s72, vcc_lo
	s_cbranch_execz .LBB4_2976
; %bb.2969:                             ;   in Loop: Header=BB4_1940 Depth=4
	v_mov_b32_e32 v37, 0
	s_mov_b32 s73, exec_lo
	v_cmpx_ne_u32_e32 0, v50
	s_cbranch_execz .LBB4_2975
; %bb.2970:                             ;   in Loop: Header=BB4_1940 Depth=4
	v_bfe_u32 v37, v50, 23, 8
	v_and_b32_e32 v51, 0x7fffff, v50
	v_sub_nc_u32_e32 v97, 0x70, v37
	v_cmp_gt_u32_e32 vcc_lo, 0x71, v37
	v_or_b32_e32 v115, 0x800000, v51
	v_cndmask_b32_e32 v97, 0, v97, vcc_lo
	v_cmp_eq_u32_e32 vcc_lo, 0, v37
	v_add_nc_u32_e32 v37, 0xffffff91, v37
	v_cndmask_b32_e64 v97, v97, 0x6f, vcc_lo
	v_cndmask_b32_e32 v51, v115, v51, vcc_lo
	v_cndmask_b32_e64 v37, v37, 0xffffff92, vcc_lo
	v_lshl_add_u32 v40, 0x200000, v97, -1
	v_lshrrev_b32_e32 v115, v97, v51
	v_lshlrev_b32_e64 v72, v97, 0x100000
	v_add_nc_u32_e32 v97, v97, v37
	v_and_b32_e32 v51, v40, v51
	v_bfe_u32 v62, v115, 21, 1
	v_cmp_eq_u32_e64 s16, v51, v72
	v_add_nc_u32_e32 v40, -1, v62
	v_cndmask_b32_e64 v51, 0, v40, s16
	v_lshrrev_b32_e32 v40, 23, v115
	s_mov_b32 s16, exec_lo
	v_add_nc_u32_e32 v51, v51, v115
	v_xor_b32_e32 v40, 1, v40
	v_and_b32_e32 v37, 0x1fffff, v51
	v_add_nc_u32_e32 v51, v37, v115
                                        ; implicit-def: $vgpr37
	v_cmpx_ne_u32_e64 v97, v40
	s_xor_b32 s16, exec_lo, s16
; %bb.2971:                             ;   in Loop: Header=BB4_1940 Depth=4
	v_cmp_lt_u32_e32 vcc_lo, 0xffffff, v51
	v_sub_nc_u32_e32 v37, v97, v40
	v_cndmask_b32_e64 v97, 0, 1, vcc_lo
	v_add_co_ci_u32_e64 v37, null, 0, v37, vcc_lo
	v_lshrrev_b32_e32 v51, v97, v51
; %bb.2972:                             ;   in Loop: Header=BB4_1940 Depth=4
	s_andn2_saveexec_b32 s16, s16
; %bb.2973:                             ;   in Loop: Header=BB4_1940 Depth=4
	v_bfe_u32 v37, v51, 23, 1
; %bb.2974:                             ;   in Loop: Header=BB4_1940 Depth=4
	s_or_b32 exec_lo, exec_lo, s16
	v_lshrrev_b32_e32 v51, 21, v51
	v_min_i32_e32 v97, 31, v37
	v_cmp_gt_i32_e32 vcc_lo, 32, v37
	v_and_b32_sdwa v50, v50, v101 dst_sel:DWORD dst_unused:UNUSED_PAD src0_sel:BYTE_3 src1_sel:DWORD
	v_lshlrev_b32_e32 v97, 2, v97
	v_cndmask_b32_e32 v51, 3, v51, vcc_lo
	v_and_b32_e32 v97, 0xfc, v97
	v_and_b32_e32 v115, 3, v51
	v_or_b32_e32 v37, v37, v51
	v_or3_b32 v50, v97, v50, v115
	v_cmp_ne_u32_e32 vcc_lo, 0, v37
	v_cndmask_b32_e32 v37, 0, v50, vcc_lo
.LBB4_2975:                             ;   in Loop: Header=BB4_1940 Depth=4
	s_or_b32 exec_lo, exec_lo, s73
.LBB4_2976:                             ;   in Loop: Header=BB4_1940 Depth=4
	s_or_b32 exec_lo, exec_lo, s72
	v_cmp_gt_i16_sdwa s72, v96, v100 src0_sel:BYTE_1 src1_sel:DWORD
	s_mov_b32 s16, 0
	s_and_saveexec_b32 s73, s72
	s_xor_b32 s72, exec_lo, s73
	s_cbranch_execz .LBB4_3214
; %bb.2977:                             ;   in Loop: Header=BB4_1940 Depth=4
	v_cmp_eq_u16_sdwa s74, v96, v101 src0_sel:BYTE_1 src1_sel:DWORD
	s_mov_b32 s16, -1
	s_and_saveexec_b32 s73, s74
; %bb.2978:                             ;   in Loop: Header=BB4_1940 Depth=4
	s_xor_b32 s16, exec_lo, -1
; %bb.2979:                             ;   in Loop: Header=BB4_1940 Depth=4
	s_or_b32 exec_lo, exec_lo, s73
	s_and_b32 s16, s16, exec_lo
	s_or_saveexec_b32 s72, s72
	v_mov_b32_e32 v50, 0x7f800001
	s_xor_b32 exec_lo, exec_lo, s72
	s_cbranch_execnz .LBB4_3215
.LBB4_2980:                             ;   in Loop: Header=BB4_1940 Depth=4
	s_or_b32 exec_lo, exec_lo, s72
	s_and_saveexec_b32 s72, s16
	s_cbranch_execz .LBB4_2982
.LBB4_2981:                             ;   in Loop: Header=BB4_1940 Depth=4
	v_and_b32_sdwa v50, v102, v96 dst_sel:DWORD dst_unused:UNUSED_PAD src0_sel:DWORD src1_sel:BYTE_1
	v_and_b32_e32 v51, 3, v50
	v_bfe_u32 v40, v50, 2, 5
	v_ffbh_u32_e32 v97, v51
	v_cmp_eq_u32_e32 vcc_lo, 0, v40
	v_min_u32_e32 v97, 32, v97
	v_subrev_nc_u32_e32 v115, 29, v97
	v_sub_nc_u32_e32 v97, 30, v97
	v_lshlrev_b32_e32 v50, v115, v50
	v_lshlrev_b32_sdwa v115, v103, v96 dst_sel:DWORD dst_unused:UNUSED_PAD src0_sel:DWORD src1_sel:BYTE_1
	v_cndmask_b32_e32 v97, v40, v97, vcc_lo
	v_and_b32_e32 v50, 3, v50
	v_lshl_add_u32 v97, v97, 23, 0x37800000
	v_cndmask_b32_e32 v50, v51, v50, vcc_lo
	v_and_b32_e32 v51, 0x80000000, v115
	v_lshlrev_b32_e32 v50, 21, v50
	v_or3_b32 v50, v51, v97, v50
.LBB4_2982:                             ;   in Loop: Header=BB4_1940 Depth=4
	s_or_b32 exec_lo, exec_lo, s72
	v_cmp_gt_i16_sdwa s72, v11, v100 src0_sel:BYTE_1 src1_sel:DWORD
	s_mov_b32 s16, 0
	s_and_saveexec_b32 s73, s72
	s_xor_b32 s72, exec_lo, s73
	s_cbranch_execz .LBB4_3216
; %bb.2983:                             ;   in Loop: Header=BB4_1940 Depth=4
	v_cmp_eq_u16_sdwa s74, v11, v101 src0_sel:BYTE_1 src1_sel:DWORD
	s_mov_b32 s16, -1
	s_and_saveexec_b32 s73, s74
; %bb.2984:                             ;   in Loop: Header=BB4_1940 Depth=4
	s_xor_b32 s16, exec_lo, -1
; %bb.2985:                             ;   in Loop: Header=BB4_1940 Depth=4
	s_or_b32 exec_lo, exec_lo, s73
	s_and_b32 s16, s16, exec_lo
	s_or_saveexec_b32 s72, s72
	v_mov_b32_e32 v51, 0x7f800001
	s_xor_b32 exec_lo, exec_lo, s72
	s_cbranch_execnz .LBB4_3217
.LBB4_2986:                             ;   in Loop: Header=BB4_1940 Depth=4
	s_or_b32 exec_lo, exec_lo, s72
	s_and_saveexec_b32 s72, s16
	s_cbranch_execz .LBB4_2988
.LBB4_2987:                             ;   in Loop: Header=BB4_1940 Depth=4
	v_and_b32_sdwa v51, v102, v11 dst_sel:DWORD dst_unused:UNUSED_PAD src0_sel:DWORD src1_sel:BYTE_1
	v_and_b32_e32 v97, 3, v51
	v_bfe_u32 v62, v51, 2, 5
	v_ffbh_u32_e32 v115, v97
	v_cmp_eq_u32_e32 vcc_lo, 0, v62
	v_min_u32_e32 v115, 32, v115
	v_subrev_nc_u32_e32 v40, 29, v115
	v_sub_nc_u32_e32 v115, 30, v115
	v_lshlrev_b32_e32 v51, v40, v51
	v_lshlrev_b32_sdwa v40, v103, v11 dst_sel:DWORD dst_unused:UNUSED_PAD src0_sel:DWORD src1_sel:BYTE_1
	v_cndmask_b32_e32 v115, v62, v115, vcc_lo
	v_and_b32_e32 v51, 3, v51
	v_lshl_add_u32 v115, v115, 23, 0x37800000
	v_cndmask_b32_e32 v51, v97, v51, vcc_lo
	v_and_b32_e32 v97, 0x80000000, v40
	v_lshlrev_b32_e32 v51, 21, v51
	v_or3_b32 v51, v97, v115, v51
.LBB4_2988:                             ;   in Loop: Header=BB4_1940 Depth=4
	s_or_b32 exec_lo, exec_lo, s72
	v_add_f32_e32 v50, v50, v51
	v_mov_b32_e32 v97, 0x8000
	s_mov_b32 s72, exec_lo
	v_and_b32_e32 v51, 0x7f800000, v50
	v_cmpx_ne_u32_e32 0x7f800000, v51
	s_cbranch_execz .LBB4_2996
; %bb.2989:                             ;   in Loop: Header=BB4_1940 Depth=4
	v_mov_b32_e32 v97, 0
	s_mov_b32 s73, exec_lo
	v_cmpx_ne_u32_e32 0, v50
	s_cbranch_execz .LBB4_2995
; %bb.2990:                             ;   in Loop: Header=BB4_1940 Depth=4
	v_bfe_u32 v51, v50, 23, 8
	v_and_b32_e32 v97, 0x7fffff, v50
	v_sub_nc_u32_e32 v115, 0x70, v51
	v_cmp_gt_u32_e32 vcc_lo, 0x71, v51
	v_or_b32_e32 v40, 0x800000, v97
	v_cndmask_b32_e32 v115, 0, v115, vcc_lo
	v_cmp_eq_u32_e32 vcc_lo, 0, v51
	v_add_nc_u32_e32 v51, 0xffffff91, v51
	v_cndmask_b32_e64 v115, v115, 0x6f, vcc_lo
	v_cndmask_b32_e32 v97, v40, v97, vcc_lo
	v_cndmask_b32_e64 v51, v51, 0xffffff92, vcc_lo
	v_lshl_add_u32 v40, 0x200000, v115, -1
	v_lshrrev_b32_e32 v72, v115, v97
	v_lshlrev_b32_e64 v73, v115, 0x100000
	v_and_b32_e32 v97, v40, v97
	v_bfe_u32 v62, v72, 21, 1
	v_cmp_eq_u32_e64 s16, v97, v73
	v_add_nc_u32_e32 v40, -1, v62
	v_lshrrev_b32_e32 v62, 23, v72
	v_cndmask_b32_e64 v97, 0, v40, s16
	v_add_nc_u32_e32 v40, v115, v51
	v_xor_b32_e32 v62, 1, v62
	s_mov_b32 s16, exec_lo
	v_add_nc_u32_e32 v97, v97, v72
	v_and_b32_e32 v51, 0x1fffff, v97
	v_add_nc_u32_e32 v97, v51, v72
                                        ; implicit-def: $vgpr51
	v_cmpx_ne_u32_e64 v40, v62
	s_xor_b32 s16, exec_lo, s16
; %bb.2991:                             ;   in Loop: Header=BB4_1940 Depth=4
	v_cmp_lt_u32_e32 vcc_lo, 0xffffff, v97
	v_sub_nc_u32_e32 v51, v40, v62
	v_cndmask_b32_e64 v115, 0, 1, vcc_lo
	v_add_co_ci_u32_e64 v51, null, 0, v51, vcc_lo
	v_lshrrev_b32_e32 v97, v115, v97
; %bb.2992:                             ;   in Loop: Header=BB4_1940 Depth=4
	s_andn2_saveexec_b32 s16, s16
; %bb.2993:                             ;   in Loop: Header=BB4_1940 Depth=4
	v_bfe_u32 v51, v97, 23, 1
; %bb.2994:                             ;   in Loop: Header=BB4_1940 Depth=4
	s_or_b32 exec_lo, exec_lo, s16
	v_lshrrev_b32_e32 v97, 21, v97
	v_min_i32_e32 v115, 31, v51
	v_cmp_gt_i32_e32 vcc_lo, 32, v51
	v_and_b32_sdwa v50, v50, v101 dst_sel:DWORD dst_unused:UNUSED_PAD src0_sel:BYTE_3 src1_sel:DWORD
	v_lshlrev_b32_e32 v115, 2, v115
	v_cndmask_b32_e32 v97, 3, v97, vcc_lo
	v_and_b32_e32 v115, 0xfc, v115
	v_and_b32_e32 v40, 3, v97
	v_or_b32_e32 v51, v51, v97
	v_or3_b32 v50, v50, v115, v40
	v_cmp_ne_u32_e32 vcc_lo, 0, v51
	v_lshlrev_b32_e32 v50, 8, v50
	v_cndmask_b32_e32 v97, 0, v50, vcc_lo
.LBB4_2995:                             ;   in Loop: Header=BB4_1940 Depth=4
	s_or_b32 exec_lo, exec_lo, s73
.LBB4_2996:                             ;   in Loop: Header=BB4_1940 Depth=4
	s_or_b32 exec_lo, exec_lo, s72
	v_or_b32_e32 v51, v63, v60
	s_mov_b32 s16, 0
	v_cmp_gt_i16_sdwa s72, v51, v100 src0_sel:BYTE_0 src1_sel:DWORD
	s_and_saveexec_b32 s73, s72
	s_xor_b32 s72, exec_lo, s73
	s_cbranch_execz .LBB4_3218
; %bb.2997:                             ;   in Loop: Header=BB4_1940 Depth=4
	v_cmp_eq_u16_sdwa s74, v51, v101 src0_sel:BYTE_0 src1_sel:DWORD
	s_mov_b32 s16, -1
	s_and_saveexec_b32 s73, s74
; %bb.2998:                             ;   in Loop: Header=BB4_1940 Depth=4
	s_xor_b32 s16, exec_lo, -1
; %bb.2999:                             ;   in Loop: Header=BB4_1940 Depth=4
	s_or_b32 exec_lo, exec_lo, s73
	s_and_b32 s16, s16, exec_lo
	s_or_saveexec_b32 s72, s72
	v_mov_b32_e32 v50, 0x7f800001
	s_xor_b32 exec_lo, exec_lo, s72
	s_cbranch_execnz .LBB4_3219
.LBB4_3000:                             ;   in Loop: Header=BB4_1940 Depth=4
	s_or_b32 exec_lo, exec_lo, s72
	v_lshl_or_b32 v51, v51, 16, v96
	s_and_saveexec_b32 s72, s16
	s_cbranch_execz .LBB4_3002
.LBB4_3001:                             ;   in Loop: Header=BB4_1940 Depth=4
	v_bfe_u32 v50, v51, 16, 2
	v_bfe_u32 v40, v51, 18, 5
	v_lshlrev_b32_e32 v60, 8, v51
	v_ffbh_u32_e32 v96, v50
	v_cmp_eq_u32_e32 vcc_lo, 0, v40
	v_min_u32_e32 v96, 32, v96
	v_subrev_nc_u32_e32 v115, 29, v96
	v_sub_nc_u32_e32 v96, 30, v96
	v_lshlrev_b32_sdwa v115, v115, v51 dst_sel:DWORD dst_unused:UNUSED_PAD src0_sel:DWORD src1_sel:WORD_1
	v_cndmask_b32_e32 v96, v40, v96, vcc_lo
	v_and_b32_e32 v115, 3, v115
	v_lshl_add_u32 v96, v96, 23, 0x37800000
	v_cndmask_b32_e32 v50, v50, v115, vcc_lo
	v_and_b32_e32 v115, 0x80000000, v60
	v_lshlrev_b32_e32 v50, 21, v50
	v_or3_b32 v50, v115, v96, v50
.LBB4_3002:                             ;   in Loop: Header=BB4_1940 Depth=4
	s_or_b32 exec_lo, exec_lo, s72
	v_and_b32_sdwa v40, v11, v112 dst_sel:DWORD dst_unused:UNUSED_PAD src0_sel:WORD_1 src1_sel:DWORD
	s_mov_b32 s16, 0
	s_mov_b32 s72, exec_lo
	v_cmpx_lt_i16_e32 0x7f, v40
	s_xor_b32 s72, exec_lo, s72
	s_cbranch_execz .LBB4_3220
; %bb.3003:                             ;   in Loop: Header=BB4_1940 Depth=4
	s_mov_b32 s16, -1
	s_mov_b32 s73, exec_lo
	v_cmpx_eq_u16_e32 0x80, v40
; %bb.3004:                             ;   in Loop: Header=BB4_1940 Depth=4
	s_xor_b32 s16, exec_lo, -1
; %bb.3005:                             ;   in Loop: Header=BB4_1940 Depth=4
	s_or_b32 exec_lo, exec_lo, s73
	s_and_b32 s16, s16, exec_lo
                                        ; implicit-def: $vgpr40
	s_or_saveexec_b32 s72, s72
	v_mov_b32_e32 v96, 0x7f800001
	s_xor_b32 exec_lo, exec_lo, s72
	s_cbranch_execnz .LBB4_3221
.LBB4_3006:                             ;   in Loop: Header=BB4_1940 Depth=4
	s_or_b32 exec_lo, exec_lo, s72
	s_and_saveexec_b32 s72, s16
	s_cbranch_execz .LBB4_3008
.LBB4_3007:                             ;   in Loop: Header=BB4_1940 Depth=4
	v_bfe_u32 v96, v11, 16, 2
	v_bfe_u32 v60, v11, 18, 5
	v_lshlrev_b32_e32 v62, 8, v11
	v_ffbh_u32_e32 v115, v96
	v_cmp_eq_u32_e32 vcc_lo, 0, v60
	v_min_u32_e32 v115, 32, v115
	v_subrev_nc_u32_e32 v40, 29, v115
	v_sub_nc_u32_e32 v115, 30, v115
	v_lshlrev_b32_sdwa v40, v40, v11 dst_sel:DWORD dst_unused:UNUSED_PAD src0_sel:DWORD src1_sel:WORD_1
	v_cndmask_b32_e32 v115, v60, v115, vcc_lo
	v_and_b32_e32 v40, 3, v40
	v_lshl_add_u32 v115, v115, 23, 0x37800000
	v_cndmask_b32_e32 v96, v96, v40, vcc_lo
	v_and_b32_e32 v40, 0x80000000, v62
	v_lshlrev_b32_e32 v96, 21, v96
	v_or3_b32 v96, v40, v115, v96
.LBB4_3008:                             ;   in Loop: Header=BB4_1940 Depth=4
	s_or_b32 exec_lo, exec_lo, s72
	v_add_f32_e32 v96, v50, v96
	v_and_b32_e32 v50, 0x7f800000, v96
	v_cmp_ne_u32_e32 vcc_lo, 0x7f800000, v50
	v_mov_b32_e32 v50, 0x80
	s_and_saveexec_b32 s72, vcc_lo
	s_cbranch_execz .LBB4_3016
; %bb.3009:                             ;   in Loop: Header=BB4_1940 Depth=4
	v_mov_b32_e32 v50, 0
	s_mov_b32 s73, exec_lo
	v_cmpx_ne_u32_e32 0, v96
	s_cbranch_execz .LBB4_3015
; %bb.3010:                             ;   in Loop: Header=BB4_1940 Depth=4
	v_bfe_u32 v50, v96, 23, 8
	v_and_b32_e32 v115, 0x7fffff, v96
	v_sub_nc_u32_e32 v40, 0x70, v50
	v_cmp_gt_u32_e32 vcc_lo, 0x71, v50
	v_or_b32_e32 v60, 0x800000, v115
	v_cndmask_b32_e32 v40, 0, v40, vcc_lo
	v_cmp_eq_u32_e32 vcc_lo, 0, v50
	v_add_nc_u32_e32 v50, 0xffffff91, v50
	v_cndmask_b32_e64 v40, v40, 0x6f, vcc_lo
	v_cndmask_b32_e32 v115, v60, v115, vcc_lo
	v_cndmask_b32_e64 v50, v50, 0xffffff92, vcc_lo
	v_lshl_add_u32 v60, 0x200000, v40, -1
	v_lshrrev_b32_e32 v63, v40, v115
	v_lshlrev_b32_e64 v72, v40, 0x100000
	v_and_b32_e32 v115, v60, v115
	v_bfe_u32 v62, v63, 21, 1
	v_cmp_eq_u32_e64 s16, v115, v72
	v_add_nc_u32_e32 v60, -1, v62
	v_lshrrev_b32_e32 v62, 23, v63
	v_cndmask_b32_e64 v115, 0, v60, s16
	v_add_nc_u32_e32 v60, v40, v50
	v_xor_b32_e32 v62, 1, v62
	s_mov_b32 s16, exec_lo
	v_add_nc_u32_e32 v115, v115, v63
	v_and_b32_e32 v50, 0x1fffff, v115
	v_add_nc_u32_e32 v40, v50, v63
                                        ; implicit-def: $vgpr50
	v_cmpx_ne_u32_e64 v60, v62
	s_xor_b32 s16, exec_lo, s16
; %bb.3011:                             ;   in Loop: Header=BB4_1940 Depth=4
	v_cmp_lt_u32_e32 vcc_lo, 0xffffff, v40
	v_sub_nc_u32_e32 v50, v60, v62
	v_cndmask_b32_e64 v115, 0, 1, vcc_lo
	v_add_co_ci_u32_e64 v50, null, 0, v50, vcc_lo
	v_lshrrev_b32_e32 v40, v115, v40
; %bb.3012:                             ;   in Loop: Header=BB4_1940 Depth=4
	s_andn2_saveexec_b32 s16, s16
; %bb.3013:                             ;   in Loop: Header=BB4_1940 Depth=4
	v_bfe_u32 v50, v40, 23, 1
; %bb.3014:                             ;   in Loop: Header=BB4_1940 Depth=4
	s_or_b32 exec_lo, exec_lo, s16
	v_lshrrev_b32_e32 v115, 21, v40
	v_min_i32_e32 v40, 31, v50
	v_cmp_gt_i32_e32 vcc_lo, 32, v50
	v_and_b32_sdwa v96, v96, v101 dst_sel:DWORD dst_unused:UNUSED_PAD src0_sel:BYTE_3 src1_sel:DWORD
	v_lshlrev_b32_e32 v40, 2, v40
	v_cndmask_b32_e32 v115, 3, v115, vcc_lo
	v_and_b32_e32 v40, 0xfc, v40
	v_and_b32_e32 v60, 3, v115
	v_or_b32_e32 v50, v50, v115
	v_or3_b32 v96, v40, v96, v60
	v_cmp_ne_u32_e32 vcc_lo, 0, v50
	v_cndmask_b32_e32 v50, 0, v96, vcc_lo
.LBB4_3015:                             ;   in Loop: Header=BB4_1940 Depth=4
	s_or_b32 exec_lo, exec_lo, s73
.LBB4_3016:                             ;   in Loop: Header=BB4_1940 Depth=4
	s_or_b32 exec_lo, exec_lo, s72
	v_cmp_gt_i16_sdwa s72, v51, v100 src0_sel:BYTE_3 src1_sel:DWORD
	s_mov_b32 s16, 0
	s_and_saveexec_b32 s73, s72
	s_xor_b32 s72, exec_lo, s73
	s_cbranch_execz .LBB4_3222
; %bb.3017:                             ;   in Loop: Header=BB4_1940 Depth=4
	v_cmp_eq_u16_sdwa s74, v51, v101 src0_sel:BYTE_3 src1_sel:DWORD
	s_mov_b32 s16, -1
	s_and_saveexec_b32 s73, s74
; %bb.3018:                             ;   in Loop: Header=BB4_1940 Depth=4
	s_xor_b32 s16, exec_lo, -1
; %bb.3019:                             ;   in Loop: Header=BB4_1940 Depth=4
	s_or_b32 exec_lo, exec_lo, s73
	s_and_b32 s16, s16, exec_lo
	s_or_saveexec_b32 s72, s72
	v_mov_b32_e32 v96, 0x7f800001
	s_xor_b32 exec_lo, exec_lo, s72
	s_cbranch_execnz .LBB4_3223
.LBB4_3020:                             ;   in Loop: Header=BB4_1940 Depth=4
	s_or_b32 exec_lo, exec_lo, s72
	s_and_saveexec_b32 s72, s16
	s_cbranch_execz .LBB4_3022
.LBB4_3021:                             ;   in Loop: Header=BB4_1940 Depth=4
	v_bfe_u32 v96, v51, 24, 2
	v_bfe_u32 v60, v51, 26, 5
	v_ffbh_u32_e32 v115, v96
	v_cmp_eq_u32_e32 vcc_lo, 0, v60
	v_min_u32_e32 v115, 32, v115
	v_subrev_nc_u32_e32 v40, 29, v115
	v_sub_nc_u32_e32 v115, 30, v115
	v_lshlrev_b32_sdwa v40, v40, v51 dst_sel:DWORD dst_unused:UNUSED_PAD src0_sel:DWORD src1_sel:BYTE_3
	v_cndmask_b32_e32 v115, v60, v115, vcc_lo
	v_and_b32_e32 v51, 0x80000000, v51
	v_and_b32_e32 v40, 3, v40
	v_lshl_add_u32 v115, v115, 23, 0x37800000
	v_cndmask_b32_e32 v96, v96, v40, vcc_lo
	v_lshlrev_b32_e32 v96, 21, v96
	v_or3_b32 v96, v51, v115, v96
.LBB4_3022:                             ;   in Loop: Header=BB4_1940 Depth=4
	s_or_b32 exec_lo, exec_lo, s72
	v_cmp_gt_i16_sdwa s72, v11, v100 src0_sel:BYTE_3 src1_sel:DWORD
	s_mov_b32 s16, 0
	s_and_saveexec_b32 s73, s72
	s_xor_b32 s72, exec_lo, s73
	s_cbranch_execz .LBB4_3224
; %bb.3023:                             ;   in Loop: Header=BB4_1940 Depth=4
	v_cmp_eq_u16_sdwa s74, v11, v101 src0_sel:BYTE_3 src1_sel:DWORD
	s_mov_b32 s16, -1
	s_and_saveexec_b32 s73, s74
; %bb.3024:                             ;   in Loop: Header=BB4_1940 Depth=4
	s_xor_b32 s16, exec_lo, -1
; %bb.3025:                             ;   in Loop: Header=BB4_1940 Depth=4
	s_or_b32 exec_lo, exec_lo, s73
	s_and_b32 s16, s16, exec_lo
	s_or_saveexec_b32 s72, s72
	v_mov_b32_e32 v51, 0x7f800001
	s_xor_b32 exec_lo, exec_lo, s72
	s_cbranch_execnz .LBB4_3225
.LBB4_3026:                             ;   in Loop: Header=BB4_1940 Depth=4
	s_or_b32 exec_lo, exec_lo, s72
	s_and_saveexec_b32 s72, s16
	s_cbranch_execz .LBB4_3028
.LBB4_3027:                             ;   in Loop: Header=BB4_1940 Depth=4
	v_bfe_u32 v51, v11, 24, 2
	v_bfe_u32 v60, v11, 26, 5
	v_ffbh_u32_e32 v115, v51
	v_cmp_eq_u32_e32 vcc_lo, 0, v60
	v_min_u32_e32 v115, 32, v115
	v_subrev_nc_u32_e32 v40, 29, v115
	v_sub_nc_u32_e32 v115, 30, v115
	v_lshlrev_b32_sdwa v40, v40, v11 dst_sel:DWORD dst_unused:UNUSED_PAD src0_sel:DWORD src1_sel:BYTE_3
	v_cndmask_b32_e32 v115, v60, v115, vcc_lo
	v_and_b32_e32 v11, 0x80000000, v11
	v_and_b32_e32 v40, 3, v40
	v_lshl_add_u32 v115, v115, 23, 0x37800000
	v_cndmask_b32_e32 v51, v51, v40, vcc_lo
	v_lshlrev_b32_e32 v51, 21, v51
	v_or3_b32 v51, v11, v115, v51
.LBB4_3028:                             ;   in Loop: Header=BB4_1940 Depth=4
	s_or_b32 exec_lo, exec_lo, s72
	v_add_f32_e32 v11, v96, v51
	v_and_b32_e32 v51, 0x7f800000, v11
	v_cmp_ne_u32_e32 vcc_lo, 0x7f800000, v51
	v_mov_b32_e32 v51, 0x8000
	s_and_saveexec_b32 s72, vcc_lo
	s_cbranch_execz .LBB4_1939
; %bb.3029:                             ;   in Loop: Header=BB4_1940 Depth=4
	v_mov_b32_e32 v51, 0
	s_mov_b32 s73, exec_lo
	v_cmpx_ne_u32_e32 0, v11
	s_cbranch_execz .LBB4_1938
; %bb.3030:                             ;   in Loop: Header=BB4_1940 Depth=4
	v_bfe_u32 v51, v11, 23, 8
	v_and_b32_e32 v96, 0x7fffff, v11
	v_sub_nc_u32_e32 v115, 0x70, v51
	v_cmp_gt_u32_e32 vcc_lo, 0x71, v51
	v_or_b32_e32 v40, 0x800000, v96
	v_cndmask_b32_e32 v115, 0, v115, vcc_lo
	v_cmp_eq_u32_e32 vcc_lo, 0, v51
	v_add_nc_u32_e32 v51, 0xffffff91, v51
	v_cndmask_b32_e64 v115, v115, 0x6f, vcc_lo
	v_cndmask_b32_e32 v96, v40, v96, vcc_lo
	v_cndmask_b32_e64 v51, v51, 0xffffff92, vcc_lo
	v_lshl_add_u32 v40, 0x200000, v115, -1
	v_lshrrev_b32_e32 v62, v115, v96
	v_lshlrev_b32_e64 v63, v115, 0x100000
	v_and_b32_e32 v96, v40, v96
	v_bfe_u32 v60, v62, 21, 1
	v_cmp_eq_u32_e64 s16, v96, v63
	v_add_nc_u32_e32 v40, -1, v60
	v_lshrrev_b32_e32 v60, 23, v62
	v_cndmask_b32_e64 v96, 0, v40, s16
	v_add_nc_u32_e32 v40, v115, v51
	v_xor_b32_e32 v60, 1, v60
	s_mov_b32 s16, exec_lo
	v_add_nc_u32_e32 v96, v96, v62
	v_and_b32_e32 v51, 0x1fffff, v96
	v_add_nc_u32_e32 v96, v51, v62
                                        ; implicit-def: $vgpr51
	v_cmpx_ne_u32_e64 v40, v60
	s_xor_b32 s16, exec_lo, s16
; %bb.3031:                             ;   in Loop: Header=BB4_1940 Depth=4
	v_cmp_lt_u32_e32 vcc_lo, 0xffffff, v96
	v_sub_nc_u32_e32 v51, v40, v60
	v_cndmask_b32_e64 v115, 0, 1, vcc_lo
	v_add_co_ci_u32_e64 v51, null, 0, v51, vcc_lo
	v_lshrrev_b32_e32 v96, v115, v96
; %bb.3032:                             ;   in Loop: Header=BB4_1940 Depth=4
	s_andn2_saveexec_b32 s16, s16
	s_cbranch_execz .LBB4_1937
; %bb.3033:                             ;   in Loop: Header=BB4_1940 Depth=4
	v_bfe_u32 v51, v96, 23, 1
	s_branch .LBB4_1937
.LBB4_3034:                             ;   in Loop: Header=BB4_1940 Depth=4
	s_or_saveexec_b32 s73, s73
	v_mov_b32_e32 v1, 0x7f800001
	s_xor_b32 exec_lo, exec_lo, s73
	s_cbranch_execz .LBB4_1952
.LBB4_3035:                             ;   in Loop: Header=BB4_1940 Depth=4
	v_cmp_ne_u16_sdwa s74, v8, v2 src0_sel:BYTE_0 src1_sel:DWORD
	v_mov_b32_e32 v1, 0
	s_andn2_b32 s16, s16, exec_lo
	s_and_b32 s74, s74, exec_lo
	s_or_b32 s16, s16, s74
	s_or_b32 exec_lo, exec_lo, s73
	s_and_saveexec_b32 s73, s16
	s_cbranch_execnz .LBB4_1953
	s_branch .LBB4_1954
.LBB4_3036:                             ;   in Loop: Header=BB4_1940 Depth=4
	s_or_saveexec_b32 s73, s73
	v_mov_b32_e32 v1, 0x7f800001
	s_xor_b32 exec_lo, exec_lo, s73
	s_cbranch_execz .LBB4_1966
.LBB4_3037:                             ;   in Loop: Header=BB4_1940 Depth=4
	v_cmp_ne_u16_sdwa s74, v8, v2 src0_sel:BYTE_1 src1_sel:DWORD
	v_mov_b32_e32 v1, 0
	s_andn2_b32 s16, s16, exec_lo
	s_and_b32 s74, s74, exec_lo
	s_or_b32 s16, s16, s74
	s_or_b32 exec_lo, exec_lo, s73
	s_and_saveexec_b32 s73, s16
	s_cbranch_execnz .LBB4_1967
	s_branch .LBB4_1968
.LBB4_3038:                             ;   in Loop: Header=BB4_1940 Depth=4
	s_or_saveexec_b32 s73, s73
	v_mov_b32_e32 v1, 0x7f800001
	s_xor_b32 exec_lo, exec_lo, s73
	s_cbranch_execz .LBB4_1980
.LBB4_3039:                             ;   in Loop: Header=BB4_1940 Depth=4
	v_cmp_ne_u16_e32 vcc_lo, 0, v4
	v_mov_b32_e32 v1, 0
	s_andn2_b32 s16, s16, exec_lo
	s_and_b32 s74, vcc_lo, exec_lo
	s_or_b32 s16, s16, s74
	s_or_b32 exec_lo, exec_lo, s73
	s_and_saveexec_b32 s73, s16
	s_cbranch_execnz .LBB4_1981
	s_branch .LBB4_1982
.LBB4_3040:                             ;   in Loop: Header=BB4_1940 Depth=4
	s_or_saveexec_b32 s73, s73
	v_mov_b32_e32 v1, 0x7f800001
	s_xor_b32 exec_lo, exec_lo, s73
	s_cbranch_execz .LBB4_1994
.LBB4_3041:                             ;   in Loop: Header=BB4_1940 Depth=4
	v_cmp_ne_u16_sdwa s74, v8, v2 src0_sel:BYTE_3 src1_sel:DWORD
	v_mov_b32_e32 v1, 0
	s_andn2_b32 s16, s16, exec_lo
	s_and_b32 s74, s74, exec_lo
	s_or_b32 s16, s16, s74
	s_or_b32 exec_lo, exec_lo, s73
	s_and_saveexec_b32 s73, s16
	s_cbranch_execnz .LBB4_1995
	s_branch .LBB4_1996
.LBB4_3042:                             ;   in Loop: Header=BB4_1940 Depth=4
	s_or_saveexec_b32 s73, s73
	v_mov_b32_e32 v1, 0x7f800001
	s_xor_b32 exec_lo, exec_lo, s73
	s_cbranch_execz .LBB4_2008
.LBB4_3043:                             ;   in Loop: Header=BB4_1940 Depth=4
	v_cmp_ne_u16_sdwa s74, v9, v2 src0_sel:BYTE_0 src1_sel:DWORD
	v_mov_b32_e32 v1, 0
	s_andn2_b32 s16, s16, exec_lo
	s_and_b32 s74, s74, exec_lo
	s_or_b32 s16, s16, s74
	s_or_b32 exec_lo, exec_lo, s73
	s_and_saveexec_b32 s73, s16
	s_cbranch_execnz .LBB4_2009
	s_branch .LBB4_2010
.LBB4_3044:                             ;   in Loop: Header=BB4_1940 Depth=4
	s_or_saveexec_b32 s73, s73
	v_mov_b32_e32 v1, 0x7f800001
	s_xor_b32 exec_lo, exec_lo, s73
	s_cbranch_execz .LBB4_2022
.LBB4_3045:                             ;   in Loop: Header=BB4_1940 Depth=4
	v_cmp_ne_u16_sdwa s74, v9, v2 src0_sel:BYTE_1 src1_sel:DWORD
	v_mov_b32_e32 v1, 0
	s_andn2_b32 s16, s16, exec_lo
	s_and_b32 s74, s74, exec_lo
	s_or_b32 s16, s16, s74
	s_or_b32 exec_lo, exec_lo, s73
	s_and_saveexec_b32 s73, s16
	s_cbranch_execnz .LBB4_2023
	s_branch .LBB4_2024
.LBB4_3046:                             ;   in Loop: Header=BB4_1940 Depth=4
	s_or_saveexec_b32 s73, s73
	v_mov_b32_e32 v1, 0x7f800001
	s_xor_b32 exec_lo, exec_lo, s73
	s_cbranch_execz .LBB4_2036
.LBB4_3047:                             ;   in Loop: Header=BB4_1940 Depth=4
	v_cmp_ne_u16_e32 vcc_lo, 0, v4
	v_mov_b32_e32 v1, 0
	s_andn2_b32 s16, s16, exec_lo
	s_and_b32 s74, vcc_lo, exec_lo
	s_or_b32 s16, s16, s74
	s_or_b32 exec_lo, exec_lo, s73
	s_and_saveexec_b32 s73, s16
	s_cbranch_execnz .LBB4_2037
	s_branch .LBB4_2038
.LBB4_3048:                             ;   in Loop: Header=BB4_1940 Depth=4
	s_or_saveexec_b32 s73, s73
	v_mov_b32_e32 v1, 0x7f800001
	s_xor_b32 exec_lo, exec_lo, s73
	s_cbranch_execz .LBB4_2050
.LBB4_3049:                             ;   in Loop: Header=BB4_1940 Depth=4
	v_cmp_ne_u16_sdwa s74, v9, v2 src0_sel:BYTE_3 src1_sel:DWORD
	v_mov_b32_e32 v1, 0
	s_andn2_b32 s16, s16, exec_lo
	s_and_b32 s74, s74, exec_lo
	s_or_b32 s16, s16, s74
	s_or_b32 exec_lo, exec_lo, s73
	s_and_saveexec_b32 s73, s16
	s_cbranch_execnz .LBB4_2051
	s_branch .LBB4_2052
.LBB4_3050:                             ;   in Loop: Header=BB4_1940 Depth=4
	s_or_saveexec_b32 s73, s73
	v_mov_b32_e32 v1, 0x7f800001
	s_xor_b32 exec_lo, exec_lo, s73
	s_cbranch_execz .LBB4_2064
.LBB4_3051:                             ;   in Loop: Header=BB4_1940 Depth=4
	v_cmp_ne_u16_sdwa s74, v10, v2 src0_sel:BYTE_0 src1_sel:DWORD
	v_mov_b32_e32 v1, 0
	s_andn2_b32 s16, s16, exec_lo
	s_and_b32 s74, s74, exec_lo
	s_or_b32 s16, s16, s74
	s_or_b32 exec_lo, exec_lo, s73
	s_and_saveexec_b32 s73, s16
	s_cbranch_execnz .LBB4_2065
	s_branch .LBB4_2066
.LBB4_3052:                             ;   in Loop: Header=BB4_1940 Depth=4
	s_or_saveexec_b32 s73, s73
	v_mov_b32_e32 v1, 0x7f800001
	s_xor_b32 exec_lo, exec_lo, s73
	s_cbranch_execz .LBB4_2078
.LBB4_3053:                             ;   in Loop: Header=BB4_1940 Depth=4
	v_cmp_ne_u16_sdwa s74, v10, v2 src0_sel:BYTE_1 src1_sel:DWORD
	v_mov_b32_e32 v1, 0
	s_andn2_b32 s16, s16, exec_lo
	s_and_b32 s74, s74, exec_lo
	s_or_b32 s16, s16, s74
	s_or_b32 exec_lo, exec_lo, s73
	s_and_saveexec_b32 s73, s16
	s_cbranch_execnz .LBB4_2079
	s_branch .LBB4_2080
.LBB4_3054:                             ;   in Loop: Header=BB4_1940 Depth=4
	s_or_saveexec_b32 s73, s73
	v_mov_b32_e32 v1, 0x7f800001
	s_xor_b32 exec_lo, exec_lo, s73
	s_cbranch_execz .LBB4_2092
.LBB4_3055:                             ;   in Loop: Header=BB4_1940 Depth=4
	v_cmp_ne_u16_e32 vcc_lo, 0, v4
	v_mov_b32_e32 v1, 0
	s_andn2_b32 s16, s16, exec_lo
	s_and_b32 s74, vcc_lo, exec_lo
	s_or_b32 s16, s16, s74
	s_or_b32 exec_lo, exec_lo, s73
	s_and_saveexec_b32 s73, s16
	s_cbranch_execnz .LBB4_2093
	s_branch .LBB4_2094
.LBB4_3056:                             ;   in Loop: Header=BB4_1940 Depth=4
	s_or_saveexec_b32 s73, s73
	v_mov_b32_e32 v1, 0x7f800001
	s_xor_b32 exec_lo, exec_lo, s73
	s_cbranch_execz .LBB4_2106
.LBB4_3057:                             ;   in Loop: Header=BB4_1940 Depth=4
	v_cmp_ne_u16_sdwa s74, v10, v2 src0_sel:BYTE_3 src1_sel:DWORD
	v_mov_b32_e32 v1, 0
	s_andn2_b32 s16, s16, exec_lo
	s_and_b32 s74, s74, exec_lo
	s_or_b32 s16, s16, s74
	s_or_b32 exec_lo, exec_lo, s73
	s_and_saveexec_b32 s73, s16
	s_cbranch_execnz .LBB4_2107
	s_branch .LBB4_2108
.LBB4_3058:                             ;   in Loop: Header=BB4_1940 Depth=4
	s_or_saveexec_b32 s73, s73
	v_mov_b32_e32 v1, 0x7f800001
	s_xor_b32 exec_lo, exec_lo, s73
	s_cbranch_execz .LBB4_2120
.LBB4_3059:                             ;   in Loop: Header=BB4_1940 Depth=4
	v_cmp_ne_u16_sdwa s74, v11, v2 src0_sel:BYTE_0 src1_sel:DWORD
	v_mov_b32_e32 v1, 0
	s_andn2_b32 s16, s16, exec_lo
	s_and_b32 s74, s74, exec_lo
	s_or_b32 s16, s16, s74
	s_or_b32 exec_lo, exec_lo, s73
	s_and_saveexec_b32 s73, s16
	s_cbranch_execnz .LBB4_2121
	s_branch .LBB4_2122
.LBB4_3060:                             ;   in Loop: Header=BB4_1940 Depth=4
	s_or_saveexec_b32 s73, s73
	v_mov_b32_e32 v1, 0x7f800001
	s_xor_b32 exec_lo, exec_lo, s73
	s_cbranch_execz .LBB4_2134
.LBB4_3061:                             ;   in Loop: Header=BB4_1940 Depth=4
	v_cmp_ne_u16_sdwa s74, v11, v2 src0_sel:BYTE_1 src1_sel:DWORD
	v_mov_b32_e32 v1, 0
	s_andn2_b32 s16, s16, exec_lo
	s_and_b32 s74, s74, exec_lo
	s_or_b32 s16, s16, s74
	s_or_b32 exec_lo, exec_lo, s73
	s_and_saveexec_b32 s73, s16
	s_cbranch_execnz .LBB4_2135
	s_branch .LBB4_2136
.LBB4_3062:                             ;   in Loop: Header=BB4_1940 Depth=4
	s_or_saveexec_b32 s73, s73
	v_mov_b32_e32 v1, 0x7f800001
	s_xor_b32 exec_lo, exec_lo, s73
	s_cbranch_execz .LBB4_2148
.LBB4_3063:                             ;   in Loop: Header=BB4_1940 Depth=4
	v_cmp_ne_u16_e32 vcc_lo, 0, v4
	v_mov_b32_e32 v1, 0
	s_andn2_b32 s16, s16, exec_lo
	s_and_b32 s74, vcc_lo, exec_lo
	s_or_b32 s16, s16, s74
	s_or_b32 exec_lo, exec_lo, s73
	s_and_saveexec_b32 s73, s16
	s_cbranch_execnz .LBB4_2149
	s_branch .LBB4_2150
.LBB4_3064:                             ;   in Loop: Header=BB4_1940 Depth=4
	s_or_saveexec_b32 s73, s73
	v_mov_b32_e32 v1, 0x7f800001
	s_xor_b32 exec_lo, exec_lo, s73
	s_cbranch_execz .LBB4_2162
.LBB4_3065:                             ;   in Loop: Header=BB4_1940 Depth=4
	v_cmp_ne_u16_sdwa s74, v11, v2 src0_sel:BYTE_3 src1_sel:DWORD
	v_mov_b32_e32 v1, 0
	s_andn2_b32 s16, s16, exec_lo
	s_and_b32 s74, s74, exec_lo
	s_or_b32 s16, s16, s74
	s_or_b32 exec_lo, exec_lo, s73
	s_and_saveexec_b32 s73, s16
	s_cbranch_execnz .LBB4_2163
	s_branch .LBB4_2164
.LBB4_3066:                             ;   in Loop: Header=BB4_1940 Depth=4
	s_or_saveexec_b32 s73, s73
	v_mov_b32_e32 v1, 0x7f800001
	s_xor_b32 exec_lo, exec_lo, s73
	s_cbranch_execz .LBB4_2176
.LBB4_3067:                             ;   in Loop: Header=BB4_1940 Depth=4
	v_cmp_ne_u16_sdwa s74, v8, v2 src0_sel:BYTE_0 src1_sel:DWORD
	v_mov_b32_e32 v1, 0
	s_andn2_b32 s16, s16, exec_lo
	s_and_b32 s74, s74, exec_lo
	s_or_b32 s16, s16, s74
	s_or_b32 exec_lo, exec_lo, s73
	s_and_saveexec_b32 s73, s16
	s_cbranch_execnz .LBB4_2177
	s_branch .LBB4_2178
.LBB4_3068:                             ;   in Loop: Header=BB4_1940 Depth=4
	s_or_saveexec_b32 s73, s73
	v_mov_b32_e32 v1, 0x7f800001
	s_xor_b32 exec_lo, exec_lo, s73
	s_cbranch_execz .LBB4_2190
.LBB4_3069:                             ;   in Loop: Header=BB4_1940 Depth=4
	v_cmp_ne_u16_sdwa s74, v8, v2 src0_sel:BYTE_1 src1_sel:DWORD
	v_mov_b32_e32 v1, 0
	s_andn2_b32 s16, s16, exec_lo
	s_and_b32 s74, s74, exec_lo
	s_or_b32 s16, s16, s74
	s_or_b32 exec_lo, exec_lo, s73
	s_and_saveexec_b32 s73, s16
	s_cbranch_execnz .LBB4_2191
	s_branch .LBB4_2192
.LBB4_3070:                             ;   in Loop: Header=BB4_1940 Depth=4
	s_or_saveexec_b32 s73, s73
	v_mov_b32_e32 v1, 0x7f800001
	s_xor_b32 exec_lo, exec_lo, s73
	s_cbranch_execz .LBB4_2204
.LBB4_3071:                             ;   in Loop: Header=BB4_1940 Depth=4
	v_cmp_ne_u16_e32 vcc_lo, 0, v4
	v_mov_b32_e32 v1, 0
	s_andn2_b32 s16, s16, exec_lo
	s_and_b32 s74, vcc_lo, exec_lo
	s_or_b32 s16, s16, s74
	s_or_b32 exec_lo, exec_lo, s73
	s_and_saveexec_b32 s73, s16
	s_cbranch_execnz .LBB4_2205
	s_branch .LBB4_2206
.LBB4_3072:                             ;   in Loop: Header=BB4_1940 Depth=4
	s_or_saveexec_b32 s73, s73
	v_mov_b32_e32 v1, 0x7f800001
	s_xor_b32 exec_lo, exec_lo, s73
	s_cbranch_execz .LBB4_2218
.LBB4_3073:                             ;   in Loop: Header=BB4_1940 Depth=4
	v_cmp_ne_u16_sdwa s74, v8, v2 src0_sel:BYTE_3 src1_sel:DWORD
	v_mov_b32_e32 v1, 0
	s_andn2_b32 s16, s16, exec_lo
	s_and_b32 s74, s74, exec_lo
	s_or_b32 s16, s16, s74
	s_or_b32 exec_lo, exec_lo, s73
	s_and_saveexec_b32 s73, s16
	s_cbranch_execnz .LBB4_2219
	s_branch .LBB4_2220
.LBB4_3074:                             ;   in Loop: Header=BB4_1940 Depth=4
	s_or_saveexec_b32 s73, s73
	v_mov_b32_e32 v1, 0x7f800001
	s_xor_b32 exec_lo, exec_lo, s73
	s_cbranch_execz .LBB4_2232
.LBB4_3075:                             ;   in Loop: Header=BB4_1940 Depth=4
	v_cmp_ne_u16_sdwa s74, v9, v2 src0_sel:BYTE_0 src1_sel:DWORD
	v_mov_b32_e32 v1, 0
	s_andn2_b32 s16, s16, exec_lo
	s_and_b32 s74, s74, exec_lo
	s_or_b32 s16, s16, s74
	s_or_b32 exec_lo, exec_lo, s73
	s_and_saveexec_b32 s73, s16
	s_cbranch_execnz .LBB4_2233
	s_branch .LBB4_2234
.LBB4_3076:                             ;   in Loop: Header=BB4_1940 Depth=4
	s_or_saveexec_b32 s73, s73
	v_mov_b32_e32 v1, 0x7f800001
	s_xor_b32 exec_lo, exec_lo, s73
	s_cbranch_execz .LBB4_2246
.LBB4_3077:                             ;   in Loop: Header=BB4_1940 Depth=4
	v_cmp_ne_u16_sdwa s74, v9, v2 src0_sel:BYTE_1 src1_sel:DWORD
	v_mov_b32_e32 v1, 0
	s_andn2_b32 s16, s16, exec_lo
	s_and_b32 s74, s74, exec_lo
	s_or_b32 s16, s16, s74
	s_or_b32 exec_lo, exec_lo, s73
	s_and_saveexec_b32 s73, s16
	s_cbranch_execnz .LBB4_2247
	s_branch .LBB4_2248
.LBB4_3078:                             ;   in Loop: Header=BB4_1940 Depth=4
	s_or_saveexec_b32 s73, s73
	v_mov_b32_e32 v1, 0x7f800001
	s_xor_b32 exec_lo, exec_lo, s73
	s_cbranch_execz .LBB4_2260
.LBB4_3079:                             ;   in Loop: Header=BB4_1940 Depth=4
	v_cmp_ne_u16_e32 vcc_lo, 0, v4
	v_mov_b32_e32 v1, 0
	s_andn2_b32 s16, s16, exec_lo
	s_and_b32 s74, vcc_lo, exec_lo
	s_or_b32 s16, s16, s74
	s_or_b32 exec_lo, exec_lo, s73
	s_and_saveexec_b32 s73, s16
	s_cbranch_execnz .LBB4_2261
	s_branch .LBB4_2262
.LBB4_3080:                             ;   in Loop: Header=BB4_1940 Depth=4
	s_or_saveexec_b32 s73, s73
	v_mov_b32_e32 v1, 0x7f800001
	s_xor_b32 exec_lo, exec_lo, s73
	s_cbranch_execz .LBB4_2274
.LBB4_3081:                             ;   in Loop: Header=BB4_1940 Depth=4
	v_cmp_ne_u16_sdwa s74, v9, v2 src0_sel:BYTE_3 src1_sel:DWORD
	v_mov_b32_e32 v1, 0
	s_andn2_b32 s16, s16, exec_lo
	s_and_b32 s74, s74, exec_lo
	s_or_b32 s16, s16, s74
	s_or_b32 exec_lo, exec_lo, s73
	s_and_saveexec_b32 s73, s16
	s_cbranch_execnz .LBB4_2275
	s_branch .LBB4_2276
.LBB4_3082:                             ;   in Loop: Header=BB4_1940 Depth=4
	s_or_saveexec_b32 s73, s73
	v_mov_b32_e32 v1, 0x7f800001
	s_xor_b32 exec_lo, exec_lo, s73
	s_cbranch_execz .LBB4_2288
.LBB4_3083:                             ;   in Loop: Header=BB4_1940 Depth=4
	v_cmp_ne_u16_sdwa s74, v10, v2 src0_sel:BYTE_0 src1_sel:DWORD
	v_mov_b32_e32 v1, 0
	s_andn2_b32 s16, s16, exec_lo
	s_and_b32 s74, s74, exec_lo
	s_or_b32 s16, s16, s74
	s_or_b32 exec_lo, exec_lo, s73
	s_and_saveexec_b32 s73, s16
	s_cbranch_execnz .LBB4_2289
	s_branch .LBB4_2290
.LBB4_3084:                             ;   in Loop: Header=BB4_1940 Depth=4
	s_or_saveexec_b32 s73, s73
	v_mov_b32_e32 v1, 0x7f800001
	s_xor_b32 exec_lo, exec_lo, s73
	s_cbranch_execz .LBB4_2302
.LBB4_3085:                             ;   in Loop: Header=BB4_1940 Depth=4
	v_cmp_ne_u16_sdwa s74, v10, v2 src0_sel:BYTE_1 src1_sel:DWORD
	v_mov_b32_e32 v1, 0
	s_andn2_b32 s16, s16, exec_lo
	s_and_b32 s74, s74, exec_lo
	s_or_b32 s16, s16, s74
	s_or_b32 exec_lo, exec_lo, s73
	s_and_saveexec_b32 s73, s16
	s_cbranch_execnz .LBB4_2303
	s_branch .LBB4_2304
.LBB4_3086:                             ;   in Loop: Header=BB4_1940 Depth=4
	s_or_saveexec_b32 s73, s73
	v_mov_b32_e32 v1, 0x7f800001
	s_xor_b32 exec_lo, exec_lo, s73
	s_cbranch_execz .LBB4_2316
.LBB4_3087:                             ;   in Loop: Header=BB4_1940 Depth=4
	v_cmp_ne_u16_e32 vcc_lo, 0, v4
	v_mov_b32_e32 v1, 0
	s_andn2_b32 s16, s16, exec_lo
	s_and_b32 s74, vcc_lo, exec_lo
	s_or_b32 s16, s16, s74
	s_or_b32 exec_lo, exec_lo, s73
	s_and_saveexec_b32 s73, s16
	s_cbranch_execnz .LBB4_2317
	s_branch .LBB4_2318
.LBB4_3088:                             ;   in Loop: Header=BB4_1940 Depth=4
	s_or_saveexec_b32 s73, s73
	v_mov_b32_e32 v1, 0x7f800001
	s_xor_b32 exec_lo, exec_lo, s73
	s_cbranch_execz .LBB4_2330
.LBB4_3089:                             ;   in Loop: Header=BB4_1940 Depth=4
	v_cmp_ne_u16_sdwa s74, v10, v2 src0_sel:BYTE_3 src1_sel:DWORD
	v_mov_b32_e32 v1, 0
	s_andn2_b32 s16, s16, exec_lo
	s_and_b32 s74, s74, exec_lo
	s_or_b32 s16, s16, s74
	s_or_b32 exec_lo, exec_lo, s73
	s_and_saveexec_b32 s73, s16
	s_cbranch_execnz .LBB4_2331
	s_branch .LBB4_2332
.LBB4_3090:                             ;   in Loop: Header=BB4_1940 Depth=4
	s_or_saveexec_b32 s73, s73
	v_mov_b32_e32 v1, 0x7f800001
	s_xor_b32 exec_lo, exec_lo, s73
	s_cbranch_execz .LBB4_2344
.LBB4_3091:                             ;   in Loop: Header=BB4_1940 Depth=4
	v_cmp_ne_u16_sdwa s74, v11, v2 src0_sel:BYTE_0 src1_sel:DWORD
	v_mov_b32_e32 v1, 0
	s_andn2_b32 s16, s16, exec_lo
	s_and_b32 s74, s74, exec_lo
	s_or_b32 s16, s16, s74
	s_or_b32 exec_lo, exec_lo, s73
	s_and_saveexec_b32 s73, s16
	s_cbranch_execnz .LBB4_2345
	s_branch .LBB4_2346
.LBB4_3092:                             ;   in Loop: Header=BB4_1940 Depth=4
	s_or_saveexec_b32 s73, s73
	v_mov_b32_e32 v1, 0x7f800001
	s_xor_b32 exec_lo, exec_lo, s73
	s_cbranch_execz .LBB4_2358
.LBB4_3093:                             ;   in Loop: Header=BB4_1940 Depth=4
	v_cmp_ne_u16_sdwa s74, v11, v2 src0_sel:BYTE_1 src1_sel:DWORD
	v_mov_b32_e32 v1, 0
	s_andn2_b32 s16, s16, exec_lo
	s_and_b32 s74, s74, exec_lo
	s_or_b32 s16, s16, s74
	s_or_b32 exec_lo, exec_lo, s73
	s_and_saveexec_b32 s73, s16
	s_cbranch_execnz .LBB4_2359
	s_branch .LBB4_2360
.LBB4_3094:                             ;   in Loop: Header=BB4_1940 Depth=4
	s_or_saveexec_b32 s73, s73
	v_mov_b32_e32 v1, 0x7f800001
	s_xor_b32 exec_lo, exec_lo, s73
	s_cbranch_execz .LBB4_2372
.LBB4_3095:                             ;   in Loop: Header=BB4_1940 Depth=4
	v_cmp_ne_u16_e32 vcc_lo, 0, v4
	v_mov_b32_e32 v1, 0
	s_andn2_b32 s16, s16, exec_lo
	s_and_b32 s74, vcc_lo, exec_lo
	s_or_b32 s16, s16, s74
	s_or_b32 exec_lo, exec_lo, s73
	s_and_saveexec_b32 s73, s16
	s_cbranch_execnz .LBB4_2373
	s_branch .LBB4_2374
.LBB4_3096:                             ;   in Loop: Header=BB4_1940 Depth=4
	s_or_saveexec_b32 s73, s73
	v_mov_b32_e32 v1, 0x7f800001
	s_xor_b32 exec_lo, exec_lo, s73
	s_cbranch_execz .LBB4_2386
.LBB4_3097:                             ;   in Loop: Header=BB4_1940 Depth=4
	v_cmp_ne_u16_sdwa s74, v11, v2 src0_sel:BYTE_3 src1_sel:DWORD
	v_mov_b32_e32 v1, 0
	s_andn2_b32 s16, s16, exec_lo
	s_and_b32 s74, s74, exec_lo
	s_or_b32 s16, s16, s74
	s_or_b32 exec_lo, exec_lo, s73
	s_and_saveexec_b32 s73, s16
	s_cbranch_execnz .LBB4_2387
	s_branch .LBB4_2388
.LBB4_3098:                             ;   in Loop: Header=BB4_1940 Depth=4
	s_or_saveexec_b32 s16, s16
	v_mov_b32_e32 v4, 0x7f800001
	s_xor_b32 exec_lo, exec_lo, s16
	s_cbranch_execz .LBB4_2400
.LBB4_3099:                             ;   in Loop: Header=BB4_1940 Depth=4
	v_cmp_ne_u16_sdwa s73, v1, v2 src0_sel:BYTE_0 src1_sel:DWORD
	v_mov_b32_e32 v4, 0
	s_andn2_b32 s72, s72, exec_lo
	s_and_b32 s73, s73, exec_lo
	s_or_b32 s72, s72, s73
	s_or_b32 exec_lo, exec_lo, s16
	s_and_saveexec_b32 s16, s72
	s_cbranch_execnz .LBB4_2401
	s_branch .LBB4_2402
.LBB4_3100:                             ;   in Loop: Header=BB4_1940 Depth=4
	s_or_saveexec_b32 s16, s16
	v_mov_b32_e32 v5, 0x7f800001
	s_xor_b32 exec_lo, exec_lo, s16
	s_cbranch_execz .LBB4_2406
.LBB4_3101:                             ;   in Loop: Header=BB4_1940 Depth=4
	v_cmp_ne_u16_sdwa s73, v12, v2 src0_sel:BYTE_0 src1_sel:DWORD
	v_mov_b32_e32 v5, 0
	s_andn2_b32 s72, s72, exec_lo
	s_and_b32 s73, s73, exec_lo
	s_or_b32 s72, s72, s73
	s_or_b32 exec_lo, exec_lo, s16
	s_and_saveexec_b32 s16, s72
	s_cbranch_execnz .LBB4_2407
	s_branch .LBB4_2408
.LBB4_3102:                             ;   in Loop: Header=BB4_1940 Depth=4
	s_or_saveexec_b32 s16, s16
	v_mov_b32_e32 v4, 0x7f800001
	s_xor_b32 exec_lo, exec_lo, s16
	s_cbranch_execz .LBB4_2420
.LBB4_3103:                             ;   in Loop: Header=BB4_1940 Depth=4
	v_cmp_ne_u16_sdwa s73, v1, v2 src0_sel:BYTE_1 src1_sel:DWORD
	v_mov_b32_e32 v4, 0
	s_andn2_b32 s72, s72, exec_lo
	s_and_b32 s73, s73, exec_lo
	s_or_b32 s72, s72, s73
	s_or_b32 exec_lo, exec_lo, s16
	s_and_saveexec_b32 s16, s72
	s_cbranch_execnz .LBB4_2421
	s_branch .LBB4_2422
.LBB4_3104:                             ;   in Loop: Header=BB4_1940 Depth=4
	s_or_saveexec_b32 s16, s16
	v_mov_b32_e32 v5, 0x7f800001
	s_xor_b32 exec_lo, exec_lo, s16
	s_cbranch_execz .LBB4_2426
.LBB4_3105:                             ;   in Loop: Header=BB4_1940 Depth=4
	v_cmp_ne_u16_sdwa s73, v12, v2 src0_sel:BYTE_1 src1_sel:DWORD
	v_mov_b32_e32 v5, 0
	s_andn2_b32 s72, s72, exec_lo
	s_and_b32 s73, s73, exec_lo
	s_or_b32 s72, s72, s73
	s_or_b32 exec_lo, exec_lo, s16
	s_and_saveexec_b32 s16, s72
	s_cbranch_execnz .LBB4_2427
	s_branch .LBB4_2428
.LBB4_3106:                             ;   in Loop: Header=BB4_1940 Depth=4
	s_or_saveexec_b32 s16, s16
	v_mov_b32_e32 v4, 0x7f800001
	s_xor_b32 exec_lo, exec_lo, s16
	s_cbranch_execz .LBB4_2440
.LBB4_3107:                             ;   in Loop: Header=BB4_1940 Depth=4
	v_cmp_ne_u16_sdwa s73, v5, v2 src0_sel:BYTE_0 src1_sel:DWORD
	v_mov_b32_e32 v4, 0
	s_andn2_b32 s72, s72, exec_lo
	s_and_b32 s73, s73, exec_lo
	s_or_b32 s72, s72, s73
	s_or_b32 exec_lo, exec_lo, s16
	v_lshl_or_b32 v1, v5, 16, v1
	s_and_saveexec_b32 s16, s72
	s_cbranch_execnz .LBB4_2441
	s_branch .LBB4_2442
.LBB4_3108:                             ;   in Loop: Header=BB4_1940 Depth=4
	s_or_saveexec_b32 s16, s16
	v_mov_b32_e32 v5, 0x7f800001
	s_xor_b32 exec_lo, exec_lo, s16
	s_cbranch_execz .LBB4_2446
.LBB4_3109:                             ;   in Loop: Header=BB4_1940 Depth=4
	v_cmp_ne_u16_e32 vcc_lo, 0, v16
	v_mov_b32_e32 v5, 0
	s_andn2_b32 s72, s72, exec_lo
	s_and_b32 s73, vcc_lo, exec_lo
	s_or_b32 s72, s72, s73
	s_or_b32 exec_lo, exec_lo, s16
	s_and_saveexec_b32 s16, s72
	s_cbranch_execnz .LBB4_2447
	s_branch .LBB4_2448
.LBB4_3110:                             ;   in Loop: Header=BB4_1940 Depth=4
	s_or_saveexec_b32 s16, s16
	v_mov_b32_e32 v4, 0x7f800001
	s_xor_b32 exec_lo, exec_lo, s16
	s_cbranch_execz .LBB4_2460
.LBB4_3111:                             ;   in Loop: Header=BB4_1940 Depth=4
	v_cmp_ne_u16_sdwa s73, v1, v2 src0_sel:BYTE_3 src1_sel:DWORD
	v_mov_b32_e32 v4, 0
	s_andn2_b32 s72, s72, exec_lo
	s_and_b32 s73, s73, exec_lo
	s_or_b32 s72, s72, s73
	s_or_b32 exec_lo, exec_lo, s16
	s_and_saveexec_b32 s16, s72
	s_cbranch_execnz .LBB4_2461
	s_branch .LBB4_2462
.LBB4_3112:                             ;   in Loop: Header=BB4_1940 Depth=4
	s_or_saveexec_b32 s16, s16
	v_mov_b32_e32 v1, 0x7f800001
	s_xor_b32 exec_lo, exec_lo, s16
	s_cbranch_execz .LBB4_2466
.LBB4_3113:                             ;   in Loop: Header=BB4_1940 Depth=4
	v_cmp_ne_u16_sdwa s73, v12, v2 src0_sel:BYTE_3 src1_sel:DWORD
	v_mov_b32_e32 v1, 0
	s_andn2_b32 s72, s72, exec_lo
	s_and_b32 s73, s73, exec_lo
	s_or_b32 s72, s72, s73
	s_or_b32 exec_lo, exec_lo, s16
	s_and_saveexec_b32 s16, s72
	s_cbranch_execnz .LBB4_2467
	s_branch .LBB4_2468
.LBB4_3114:                             ;   in Loop: Header=BB4_1940 Depth=4
	s_or_saveexec_b32 s16, s16
	v_mov_b32_e32 v4, 0x7f800001
	s_xor_b32 exec_lo, exec_lo, s16
	s_cbranch_execz .LBB4_2480
.LBB4_3115:                             ;   in Loop: Header=BB4_1940 Depth=4
	v_cmp_ne_u16_sdwa s73, v1, v2 src0_sel:BYTE_0 src1_sel:DWORD
	v_mov_b32_e32 v4, 0
	s_andn2_b32 s72, s72, exec_lo
	s_and_b32 s73, s73, exec_lo
	s_or_b32 s72, s72, s73
	s_or_b32 exec_lo, exec_lo, s16
	s_and_saveexec_b32 s16, s72
	s_cbranch_execnz .LBB4_2481
	s_branch .LBB4_2482
.LBB4_3116:                             ;   in Loop: Header=BB4_1940 Depth=4
	s_or_saveexec_b32 s16, s16
	v_mov_b32_e32 v5, 0x7f800001
	s_xor_b32 exec_lo, exec_lo, s16
	s_cbranch_execz .LBB4_2486
.LBB4_3117:                             ;   in Loop: Header=BB4_1940 Depth=4
	v_cmp_ne_u16_sdwa s73, v13, v2 src0_sel:BYTE_0 src1_sel:DWORD
	v_mov_b32_e32 v5, 0
	s_andn2_b32 s72, s72, exec_lo
	s_and_b32 s73, s73, exec_lo
	s_or_b32 s72, s72, s73
	s_or_b32 exec_lo, exec_lo, s16
	s_and_saveexec_b32 s16, s72
	s_cbranch_execnz .LBB4_2487
	s_branch .LBB4_2488
.LBB4_3118:                             ;   in Loop: Header=BB4_1940 Depth=4
	s_or_saveexec_b32 s16, s16
	v_mov_b32_e32 v4, 0x7f800001
	s_xor_b32 exec_lo, exec_lo, s16
	s_cbranch_execz .LBB4_2500
.LBB4_3119:                             ;   in Loop: Header=BB4_1940 Depth=4
	v_cmp_ne_u16_sdwa s73, v1, v2 src0_sel:BYTE_1 src1_sel:DWORD
	v_mov_b32_e32 v4, 0
	s_andn2_b32 s72, s72, exec_lo
	s_and_b32 s73, s73, exec_lo
	s_or_b32 s72, s72, s73
	s_or_b32 exec_lo, exec_lo, s16
	s_and_saveexec_b32 s16, s72
	s_cbranch_execnz .LBB4_2501
	s_branch .LBB4_2502
.LBB4_3120:                             ;   in Loop: Header=BB4_1940 Depth=4
	s_or_saveexec_b32 s16, s16
	v_mov_b32_e32 v5, 0x7f800001
	s_xor_b32 exec_lo, exec_lo, s16
	s_cbranch_execz .LBB4_2506
.LBB4_3121:                             ;   in Loop: Header=BB4_1940 Depth=4
	v_cmp_ne_u16_sdwa s73, v13, v2 src0_sel:BYTE_1 src1_sel:DWORD
	v_mov_b32_e32 v5, 0
	s_andn2_b32 s72, s72, exec_lo
	s_and_b32 s73, s73, exec_lo
	s_or_b32 s72, s72, s73
	s_or_b32 exec_lo, exec_lo, s16
	s_and_saveexec_b32 s16, s72
	s_cbranch_execnz .LBB4_2507
	s_branch .LBB4_2508
.LBB4_3122:                             ;   in Loop: Header=BB4_1940 Depth=4
	s_or_saveexec_b32 s16, s16
	v_mov_b32_e32 v4, 0x7f800001
	s_xor_b32 exec_lo, exec_lo, s16
	s_cbranch_execz .LBB4_2520
.LBB4_3123:                             ;   in Loop: Header=BB4_1940 Depth=4
	v_cmp_ne_u16_sdwa s73, v5, v2 src0_sel:BYTE_0 src1_sel:DWORD
	v_mov_b32_e32 v4, 0
	s_andn2_b32 s72, s72, exec_lo
	s_and_b32 s73, s73, exec_lo
	s_or_b32 s72, s72, s73
	s_or_b32 exec_lo, exec_lo, s16
	v_lshl_or_b32 v1, v5, 16, v1
	s_and_saveexec_b32 s16, s72
	s_cbranch_execnz .LBB4_2521
	s_branch .LBB4_2522
.LBB4_3124:                             ;   in Loop: Header=BB4_1940 Depth=4
	s_or_saveexec_b32 s16, s16
	v_mov_b32_e32 v5, 0x7f800001
	s_xor_b32 exec_lo, exec_lo, s16
	s_cbranch_execz .LBB4_2526
.LBB4_3125:                             ;   in Loop: Header=BB4_1940 Depth=4
	v_cmp_ne_u16_e32 vcc_lo, 0, v16
	v_mov_b32_e32 v5, 0
	s_andn2_b32 s72, s72, exec_lo
	s_and_b32 s73, vcc_lo, exec_lo
	s_or_b32 s72, s72, s73
	s_or_b32 exec_lo, exec_lo, s16
	s_and_saveexec_b32 s16, s72
	s_cbranch_execnz .LBB4_2527
	s_branch .LBB4_2528
.LBB4_3126:                             ;   in Loop: Header=BB4_1940 Depth=4
	s_or_saveexec_b32 s16, s16
	v_mov_b32_e32 v4, 0x7f800001
	s_xor_b32 exec_lo, exec_lo, s16
	s_cbranch_execz .LBB4_2540
.LBB4_3127:                             ;   in Loop: Header=BB4_1940 Depth=4
	v_cmp_ne_u16_sdwa s73, v1, v2 src0_sel:BYTE_3 src1_sel:DWORD
	v_mov_b32_e32 v4, 0
	s_andn2_b32 s72, s72, exec_lo
	s_and_b32 s73, s73, exec_lo
	s_or_b32 s72, s72, s73
	s_or_b32 exec_lo, exec_lo, s16
	s_and_saveexec_b32 s16, s72
	s_cbranch_execnz .LBB4_2541
	s_branch .LBB4_2542
.LBB4_3128:                             ;   in Loop: Header=BB4_1940 Depth=4
	s_or_saveexec_b32 s16, s16
	v_mov_b32_e32 v1, 0x7f800001
	s_xor_b32 exec_lo, exec_lo, s16
	s_cbranch_execz .LBB4_2546
.LBB4_3129:                             ;   in Loop: Header=BB4_1940 Depth=4
	v_cmp_ne_u16_sdwa s73, v13, v2 src0_sel:BYTE_3 src1_sel:DWORD
	v_mov_b32_e32 v1, 0
	s_andn2_b32 s72, s72, exec_lo
	s_and_b32 s73, s73, exec_lo
	s_or_b32 s72, s72, s73
	s_or_b32 exec_lo, exec_lo, s16
	s_and_saveexec_b32 s16, s72
	s_cbranch_execnz .LBB4_2547
	s_branch .LBB4_2548
.LBB4_3130:                             ;   in Loop: Header=BB4_1940 Depth=4
	s_or_saveexec_b32 s72, s72
	v_mov_b32_e32 v4, 0x7f800001
	s_xor_b32 exec_lo, exec_lo, s72
	s_cbranch_execz .LBB4_2560
.LBB4_3131:                             ;   in Loop: Header=BB4_1940 Depth=4
	v_cmp_ne_u16_sdwa s73, v1, v2 src0_sel:BYTE_0 src1_sel:DWORD
	v_mov_b32_e32 v4, 0
	s_andn2_b32 s16, s16, exec_lo
	s_and_b32 s73, s73, exec_lo
	s_or_b32 s16, s16, s73
	s_or_b32 exec_lo, exec_lo, s72
	s_and_saveexec_b32 s72, s16
	s_cbranch_execnz .LBB4_2561
	s_branch .LBB4_2562
.LBB4_3132:                             ;   in Loop: Header=BB4_1940 Depth=4
	s_or_saveexec_b32 s16, s16
	v_mov_b32_e32 v5, 0x7f800001
	s_xor_b32 exec_lo, exec_lo, s16
	s_cbranch_execz .LBB4_2566
.LBB4_3133:                             ;   in Loop: Header=BB4_1940 Depth=4
	v_cmp_ne_u16_sdwa s73, v14, v2 src0_sel:BYTE_0 src1_sel:DWORD
	v_mov_b32_e32 v5, 0
	s_andn2_b32 s72, s72, exec_lo
	s_and_b32 s73, s73, exec_lo
	s_or_b32 s72, s72, s73
	s_or_b32 exec_lo, exec_lo, s16
	s_and_saveexec_b32 s16, s72
	s_cbranch_execnz .LBB4_2567
	s_branch .LBB4_2568
.LBB4_3134:                             ;   in Loop: Header=BB4_1940 Depth=4
	s_or_saveexec_b32 s16, s16
	v_mov_b32_e32 v4, 0x7f800001
	s_xor_b32 exec_lo, exec_lo, s16
	s_cbranch_execz .LBB4_2580
.LBB4_3135:                             ;   in Loop: Header=BB4_1940 Depth=4
	v_cmp_ne_u16_sdwa s73, v1, v2 src0_sel:BYTE_1 src1_sel:DWORD
	v_mov_b32_e32 v4, 0
	s_andn2_b32 s72, s72, exec_lo
	s_and_b32 s73, s73, exec_lo
	s_or_b32 s72, s72, s73
	s_or_b32 exec_lo, exec_lo, s16
	s_and_saveexec_b32 s16, s72
	s_cbranch_execnz .LBB4_2581
	s_branch .LBB4_2582
.LBB4_3136:                             ;   in Loop: Header=BB4_1940 Depth=4
	s_or_saveexec_b32 s16, s16
	v_mov_b32_e32 v5, 0x7f800001
	s_xor_b32 exec_lo, exec_lo, s16
	s_cbranch_execz .LBB4_2586
.LBB4_3137:                             ;   in Loop: Header=BB4_1940 Depth=4
	v_cmp_ne_u16_sdwa s73, v14, v2 src0_sel:BYTE_1 src1_sel:DWORD
	v_mov_b32_e32 v5, 0
	s_andn2_b32 s72, s72, exec_lo
	s_and_b32 s73, s73, exec_lo
	s_or_b32 s72, s72, s73
	s_or_b32 exec_lo, exec_lo, s16
	s_and_saveexec_b32 s16, s72
	s_cbranch_execnz .LBB4_2587
	s_branch .LBB4_2588
.LBB4_3138:                             ;   in Loop: Header=BB4_1940 Depth=4
	s_or_saveexec_b32 s72, s72
	v_mov_b32_e32 v4, 0x7f800001
	s_xor_b32 exec_lo, exec_lo, s72
	s_cbranch_execz .LBB4_2600
.LBB4_3139:                             ;   in Loop: Header=BB4_1940 Depth=4
	v_cmp_ne_u16_sdwa s73, v5, v2 src0_sel:BYTE_0 src1_sel:DWORD
	v_mov_b32_e32 v4, 0
	s_andn2_b32 s16, s16, exec_lo
	s_and_b32 s73, s73, exec_lo
	s_or_b32 s16, s16, s73
	s_or_b32 exec_lo, exec_lo, s72
	v_lshl_or_b32 v1, v5, 16, v1
	s_and_saveexec_b32 s72, s16
	s_cbranch_execnz .LBB4_2601
	s_branch .LBB4_2602
.LBB4_3140:                             ;   in Loop: Header=BB4_1940 Depth=4
	s_or_saveexec_b32 s16, s16
	v_mov_b32_e32 v5, 0x7f800001
	s_xor_b32 exec_lo, exec_lo, s16
	s_cbranch_execz .LBB4_2606
.LBB4_3141:                             ;   in Loop: Header=BB4_1940 Depth=4
	v_cmp_ne_u16_e32 vcc_lo, 0, v16
	v_mov_b32_e32 v5, 0
	s_andn2_b32 s72, s72, exec_lo
	s_and_b32 s73, vcc_lo, exec_lo
	s_or_b32 s72, s72, s73
	s_or_b32 exec_lo, exec_lo, s16
	s_and_saveexec_b32 s16, s72
	s_cbranch_execnz .LBB4_2607
	s_branch .LBB4_2608
.LBB4_3142:                             ;   in Loop: Header=BB4_1940 Depth=4
	s_or_saveexec_b32 s72, s72
	v_mov_b32_e32 v4, 0x7f800001
	s_xor_b32 exec_lo, exec_lo, s72
	s_cbranch_execz .LBB4_2620
.LBB4_3143:                             ;   in Loop: Header=BB4_1940 Depth=4
	v_cmp_ne_u16_sdwa s73, v1, v2 src0_sel:BYTE_3 src1_sel:DWORD
	v_mov_b32_e32 v4, 0
	s_andn2_b32 s16, s16, exec_lo
	s_and_b32 s73, s73, exec_lo
	s_or_b32 s16, s16, s73
	s_or_b32 exec_lo, exec_lo, s72
	s_and_saveexec_b32 s72, s16
	s_cbranch_execnz .LBB4_2621
	s_branch .LBB4_2622
.LBB4_3144:                             ;   in Loop: Header=BB4_1940 Depth=4
	s_or_saveexec_b32 s72, s72
	v_mov_b32_e32 v1, 0x7f800001
	s_xor_b32 exec_lo, exec_lo, s72
	s_cbranch_execz .LBB4_2626
.LBB4_3145:                             ;   in Loop: Header=BB4_1940 Depth=4
	v_cmp_ne_u16_sdwa s73, v14, v2 src0_sel:BYTE_3 src1_sel:DWORD
	v_mov_b32_e32 v1, 0
	s_andn2_b32 s16, s16, exec_lo
	s_and_b32 s73, s73, exec_lo
	s_or_b32 s16, s16, s73
	s_or_b32 exec_lo, exec_lo, s72
	s_and_saveexec_b32 s72, s16
	s_cbranch_execnz .LBB4_2627
	s_branch .LBB4_2628
.LBB4_3146:                             ;   in Loop: Header=BB4_1940 Depth=4
	s_or_saveexec_b32 s72, s72
	v_mov_b32_e32 v4, 0x7f800001
	s_xor_b32 exec_lo, exec_lo, s72
	s_cbranch_execz .LBB4_2640
.LBB4_3147:                             ;   in Loop: Header=BB4_1940 Depth=4
	v_cmp_ne_u16_sdwa s73, v1, v2 src0_sel:BYTE_0 src1_sel:DWORD
	v_mov_b32_e32 v4, 0
	s_andn2_b32 s16, s16, exec_lo
	s_and_b32 s73, s73, exec_lo
	s_or_b32 s16, s16, s73
	s_or_b32 exec_lo, exec_lo, s72
	s_and_saveexec_b32 s72, s16
	s_cbranch_execnz .LBB4_2641
	s_branch .LBB4_2642
.LBB4_3148:                             ;   in Loop: Header=BB4_1940 Depth=4
	s_or_saveexec_b32 s72, s72
	v_mov_b32_e32 v5, 0x7f800001
	s_xor_b32 exec_lo, exec_lo, s72
	s_cbranch_execz .LBB4_2646
.LBB4_3149:                             ;   in Loop: Header=BB4_1940 Depth=4
	v_cmp_ne_u16_sdwa s73, v15, v2 src0_sel:BYTE_0 src1_sel:DWORD
	v_mov_b32_e32 v5, 0
	s_andn2_b32 s16, s16, exec_lo
	s_and_b32 s73, s73, exec_lo
	s_or_b32 s16, s16, s73
	s_or_b32 exec_lo, exec_lo, s72
	s_and_saveexec_b32 s72, s16
	s_cbranch_execnz .LBB4_2647
	s_branch .LBB4_2648
.LBB4_3150:                             ;   in Loop: Header=BB4_1940 Depth=4
	s_or_saveexec_b32 s72, s72
	v_mov_b32_e32 v4, 0x7f800001
	s_xor_b32 exec_lo, exec_lo, s72
	s_cbranch_execz .LBB4_2660
.LBB4_3151:                             ;   in Loop: Header=BB4_1940 Depth=4
	v_cmp_ne_u16_sdwa s73, v1, v2 src0_sel:BYTE_1 src1_sel:DWORD
	v_mov_b32_e32 v4, 0
	s_andn2_b32 s16, s16, exec_lo
	s_and_b32 s73, s73, exec_lo
	s_or_b32 s16, s16, s73
	s_or_b32 exec_lo, exec_lo, s72
	s_and_saveexec_b32 s72, s16
	s_cbranch_execnz .LBB4_2661
	s_branch .LBB4_2662
.LBB4_3152:                             ;   in Loop: Header=BB4_1940 Depth=4
	s_or_saveexec_b32 s16, s16
	v_mov_b32_e32 v5, 0x7f800001
	s_xor_b32 exec_lo, exec_lo, s16
	s_cbranch_execz .LBB4_2666
.LBB4_3153:                             ;   in Loop: Header=BB4_1940 Depth=4
	v_cmp_ne_u16_sdwa s73, v15, v2 src0_sel:BYTE_1 src1_sel:DWORD
	v_mov_b32_e32 v5, 0
	s_andn2_b32 s72, s72, exec_lo
	s_and_b32 s73, s73, exec_lo
	s_or_b32 s72, s72, s73
	s_or_b32 exec_lo, exec_lo, s16
	s_and_saveexec_b32 s16, s72
	s_cbranch_execnz .LBB4_2667
	s_branch .LBB4_2668
.LBB4_3154:                             ;   in Loop: Header=BB4_1940 Depth=4
	s_or_saveexec_b32 s72, s72
	v_mov_b32_e32 v4, 0x7f800001
	s_xor_b32 exec_lo, exec_lo, s72
	s_cbranch_execz .LBB4_2680
.LBB4_3155:                             ;   in Loop: Header=BB4_1940 Depth=4
	v_cmp_ne_u16_sdwa s73, v5, v2 src0_sel:BYTE_0 src1_sel:DWORD
	v_mov_b32_e32 v4, 0
	s_andn2_b32 s16, s16, exec_lo
	s_and_b32 s73, s73, exec_lo
	s_or_b32 s16, s16, s73
	s_or_b32 exec_lo, exec_lo, s72
	v_lshl_or_b32 v1, v5, 16, v1
	s_and_saveexec_b32 s72, s16
	s_cbranch_execnz .LBB4_2681
	s_branch .LBB4_2682
.LBB4_3156:                             ;   in Loop: Header=BB4_1940 Depth=4
	s_or_saveexec_b32 s72, s72
	v_mov_b32_e32 v5, 0x7f800001
	s_xor_b32 exec_lo, exec_lo, s72
	s_cbranch_execz .LBB4_2686
.LBB4_3157:                             ;   in Loop: Header=BB4_1940 Depth=4
	v_cmp_ne_u16_e32 vcc_lo, 0, v17
	v_mov_b32_e32 v5, 0
	s_andn2_b32 s16, s16, exec_lo
	s_and_b32 s73, vcc_lo, exec_lo
	s_or_b32 s16, s16, s73
	s_or_b32 exec_lo, exec_lo, s72
	s_and_saveexec_b32 s72, s16
	s_cbranch_execnz .LBB4_2687
	s_branch .LBB4_2688
.LBB4_3158:                             ;   in Loop: Header=BB4_1940 Depth=4
	s_or_saveexec_b32 s72, s72
	v_mov_b32_e32 v4, 0x7f800001
	s_xor_b32 exec_lo, exec_lo, s72
	s_cbranch_execz .LBB4_2700
.LBB4_3159:                             ;   in Loop: Header=BB4_1940 Depth=4
	v_cmp_ne_u16_sdwa s73, v1, v2 src0_sel:BYTE_3 src1_sel:DWORD
	v_mov_b32_e32 v4, 0
	s_andn2_b32 s16, s16, exec_lo
	s_and_b32 s73, s73, exec_lo
	s_or_b32 s16, s16, s73
	s_or_b32 exec_lo, exec_lo, s72
	s_and_saveexec_b32 s72, s16
	s_cbranch_execnz .LBB4_2701
	s_branch .LBB4_2702
.LBB4_3160:                             ;   in Loop: Header=BB4_1940 Depth=4
	s_or_saveexec_b32 s72, s72
	v_mov_b32_e32 v1, 0x7f800001
	s_xor_b32 exec_lo, exec_lo, s72
	s_cbranch_execz .LBB4_2706
.LBB4_3161:                             ;   in Loop: Header=BB4_1940 Depth=4
	v_cmp_ne_u16_sdwa s73, v15, v2 src0_sel:BYTE_3 src1_sel:DWORD
	v_mov_b32_e32 v1, 0
	s_andn2_b32 s16, s16, exec_lo
	s_and_b32 s73, s73, exec_lo
	s_or_b32 s16, s16, s73
	s_or_b32 exec_lo, exec_lo, s72
	s_and_saveexec_b32 s72, s16
	s_cbranch_execnz .LBB4_2707
	s_branch .LBB4_2708
.LBB4_3162:                             ;   in Loop: Header=BB4_1940 Depth=4
	s_or_saveexec_b32 s72, s72
	v_mov_b32_e32 v4, 0x7f800001
	s_xor_b32 exec_lo, exec_lo, s72
	s_cbranch_execz .LBB4_2720
.LBB4_3163:                             ;   in Loop: Header=BB4_1940 Depth=4
	v_cmp_ne_u16_sdwa s73, v1, v2 src0_sel:BYTE_0 src1_sel:DWORD
	v_mov_b32_e32 v4, 0
	s_andn2_b32 s16, s16, exec_lo
	s_and_b32 s73, s73, exec_lo
	s_or_b32 s16, s16, s73
	s_or_b32 exec_lo, exec_lo, s72
	s_and_saveexec_b32 s72, s16
	s_cbranch_execnz .LBB4_2721
	s_branch .LBB4_2722
.LBB4_3164:                             ;   in Loop: Header=BB4_1940 Depth=4
	s_or_saveexec_b32 s72, s72
	v_mov_b32_e32 v5, 0x7f800001
	s_xor_b32 exec_lo, exec_lo, s72
	s_cbranch_execz .LBB4_2726
.LBB4_3165:                             ;   in Loop: Header=BB4_1940 Depth=4
	v_cmp_ne_u16_sdwa s73, v8, v2 src0_sel:BYTE_0 src1_sel:DWORD
	v_mov_b32_e32 v5, 0
	s_andn2_b32 s16, s16, exec_lo
	s_and_b32 s73, s73, exec_lo
	s_or_b32 s16, s16, s73
	s_or_b32 exec_lo, exec_lo, s72
	s_and_saveexec_b32 s72, s16
	s_cbranch_execnz .LBB4_2727
	s_branch .LBB4_2728
.LBB4_3166:                             ;   in Loop: Header=BB4_1940 Depth=4
	s_or_saveexec_b32 s72, s72
	v_mov_b32_e32 v4, 0x7f800001
	s_xor_b32 exec_lo, exec_lo, s72
	s_cbranch_execz .LBB4_2740
.LBB4_3167:                             ;   in Loop: Header=BB4_1940 Depth=4
	v_cmp_ne_u16_sdwa s73, v1, v2 src0_sel:BYTE_1 src1_sel:DWORD
	v_mov_b32_e32 v4, 0
	s_andn2_b32 s16, s16, exec_lo
	s_and_b32 s73, s73, exec_lo
	s_or_b32 s16, s16, s73
	s_or_b32 exec_lo, exec_lo, s72
	s_and_saveexec_b32 s72, s16
	s_cbranch_execnz .LBB4_2741
	s_branch .LBB4_2742
.LBB4_3168:                             ;   in Loop: Header=BB4_1940 Depth=4
	s_or_saveexec_b32 s72, s72
	v_mov_b32_e32 v5, 0x7f800001
	s_xor_b32 exec_lo, exec_lo, s72
	s_cbranch_execz .LBB4_2746
.LBB4_3169:                             ;   in Loop: Header=BB4_1940 Depth=4
	v_cmp_ne_u16_sdwa s73, v8, v2 src0_sel:BYTE_1 src1_sel:DWORD
	v_mov_b32_e32 v5, 0
	s_andn2_b32 s16, s16, exec_lo
	s_and_b32 s73, s73, exec_lo
	s_or_b32 s16, s16, s73
	s_or_b32 exec_lo, exec_lo, s72
	s_and_saveexec_b32 s72, s16
	s_cbranch_execnz .LBB4_2747
	s_branch .LBB4_2748
.LBB4_3170:                             ;   in Loop: Header=BB4_1940 Depth=4
	s_or_saveexec_b32 s72, s72
	v_mov_b32_e32 v4, 0x7f800001
	s_xor_b32 exec_lo, exec_lo, s72
	s_cbranch_execz .LBB4_2760
.LBB4_3171:                             ;   in Loop: Header=BB4_1940 Depth=4
	v_cmp_ne_u16_sdwa s73, v5, v2 src0_sel:BYTE_0 src1_sel:DWORD
	v_mov_b32_e32 v4, 0
	s_andn2_b32 s16, s16, exec_lo
	s_and_b32 s73, s73, exec_lo
	s_or_b32 s16, s16, s73
	s_or_b32 exec_lo, exec_lo, s72
	v_lshl_or_b32 v1, v5, 16, v1
	s_and_saveexec_b32 s72, s16
	s_cbranch_execnz .LBB4_2761
	s_branch .LBB4_2762
.LBB4_3172:                             ;   in Loop: Header=BB4_1940 Depth=4
	s_or_saveexec_b32 s72, s72
	v_mov_b32_e32 v5, 0x7f800001
	s_xor_b32 exec_lo, exec_lo, s72
	s_cbranch_execz .LBB4_2766
.LBB4_3173:                             ;   in Loop: Header=BB4_1940 Depth=4
	v_cmp_ne_u16_e32 vcc_lo, 0, v31
	v_mov_b32_e32 v5, 0
	s_andn2_b32 s16, s16, exec_lo
	s_and_b32 s73, vcc_lo, exec_lo
	s_or_b32 s16, s16, s73
	s_or_b32 exec_lo, exec_lo, s72
	s_and_saveexec_b32 s72, s16
	s_cbranch_execnz .LBB4_2767
	s_branch .LBB4_2768
.LBB4_3174:                             ;   in Loop: Header=BB4_1940 Depth=4
	s_or_saveexec_b32 s72, s72
	v_mov_b32_e32 v5, 0x7f800001
	s_xor_b32 exec_lo, exec_lo, s72
	s_cbranch_execz .LBB4_2780
.LBB4_3175:                             ;   in Loop: Header=BB4_1940 Depth=4
	v_cmp_ne_u16_sdwa s73, v1, v2 src0_sel:BYTE_3 src1_sel:DWORD
	v_mov_b32_e32 v5, 0
	s_andn2_b32 s16, s16, exec_lo
	s_and_b32 s73, s73, exec_lo
	s_or_b32 s16, s16, s73
	s_or_b32 exec_lo, exec_lo, s72
	s_and_saveexec_b32 s72, s16
	s_cbranch_execnz .LBB4_2781
	s_branch .LBB4_2782
.LBB4_3176:                             ;   in Loop: Header=BB4_1940 Depth=4
	s_or_saveexec_b32 s72, s72
	v_mov_b32_e32 v1, 0x7f800001
	s_xor_b32 exec_lo, exec_lo, s72
	s_cbranch_execz .LBB4_2786
.LBB4_3177:                             ;   in Loop: Header=BB4_1940 Depth=4
	v_cmp_ne_u16_sdwa s73, v8, v2 src0_sel:BYTE_3 src1_sel:DWORD
	v_mov_b32_e32 v1, 0
	s_andn2_b32 s16, s16, exec_lo
	s_and_b32 s73, s73, exec_lo
	s_or_b32 s16, s16, s73
	s_or_b32 exec_lo, exec_lo, s72
	s_and_saveexec_b32 s72, s16
	s_cbranch_execnz .LBB4_2787
	s_branch .LBB4_2788
.LBB4_3178:                             ;   in Loop: Header=BB4_1940 Depth=4
	s_or_saveexec_b32 s72, s72
	v_mov_b32_e32 v8, 0x7f800001
	s_xor_b32 exec_lo, exec_lo, s72
	s_cbranch_execz .LBB4_2800
.LBB4_3179:                             ;   in Loop: Header=BB4_1940 Depth=4
	v_cmp_ne_u16_sdwa s73, v1, v2 src0_sel:BYTE_0 src1_sel:DWORD
	v_mov_b32_e32 v8, 0
	s_andn2_b32 s16, s16, exec_lo
	s_and_b32 s73, s73, exec_lo
	s_or_b32 s16, s16, s73
	s_or_b32 exec_lo, exec_lo, s72
	s_and_saveexec_b32 s72, s16
	s_cbranch_execnz .LBB4_2801
	s_branch .LBB4_2802
.LBB4_3180:                             ;   in Loop: Header=BB4_1940 Depth=4
	s_or_saveexec_b32 s72, s72
	v_mov_b32_e32 v31, 0x7f800001
	s_xor_b32 exec_lo, exec_lo, s72
	s_cbranch_execz .LBB4_2806
.LBB4_3181:                             ;   in Loop: Header=BB4_1940 Depth=4
	v_cmp_ne_u16_sdwa s73, v9, v2 src0_sel:BYTE_0 src1_sel:DWORD
	v_mov_b32_e32 v31, 0
	s_andn2_b32 s16, s16, exec_lo
	s_and_b32 s73, s73, exec_lo
	s_or_b32 s16, s16, s73
	s_or_b32 exec_lo, exec_lo, s72
	s_and_saveexec_b32 s72, s16
	s_cbranch_execnz .LBB4_2807
	s_branch .LBB4_2808
.LBB4_3182:                             ;   in Loop: Header=BB4_1940 Depth=4
	s_or_saveexec_b32 s72, s72
	v_mov_b32_e32 v31, 0x7f800001
	s_xor_b32 exec_lo, exec_lo, s72
	s_cbranch_execz .LBB4_2820
.LBB4_3183:                             ;   in Loop: Header=BB4_1940 Depth=4
	v_cmp_ne_u16_sdwa s73, v1, v2 src0_sel:BYTE_1 src1_sel:DWORD
	v_mov_b32_e32 v31, 0
	s_andn2_b32 s16, s16, exec_lo
	s_and_b32 s73, s73, exec_lo
	s_or_b32 s16, s16, s73
	s_or_b32 exec_lo, exec_lo, s72
	s_and_saveexec_b32 s72, s16
	s_cbranch_execnz .LBB4_2821
	s_branch .LBB4_2822
.LBB4_3184:                             ;   in Loop: Header=BB4_1940 Depth=4
	s_or_saveexec_b32 s72, s72
	v_mov_b32_e32 v34, 0x7f800001
	s_xor_b32 exec_lo, exec_lo, s72
	s_cbranch_execz .LBB4_2826
.LBB4_3185:                             ;   in Loop: Header=BB4_1940 Depth=4
	v_cmp_ne_u16_sdwa s73, v9, v2 src0_sel:BYTE_1 src1_sel:DWORD
	v_mov_b32_e32 v34, 0
	s_andn2_b32 s16, s16, exec_lo
	s_and_b32 s73, s73, exec_lo
	s_or_b32 s16, s16, s73
	s_or_b32 exec_lo, exec_lo, s72
	s_and_saveexec_b32 s72, s16
	s_cbranch_execnz .LBB4_2827
	s_branch .LBB4_2828
.LBB4_3186:                             ;   in Loop: Header=BB4_1940 Depth=4
	s_or_saveexec_b32 s72, s72
	v_mov_b32_e32 v31, 0x7f800001
	s_xor_b32 exec_lo, exec_lo, s72
	s_cbranch_execz .LBB4_2840
.LBB4_3187:                             ;   in Loop: Header=BB4_1940 Depth=4
	v_cmp_ne_u16_sdwa s73, v35, v2 src0_sel:BYTE_0 src1_sel:DWORD
	v_mov_b32_e32 v31, 0
	s_andn2_b32 s16, s16, exec_lo
	s_and_b32 s73, s73, exec_lo
	s_or_b32 s16, s16, s73
	s_or_b32 exec_lo, exec_lo, s72
	v_lshl_or_b32 v1, v35, 16, v1
	s_and_saveexec_b32 s72, s16
	s_cbranch_execnz .LBB4_2841
	s_branch .LBB4_2842
.LBB4_3188:                             ;   in Loop: Header=BB4_1940 Depth=4
	s_or_saveexec_b32 s72, s72
	v_mov_b32_e32 v35, 0x7f800001
	s_xor_b32 exec_lo, exec_lo, s72
	s_cbranch_execz .LBB4_2846
.LBB4_3189:                             ;   in Loop: Header=BB4_1940 Depth=4
	v_cmp_ne_u16_e32 vcc_lo, 0, v36
	v_mov_b32_e32 v35, 0
	s_andn2_b32 s16, s16, exec_lo
	s_and_b32 s73, vcc_lo, exec_lo
	s_or_b32 s16, s16, s73
	s_or_b32 exec_lo, exec_lo, s72
	s_and_saveexec_b32 s72, s16
	s_cbranch_execnz .LBB4_2847
	s_branch .LBB4_2848
.LBB4_3190:                             ;   in Loop: Header=BB4_1940 Depth=4
	s_or_saveexec_b32 s72, s72
	v_mov_b32_e32 v31, 0x7f800001
	s_xor_b32 exec_lo, exec_lo, s72
	s_cbranch_execz .LBB4_2860
.LBB4_3191:                             ;   in Loop: Header=BB4_1940 Depth=4
	v_cmp_ne_u16_sdwa s73, v1, v2 src0_sel:BYTE_3 src1_sel:DWORD
	v_mov_b32_e32 v31, 0
	s_andn2_b32 s16, s16, exec_lo
	s_and_b32 s73, s73, exec_lo
	s_or_b32 s16, s16, s73
	s_or_b32 exec_lo, exec_lo, s72
	s_and_saveexec_b32 s72, s16
	s_cbranch_execnz .LBB4_2861
	s_branch .LBB4_2862
.LBB4_3192:                             ;   in Loop: Header=BB4_1940 Depth=4
	s_or_saveexec_b32 s72, s72
	v_mov_b32_e32 v1, 0x7f800001
	s_xor_b32 exec_lo, exec_lo, s72
	s_cbranch_execz .LBB4_2866
.LBB4_3193:                             ;   in Loop: Header=BB4_1940 Depth=4
	v_cmp_ne_u16_sdwa s73, v9, v2 src0_sel:BYTE_3 src1_sel:DWORD
	v_mov_b32_e32 v1, 0
	s_andn2_b32 s16, s16, exec_lo
	s_and_b32 s73, s73, exec_lo
	s_or_b32 s16, s16, s73
	s_or_b32 exec_lo, exec_lo, s72
	s_and_saveexec_b32 s72, s16
	s_cbranch_execnz .LBB4_2867
	s_branch .LBB4_2868
.LBB4_3194:                             ;   in Loop: Header=BB4_1940 Depth=4
	s_or_saveexec_b32 s72, s72
	v_mov_b32_e32 v31, 0x7f800001
	s_xor_b32 exec_lo, exec_lo, s72
	s_cbranch_execz .LBB4_2880
.LBB4_3195:                             ;   in Loop: Header=BB4_1940 Depth=4
	v_cmp_ne_u16_sdwa s73, v1, v2 src0_sel:BYTE_0 src1_sel:DWORD
	v_mov_b32_e32 v31, 0
	s_andn2_b32 s16, s16, exec_lo
	s_and_b32 s73, s73, exec_lo
	s_or_b32 s16, s16, s73
	s_or_b32 exec_lo, exec_lo, s72
	s_and_saveexec_b32 s72, s16
	s_cbranch_execnz .LBB4_2881
	s_branch .LBB4_2882
.LBB4_3196:                             ;   in Loop: Header=BB4_1940 Depth=4
	s_or_saveexec_b32 s72, s72
	v_mov_b32_e32 v36, 0x7f800001
	s_xor_b32 exec_lo, exec_lo, s72
	s_cbranch_execz .LBB4_2886
.LBB4_3197:                             ;   in Loop: Header=BB4_1940 Depth=4
	v_cmp_ne_u16_sdwa s73, v10, v2 src0_sel:BYTE_0 src1_sel:DWORD
	v_mov_b32_e32 v36, 0
	s_andn2_b32 s16, s16, exec_lo
	s_and_b32 s73, s73, exec_lo
	s_or_b32 s16, s16, s73
	s_or_b32 exec_lo, exec_lo, s72
	s_and_saveexec_b32 s72, s16
	s_cbranch_execnz .LBB4_2887
	s_branch .LBB4_2888
.LBB4_3198:                             ;   in Loop: Header=BB4_1940 Depth=4
	s_or_saveexec_b32 s72, s72
	v_mov_b32_e32 v31, 0x7f800001
	s_xor_b32 exec_lo, exec_lo, s72
	s_cbranch_execz .LBB4_2900
.LBB4_3199:                             ;   in Loop: Header=BB4_1940 Depth=4
	v_cmp_ne_u16_sdwa s73, v1, v2 src0_sel:BYTE_1 src1_sel:DWORD
	v_mov_b32_e32 v31, 0
	s_andn2_b32 s16, s16, exec_lo
	s_and_b32 s73, s73, exec_lo
	s_or_b32 s16, s16, s73
	s_or_b32 exec_lo, exec_lo, s72
	s_and_saveexec_b32 s72, s16
	s_cbranch_execnz .LBB4_2901
	s_branch .LBB4_2902
.LBB4_3200:                             ;   in Loop: Header=BB4_1940 Depth=4
	s_or_saveexec_b32 s72, s72
	v_mov_b32_e32 v37, 0x7f800001
	s_xor_b32 exec_lo, exec_lo, s72
	s_cbranch_execz .LBB4_2906
.LBB4_3201:                             ;   in Loop: Header=BB4_1940 Depth=4
	v_cmp_ne_u16_sdwa s73, v10, v2 src0_sel:BYTE_1 src1_sel:DWORD
	v_mov_b32_e32 v37, 0
	s_andn2_b32 s16, s16, exec_lo
	s_and_b32 s73, s73, exec_lo
	s_or_b32 s16, s16, s73
	s_or_b32 exec_lo, exec_lo, s72
	s_and_saveexec_b32 s72, s16
	s_cbranch_execnz .LBB4_2907
	s_branch .LBB4_2908
.LBB4_3202:                             ;   in Loop: Header=BB4_1940 Depth=4
	s_or_saveexec_b32 s72, s72
	v_mov_b32_e32 v50, 0x7f800001
	s_xor_b32 exec_lo, exec_lo, s72
	s_cbranch_execz .LBB4_2920
.LBB4_3203:                             ;   in Loop: Header=BB4_1940 Depth=4
	v_cmp_ne_u16_sdwa s73, v37, v2 src0_sel:BYTE_0 src1_sel:DWORD
	v_mov_b32_e32 v50, 0
	s_andn2_b32 s16, s16, exec_lo
	s_and_b32 s73, s73, exec_lo
	s_or_b32 s16, s16, s73
	s_or_b32 exec_lo, exec_lo, s72
	v_lshl_or_b32 v37, v37, 16, v1
	s_and_saveexec_b32 s72, s16
	s_cbranch_execnz .LBB4_2921
	s_branch .LBB4_2922
.LBB4_3204:                             ;   in Loop: Header=BB4_1940 Depth=4
	s_or_saveexec_b32 s72, s72
	v_mov_b32_e32 v1, 0x7f800001
	s_xor_b32 exec_lo, exec_lo, s72
	s_cbranch_execz .LBB4_2926
.LBB4_3205:                             ;   in Loop: Header=BB4_1940 Depth=4
	v_cmp_ne_u16_e32 vcc_lo, 0, v51
	v_mov_b32_e32 v1, 0
	s_andn2_b32 s16, s16, exec_lo
	s_and_b32 s73, vcc_lo, exec_lo
	s_or_b32 s16, s16, s73
	s_or_b32 exec_lo, exec_lo, s72
	s_and_saveexec_b32 s72, s16
	s_cbranch_execnz .LBB4_2927
	s_branch .LBB4_2928
.LBB4_3206:                             ;   in Loop: Header=BB4_1940 Depth=4
	s_or_saveexec_b32 s72, s72
	v_mov_b32_e32 v50, 0x7f800001
	s_xor_b32 exec_lo, exec_lo, s72
	s_cbranch_execz .LBB4_2940
.LBB4_3207:                             ;   in Loop: Header=BB4_1940 Depth=4
	v_cmp_ne_u16_sdwa s73, v37, v2 src0_sel:BYTE_3 src1_sel:DWORD
	v_mov_b32_e32 v50, 0
	s_andn2_b32 s16, s16, exec_lo
	s_and_b32 s73, s73, exec_lo
	s_or_b32 s16, s16, s73
	s_or_b32 exec_lo, exec_lo, s72
	s_and_saveexec_b32 s72, s16
	s_cbranch_execnz .LBB4_2941
	s_branch .LBB4_2942
.LBB4_3208:                             ;   in Loop: Header=BB4_1940 Depth=4
	s_or_saveexec_b32 s72, s72
	v_mov_b32_e32 v37, 0x7f800001
	s_xor_b32 exec_lo, exec_lo, s72
	s_cbranch_execz .LBB4_2946
.LBB4_3209:                             ;   in Loop: Header=BB4_1940 Depth=4
	v_cmp_ne_u16_sdwa s73, v10, v2 src0_sel:BYTE_3 src1_sel:DWORD
	v_mov_b32_e32 v37, 0
	s_andn2_b32 s16, s16, exec_lo
	s_and_b32 s73, s73, exec_lo
	s_or_b32 s16, s16, s73
	s_or_b32 exec_lo, exec_lo, s72
	s_and_saveexec_b32 s72, s16
	s_cbranch_execnz .LBB4_2947
	s_branch .LBB4_2948
.LBB4_3210:                             ;   in Loop: Header=BB4_1940 Depth=4
	s_or_saveexec_b32 s72, s72
	v_mov_b32_e32 v37, 0x7f800001
	s_xor_b32 exec_lo, exec_lo, s72
	s_cbranch_execz .LBB4_2960
.LBB4_3211:                             ;   in Loop: Header=BB4_1940 Depth=4
	v_cmp_ne_u16_sdwa s73, v96, v2 src0_sel:BYTE_0 src1_sel:DWORD
	v_mov_b32_e32 v37, 0
	s_andn2_b32 s16, s16, exec_lo
	s_and_b32 s73, s73, exec_lo
	s_or_b32 s16, s16, s73
	s_or_b32 exec_lo, exec_lo, s72
	s_and_saveexec_b32 s72, s16
	s_cbranch_execnz .LBB4_2961
	s_branch .LBB4_2962
.LBB4_3212:                             ;   in Loop: Header=BB4_1940 Depth=4
	s_or_saveexec_b32 s72, s72
	v_mov_b32_e32 v50, 0x7f800001
	s_xor_b32 exec_lo, exec_lo, s72
	s_cbranch_execz .LBB4_2966
.LBB4_3213:                             ;   in Loop: Header=BB4_1940 Depth=4
	v_cmp_ne_u16_sdwa s73, v11, v2 src0_sel:BYTE_0 src1_sel:DWORD
	v_mov_b32_e32 v50, 0
	s_andn2_b32 s16, s16, exec_lo
	s_and_b32 s73, s73, exec_lo
	s_or_b32 s16, s16, s73
	s_or_b32 exec_lo, exec_lo, s72
	s_and_saveexec_b32 s72, s16
	s_cbranch_execnz .LBB4_2967
	s_branch .LBB4_2968
.LBB4_3214:                             ;   in Loop: Header=BB4_1940 Depth=4
	s_or_saveexec_b32 s72, s72
	v_mov_b32_e32 v50, 0x7f800001
	s_xor_b32 exec_lo, exec_lo, s72
	s_cbranch_execz .LBB4_2980
.LBB4_3215:                             ;   in Loop: Header=BB4_1940 Depth=4
	v_cmp_ne_u16_sdwa s73, v96, v2 src0_sel:BYTE_1 src1_sel:DWORD
	v_mov_b32_e32 v50, 0
	s_andn2_b32 s16, s16, exec_lo
	s_and_b32 s73, s73, exec_lo
	s_or_b32 s16, s16, s73
	s_or_b32 exec_lo, exec_lo, s72
	s_and_saveexec_b32 s72, s16
	s_cbranch_execnz .LBB4_2981
	s_branch .LBB4_2982
.LBB4_3216:                             ;   in Loop: Header=BB4_1940 Depth=4
	s_or_saveexec_b32 s72, s72
	v_mov_b32_e32 v51, 0x7f800001
	s_xor_b32 exec_lo, exec_lo, s72
	s_cbranch_execz .LBB4_2986
.LBB4_3217:                             ;   in Loop: Header=BB4_1940 Depth=4
	v_cmp_ne_u16_sdwa s73, v11, v2 src0_sel:BYTE_1 src1_sel:DWORD
	v_mov_b32_e32 v51, 0
	s_andn2_b32 s16, s16, exec_lo
	s_and_b32 s73, s73, exec_lo
	s_or_b32 s16, s16, s73
	s_or_b32 exec_lo, exec_lo, s72
	s_and_saveexec_b32 s72, s16
	s_cbranch_execnz .LBB4_2987
	s_branch .LBB4_2988
.LBB4_3218:                             ;   in Loop: Header=BB4_1940 Depth=4
	s_or_saveexec_b32 s72, s72
	v_mov_b32_e32 v50, 0x7f800001
	s_xor_b32 exec_lo, exec_lo, s72
	s_cbranch_execz .LBB4_3000
.LBB4_3219:                             ;   in Loop: Header=BB4_1940 Depth=4
	v_cmp_ne_u16_sdwa s73, v51, v2 src0_sel:BYTE_0 src1_sel:DWORD
	v_mov_b32_e32 v50, 0
	s_andn2_b32 s16, s16, exec_lo
	s_and_b32 s73, s73, exec_lo
	s_or_b32 s16, s16, s73
	s_or_b32 exec_lo, exec_lo, s72
	v_lshl_or_b32 v51, v51, 16, v96
	s_and_saveexec_b32 s72, s16
	s_cbranch_execnz .LBB4_3001
	s_branch .LBB4_3002
.LBB4_3220:                             ;   in Loop: Header=BB4_1940 Depth=4
	s_or_saveexec_b32 s72, s72
	v_mov_b32_e32 v96, 0x7f800001
	s_xor_b32 exec_lo, exec_lo, s72
	s_cbranch_execz .LBB4_3006
.LBB4_3221:                             ;   in Loop: Header=BB4_1940 Depth=4
	v_cmp_ne_u16_e32 vcc_lo, 0, v40
	v_mov_b32_e32 v96, 0
	s_andn2_b32 s16, s16, exec_lo
	s_and_b32 s73, vcc_lo, exec_lo
	s_or_b32 s16, s16, s73
	s_or_b32 exec_lo, exec_lo, s72
	s_and_saveexec_b32 s72, s16
	s_cbranch_execnz .LBB4_3007
	s_branch .LBB4_3008
.LBB4_3222:                             ;   in Loop: Header=BB4_1940 Depth=4
	s_or_saveexec_b32 s72, s72
	v_mov_b32_e32 v96, 0x7f800001
	s_xor_b32 exec_lo, exec_lo, s72
	s_cbranch_execz .LBB4_3020
.LBB4_3223:                             ;   in Loop: Header=BB4_1940 Depth=4
	v_cmp_ne_u16_sdwa s73, v51, v2 src0_sel:BYTE_3 src1_sel:DWORD
	v_mov_b32_e32 v96, 0
	s_andn2_b32 s16, s16, exec_lo
	s_and_b32 s73, s73, exec_lo
	s_or_b32 s16, s16, s73
	s_or_b32 exec_lo, exec_lo, s72
	s_and_saveexec_b32 s72, s16
	s_cbranch_execnz .LBB4_3021
	s_branch .LBB4_3022
.LBB4_3224:                             ;   in Loop: Header=BB4_1940 Depth=4
	s_or_saveexec_b32 s72, s72
	v_mov_b32_e32 v51, 0x7f800001
	s_xor_b32 exec_lo, exec_lo, s72
	s_cbranch_execz .LBB4_3026
.LBB4_3225:                             ;   in Loop: Header=BB4_1940 Depth=4
	v_cmp_ne_u16_sdwa s73, v11, v2 src0_sel:BYTE_3 src1_sel:DWORD
	v_mov_b32_e32 v51, 0
	s_andn2_b32 s16, s16, exec_lo
	s_and_b32 s73, s73, exec_lo
	s_or_b32 s16, s16, s73
	s_or_b32 exec_lo, exec_lo, s72
	s_and_saveexec_b32 s72, s16
	s_cbranch_execnz .LBB4_3027
	s_branch .LBB4_3028
.LBB4_3226:                             ;   in Loop: Header=BB4_1856 Depth=3
	s_or_b32 exec_lo, exec_lo, s61
.LBB4_3227:                             ;   in Loop: Header=BB4_1856 Depth=3
	s_or_b32 exec_lo, exec_lo, s17
	v_lshlrev_b32_e32 v71, 10, v59
	v_mov_b32_e32 v68, 0
	s_mov_b32 s16, 0
	s_mov_b32 s61, exec_lo
                                        ; implicit-def: $vgpr69
                                        ; implicit-def: $vgpr70
	v_cmpx_ne_u32_e64 v3, v71
	s_cbranch_execz .LBB4_3881
; %bb.3228:                             ;   in Loop: Header=BB4_1856 Depth=3
	v_lshlrev_b32_e32 v1, 5, v53
	v_and_b32_e32 v4, 31, v0
	v_sub_nc_u32_e32 v5, v3, v71
	s_mov_b32 s62, exec_lo
	v_sub_nc_u32_e32 v1, v4, v1
	v_ashrrev_i32_e32 v8, 31, v5
	v_ashrrev_i32_e32 v4, 31, v1
	v_lshrrev_b32_e32 v8, 23, v8
	v_lshrrev_b32_e32 v4, 27, v4
	v_add_nc_u32_e32 v8, v5, v8
	v_add_nc_u32_e32 v4, v1, v4
	v_and_b32_e32 v70, 0xfffffe00, v8
	v_ashrrev_i32_e32 v8, 9, v8
	v_and_b32_e32 v9, 0xffffffe0, v4
	v_sub_nc_u32_e32 v80, v5, v70
	v_ashrrev_i32_e32 v4, 5, v4
	v_sub_nc_u32_e32 v53, v1, v9
	v_cmp_lt_i32_e64 s16, 15, v80
	v_lshlrev_b32_e32 v1, 4, v53
	v_add_co_ci_u32_e64 v8, null, 0, v8, s16
	v_lshl_add_u32 v1, v4, 9, v1
	v_sub_nc_u32_e32 v81, v8, v4
	v_sub_nc_u32_e32 v59, v5, v1
	v_cmpx_lt_i32_e32 15, v59
	s_cbranch_execz .LBB4_3880
; %bb.3229:                             ;   in Loop: Header=BB4_1856 Depth=3
	s_trap 2
	ds_read_b64 v[4:5], v0
	v_add_nc_u32_e32 v1, v1, v71
	v_ashrrev_i32_e32 v8, 31, v1
	v_add_co_u32 v12, vcc_lo, v1, v64
	v_add_co_ci_u32_e64 v13, null, v8, v65, vcc_lo
	v_add_co_u32 v14, vcc_lo, v1, v66
	v_add_co_ci_u32_e64 v15, null, v8, v67, vcc_lo
	s_waitcnt lgkmcnt(0)
	v_readfirstlane_b32 s17, v4
	v_add_co_u32 v68, vcc_lo, v4, v1
	v_add_co_ci_u32_e64 v69, null, v5, v8, vcc_lo
	s_and_b32 s63, s17, 3
	s_bfe_u32 s74, s17, 0x50002
	s_flbit_i32_b32 s72, s63
	s_min_u32 s72, s72, 32
	s_sub_i32 s73, s72, 29
	s_sub_i32 s72, 30, s72
	s_lshl_b32 s73, s17, s73
	s_and_b32 s73, s73, 3
	s_cmp_eq_u32 s74, 0
	s_cselect_b32 s72, s72, s74
	s_cselect_b32 s63, s73, s63
	s_lshl_b32 s73, s17, 24
	s_lshl_b32 s72, s72, 23
	s_and_b32 s73, s73, 0x80000000
	s_add_i32 s72, s72, 0x37800000
	s_lshl_b32 s74, s63, 21
	s_or_b32 s72, s73, s72
	s_mov_b32 s63, 0
	s_or_b32 s72, s72, s74
	s_and_b32 s73, s17, 0xff
	s_branch .LBB4_3233
.LBB4_3230:                             ;   in Loop: Header=BB4_3233 Depth=4
	s_or_b32 exec_lo, exec_lo, s17
	v_lshrrev_b32_e32 v20, 21, v20
	v_min_i32_e32 v36, 31, v17
	v_cmp_gt_i32_e32 vcc_lo, 32, v17
	v_and_b32_sdwa v11, v11, v101 dst_sel:DWORD dst_unused:UNUSED_PAD src0_sel:BYTE_3 src1_sel:DWORD
	v_lshlrev_b32_e32 v36, 2, v36
	v_cndmask_b32_e32 v20, 3, v20, vcc_lo
	v_and_b32_e32 v36, 0xfc, v36
	v_and_b32_e32 v37, 3, v20
	v_or_b32_e32 v17, v17, v20
	v_or3_b32 v11, v11, v36, v37
	v_cmp_ne_u32_e32 vcc_lo, 0, v17
	v_lshlrev_b32_e32 v11, 8, v11
	v_cndmask_b32_e32 v17, 0, v11, vcc_lo
.LBB4_3231:                             ;   in Loop: Header=BB4_3233 Depth=4
	s_or_b32 exec_lo, exec_lo, s75
.LBB4_3232:                             ;   in Loop: Header=BB4_3233 Depth=4
	s_or_b32 exec_lo, exec_lo, s74
	v_or_b32_sdwa v9, v9, v35 dst_sel:WORD_1 dst_unused:UNUSED_PAD src0_sel:DWORD src1_sel:DWORD
	v_or_b32_sdwa v8, v8, v30 dst_sel:WORD_1 dst_unused:UNUSED_PAD src0_sel:DWORD src1_sel:DWORD
	v_or_b32_sdwa v1, v4, v1 dst_sel:WORD_1 dst_unused:UNUSED_PAD src0_sel:DWORD src1_sel:DWORD
	v_or_b32_sdwa v4, v17, v10 dst_sel:WORD_1 dst_unused:UNUSED_PAD src0_sel:DWORD src1_sel:DWORD
	v_sub_nc_u32_e32 v59, v59, v117
	v_or3_b32 v9, v34, v61, v9
	v_or3_b32 v8, v19, v16, v8
	;; [unrolled: 1-line block ×4, first 2 shown]
	v_add_co_u32 v12, vcc_lo, v12, v117
	v_add_co_ci_u32_e64 v13, null, 0, v13, vcc_lo
	v_add_co_u32 v68, vcc_lo, v68, v117
	global_store_dwordx4 v[14:15], v[8:11], off glc slc
	v_add_co_ci_u32_e64 v69, null, 0, v69, vcc_lo
	v_cmp_gt_i32_e32 vcc_lo, 16, v59
	v_add_co_u32 v14, s17, v14, v117
	v_add_co_ci_u32_e64 v15, null, 0, v15, s17
	v_sub_nc_u32_e32 v81, v81, v87
	s_or_b32 s63, vcc_lo, s63
	s_andn2_b32 exec_lo, exec_lo, s63
	s_cbranch_execz .LBB4_3879
.LBB4_3233:                             ;   Parent Loop BB4_47 Depth=1
                                        ;     Parent Loop BB4_1853 Depth=2
                                        ;       Parent Loop BB4_1856 Depth=3
                                        ; =>      This Inner Loop Header: Depth=4
	s_cmpk_lt_i32 s73, 0x80
	s_cbranch_scc1 .LBB4_3237
; %bb.3234:                             ;   in Loop: Header=BB4_3233 Depth=4
	s_and_b32 s17, 0xffff, s73
	s_cmpk_eq_i32 s17, 0x80
	s_mov_b32 s17, -1
	s_cbranch_scc0 .LBB4_3236
; %bb.3235:                             ;   in Loop: Header=BB4_3233 Depth=4
	s_mov_b32 s17, 0
.LBB4_3236:                             ;   in Loop: Header=BB4_3233 Depth=4
	s_mov_b32 s74, 0x7f800001
	s_branch .LBB4_3239
.LBB4_3237:                             ;   in Loop: Header=BB4_3233 Depth=4
	s_mov_b32 s17, 0
	s_mov_b32 s74, 0x7f800001
	s_cbranch_execz .LBB4_3239
; %bb.3238:                             ;   in Loop: Header=BB4_3233 Depth=4
	s_and_b32 s17, 0xffff, s73
	s_mov_b32 s74, 0
	s_cmp_lg_u32 s17, 0
	s_cselect_b32 s17, -1, 0
.LBB4_3239:                             ;   in Loop: Header=BB4_3233 Depth=4
	s_andn2_b32 vcc_lo, exec_lo, s17
	s_cbranch_vccnz .LBB4_3241
; %bb.3240:                             ;   in Loop: Header=BB4_3233 Depth=4
	s_mov_b32 s74, s72
.LBB4_3241:                             ;   in Loop: Header=BB4_3233 Depth=4
	global_load_dwordx4 v[8:11], v[12:13], off slc
	s_mov_b32 s17, 0
	s_waitcnt vmcnt(0)
	v_cmp_gt_i16_sdwa s75, v8, v100 src0_sel:BYTE_0 src1_sel:DWORD
	s_and_saveexec_b32 s76, s75
	s_xor_b32 s75, exec_lo, s76
	s_cbranch_execz .LBB4_3783
; %bb.3242:                             ;   in Loop: Header=BB4_3233 Depth=4
	v_cmp_eq_u16_sdwa s77, v8, v101 src0_sel:BYTE_0 src1_sel:DWORD
	s_mov_b32 s17, -1
	s_and_saveexec_b32 s76, s77
; %bb.3243:                             ;   in Loop: Header=BB4_3233 Depth=4
	s_xor_b32 s17, exec_lo, -1
; %bb.3244:                             ;   in Loop: Header=BB4_3233 Depth=4
	s_or_b32 exec_lo, exec_lo, s76
	s_and_b32 s17, s17, exec_lo
	s_or_saveexec_b32 s75, s75
	v_mov_b32_e32 v1, 0x7f800001
	s_xor_b32 exec_lo, exec_lo, s75
	s_cbranch_execnz .LBB4_3784
.LBB4_3245:                             ;   in Loop: Header=BB4_3233 Depth=4
	s_or_b32 exec_lo, exec_lo, s75
	s_and_saveexec_b32 s75, s17
	s_cbranch_execz .LBB4_3247
.LBB4_3246:                             ;   in Loop: Header=BB4_3233 Depth=4
	v_and_b32_e32 v1, 3, v8
	v_bfe_u32 v16, v8, 2, 5
	v_lshlrev_b32_e32 v17, 24, v8
	v_ffbh_u32_e32 v4, v1
	v_cmp_eq_u32_e32 vcc_lo, 0, v16
	v_min_u32_e32 v4, 32, v4
	v_subrev_nc_u32_e32 v5, 29, v4
	v_sub_nc_u32_e32 v4, 30, v4
	v_lshlrev_b32_e32 v5, v5, v8
	v_cndmask_b32_e32 v4, v16, v4, vcc_lo
	v_and_b32_e32 v5, 3, v5
	v_lshl_add_u32 v4, v4, 23, 0x37800000
	v_cndmask_b32_e32 v1, v1, v5, vcc_lo
	v_and_b32_e32 v5, 0x80000000, v17
	v_lshlrev_b32_e32 v1, 21, v1
	v_or3_b32 v1, v5, v4, v1
.LBB4_3247:                             ;   in Loop: Header=BB4_3233 Depth=4
	s_or_b32 exec_lo, exec_lo, s75
	v_mul_f32_e32 v1, s74, v1
	v_mov_b32_e32 v16, 0x80
	s_mov_b32 s75, exec_lo
	v_and_b32_e32 v4, 0x7f800000, v1
	v_cmpx_ne_u32_e32 0x7f800000, v4
	s_cbranch_execz .LBB4_3255
; %bb.3248:                             ;   in Loop: Header=BB4_3233 Depth=4
	v_mov_b32_e32 v16, 0
	s_mov_b32 s76, exec_lo
	v_cmpx_ne_u32_e32 0, v1
	s_cbranch_execz .LBB4_3254
; %bb.3249:                             ;   in Loop: Header=BB4_3233 Depth=4
	v_bfe_u32 v4, v1, 23, 8
	v_and_b32_e32 v5, 0x7fffff, v1
	v_sub_nc_u32_e32 v16, 0x70, v4
	v_cmp_gt_u32_e32 vcc_lo, 0x71, v4
	v_or_b32_e32 v17, 0x800000, v5
	v_cndmask_b32_e32 v16, 0, v16, vcc_lo
	v_cmp_eq_u32_e32 vcc_lo, 0, v4
	v_add_nc_u32_e32 v4, 0xffffff91, v4
	v_cndmask_b32_e64 v16, v16, 0x6f, vcc_lo
	v_cndmask_b32_e32 v5, v17, v5, vcc_lo
	v_cndmask_b32_e64 v4, v4, 0xffffff92, vcc_lo
	v_lshl_add_u32 v17, 0x200000, v16, -1
	v_lshrrev_b32_e32 v18, v16, v5
	v_lshlrev_b32_e64 v20, v16, 0x100000
	v_add_nc_u32_e32 v16, v16, v4
	v_and_b32_e32 v5, v17, v5
	v_bfe_u32 v19, v18, 21, 1
	v_cmp_eq_u32_e64 s17, v5, v20
	v_add_nc_u32_e32 v17, -1, v19
	v_cndmask_b32_e64 v5, 0, v17, s17
	v_lshrrev_b32_e32 v17, 23, v18
	s_mov_b32 s17, exec_lo
	v_add_nc_u32_e32 v5, v5, v18
	v_xor_b32_e32 v17, 1, v17
	v_and_b32_e32 v4, 0x1fffff, v5
	v_add_nc_u32_e32 v5, v4, v18
                                        ; implicit-def: $vgpr4
	v_cmpx_ne_u32_e64 v16, v17
	s_xor_b32 s17, exec_lo, s17
; %bb.3250:                             ;   in Loop: Header=BB4_3233 Depth=4
	v_cmp_lt_u32_e32 vcc_lo, 0xffffff, v5
	v_sub_nc_u32_e32 v4, v16, v17
	v_cndmask_b32_e64 v16, 0, 1, vcc_lo
	v_add_co_ci_u32_e64 v4, null, 0, v4, vcc_lo
	v_lshrrev_b32_e32 v5, v16, v5
; %bb.3251:                             ;   in Loop: Header=BB4_3233 Depth=4
	s_andn2_saveexec_b32 s17, s17
; %bb.3252:                             ;   in Loop: Header=BB4_3233 Depth=4
	v_bfe_u32 v4, v5, 23, 1
; %bb.3253:                             ;   in Loop: Header=BB4_3233 Depth=4
	s_or_b32 exec_lo, exec_lo, s17
	v_lshrrev_b32_e32 v5, 21, v5
	v_min_i32_e32 v16, 31, v4
	v_cmp_gt_i32_e32 vcc_lo, 32, v4
	v_and_b32_sdwa v1, v1, v101 dst_sel:DWORD dst_unused:UNUSED_PAD src0_sel:BYTE_3 src1_sel:DWORD
	v_lshlrev_b32_e32 v16, 2, v16
	v_cndmask_b32_e32 v5, 3, v5, vcc_lo
	v_and_b32_e32 v16, 0xfc, v16
	v_and_b32_e32 v17, 3, v5
	v_or_b32_e32 v4, v4, v5
	v_or3_b32 v1, v16, v1, v17
	v_cmp_ne_u32_e32 vcc_lo, 0, v4
	v_cndmask_b32_e32 v16, 0, v1, vcc_lo
.LBB4_3254:                             ;   in Loop: Header=BB4_3233 Depth=4
	s_or_b32 exec_lo, exec_lo, s76
.LBB4_3255:                             ;   in Loop: Header=BB4_3233 Depth=4
	s_or_b32 exec_lo, exec_lo, s75
	v_cmp_gt_i16_sdwa s75, v8, v100 src0_sel:BYTE_1 src1_sel:DWORD
	s_mov_b32 s17, 0
	s_and_saveexec_b32 s76, s75
	s_xor_b32 s75, exec_lo, s76
	s_cbranch_execz .LBB4_3785
; %bb.3256:                             ;   in Loop: Header=BB4_3233 Depth=4
	v_cmp_eq_u16_sdwa s77, v8, v101 src0_sel:BYTE_1 src1_sel:DWORD
	s_mov_b32 s17, -1
	s_and_saveexec_b32 s76, s77
; %bb.3257:                             ;   in Loop: Header=BB4_3233 Depth=4
	s_xor_b32 s17, exec_lo, -1
; %bb.3258:                             ;   in Loop: Header=BB4_3233 Depth=4
	s_or_b32 exec_lo, exec_lo, s76
	s_and_b32 s17, s17, exec_lo
	s_or_saveexec_b32 s75, s75
	v_mov_b32_e32 v1, 0x7f800001
	s_xor_b32 exec_lo, exec_lo, s75
	s_cbranch_execnz .LBB4_3786
.LBB4_3259:                             ;   in Loop: Header=BB4_3233 Depth=4
	s_or_b32 exec_lo, exec_lo, s75
	s_and_saveexec_b32 s75, s17
	s_cbranch_execz .LBB4_3261
.LBB4_3260:                             ;   in Loop: Header=BB4_3233 Depth=4
	v_and_b32_sdwa v1, v102, v8 dst_sel:DWORD dst_unused:UNUSED_PAD src0_sel:DWORD src1_sel:BYTE_1
	v_and_b32_e32 v4, 3, v1
	v_bfe_u32 v18, v1, 2, 5
	v_ffbh_u32_e32 v5, v4
	v_cmp_eq_u32_e32 vcc_lo, 0, v18
	v_min_u32_e32 v5, 32, v5
	v_subrev_nc_u32_e32 v17, 29, v5
	v_sub_nc_u32_e32 v5, 30, v5
	v_lshlrev_b32_e32 v1, v17, v1
	v_lshlrev_b32_sdwa v17, v103, v8 dst_sel:DWORD dst_unused:UNUSED_PAD src0_sel:DWORD src1_sel:BYTE_1
	v_cndmask_b32_e32 v5, v18, v5, vcc_lo
	v_and_b32_e32 v1, 3, v1
	v_lshl_add_u32 v5, v5, 23, 0x37800000
	v_cndmask_b32_e32 v1, v4, v1, vcc_lo
	v_and_b32_e32 v4, 0x80000000, v17
	v_lshlrev_b32_e32 v1, 21, v1
	v_or3_b32 v1, v4, v5, v1
.LBB4_3261:                             ;   in Loop: Header=BB4_3233 Depth=4
	s_or_b32 exec_lo, exec_lo, s75
	v_mul_f32_e32 v1, s74, v1
	v_mov_b32_e32 v19, 0x8000
	s_mov_b32 s75, exec_lo
	v_and_b32_e32 v4, 0x7f800000, v1
	v_cmpx_ne_u32_e32 0x7f800000, v4
	s_cbranch_execz .LBB4_3269
; %bb.3262:                             ;   in Loop: Header=BB4_3233 Depth=4
	v_mov_b32_e32 v19, 0
	s_mov_b32 s76, exec_lo
	v_cmpx_ne_u32_e32 0, v1
	s_cbranch_execz .LBB4_3268
; %bb.3263:                             ;   in Loop: Header=BB4_3233 Depth=4
	v_bfe_u32 v4, v1, 23, 8
	v_and_b32_e32 v5, 0x7fffff, v1
	v_sub_nc_u32_e32 v17, 0x70, v4
	v_cmp_gt_u32_e32 vcc_lo, 0x71, v4
	v_or_b32_e32 v18, 0x800000, v5
	v_cndmask_b32_e32 v17, 0, v17, vcc_lo
	v_cmp_eq_u32_e32 vcc_lo, 0, v4
	v_add_nc_u32_e32 v4, 0xffffff91, v4
	v_cndmask_b32_e64 v17, v17, 0x6f, vcc_lo
	v_cndmask_b32_e32 v5, v18, v5, vcc_lo
	v_cndmask_b32_e64 v4, v4, 0xffffff92, vcc_lo
	v_lshl_add_u32 v18, 0x200000, v17, -1
	v_lshrrev_b32_e32 v19, v17, v5
	v_lshlrev_b32_e64 v21, v17, 0x100000
	v_add_nc_u32_e32 v17, v17, v4
	v_and_b32_e32 v5, v18, v5
	v_bfe_u32 v20, v19, 21, 1
	v_cmp_eq_u32_e64 s17, v5, v21
	v_add_nc_u32_e32 v18, -1, v20
	v_cndmask_b32_e64 v5, 0, v18, s17
	v_lshrrev_b32_e32 v18, 23, v19
	s_mov_b32 s17, exec_lo
	v_add_nc_u32_e32 v5, v5, v19
	v_xor_b32_e32 v18, 1, v18
	v_and_b32_e32 v4, 0x1fffff, v5
	v_add_nc_u32_e32 v5, v4, v19
                                        ; implicit-def: $vgpr4
	v_cmpx_ne_u32_e64 v17, v18
	s_xor_b32 s17, exec_lo, s17
; %bb.3264:                             ;   in Loop: Header=BB4_3233 Depth=4
	v_cmp_lt_u32_e32 vcc_lo, 0xffffff, v5
	v_sub_nc_u32_e32 v4, v17, v18
	v_cndmask_b32_e64 v17, 0, 1, vcc_lo
	v_add_co_ci_u32_e64 v4, null, 0, v4, vcc_lo
	v_lshrrev_b32_e32 v5, v17, v5
; %bb.3265:                             ;   in Loop: Header=BB4_3233 Depth=4
	s_andn2_saveexec_b32 s17, s17
; %bb.3266:                             ;   in Loop: Header=BB4_3233 Depth=4
	v_bfe_u32 v4, v5, 23, 1
; %bb.3267:                             ;   in Loop: Header=BB4_3233 Depth=4
	s_or_b32 exec_lo, exec_lo, s17
	v_lshrrev_b32_e32 v5, 21, v5
	v_min_i32_e32 v17, 31, v4
	v_cmp_gt_i32_e32 vcc_lo, 32, v4
	v_and_b32_sdwa v1, v1, v101 dst_sel:DWORD dst_unused:UNUSED_PAD src0_sel:BYTE_3 src1_sel:DWORD
	v_lshlrev_b32_e32 v17, 2, v17
	v_cndmask_b32_e32 v5, 3, v5, vcc_lo
	v_and_b32_e32 v17, 0xfc, v17
	v_and_b32_e32 v18, 3, v5
	v_or_b32_e32 v4, v4, v5
	v_or3_b32 v1, v1, v17, v18
	v_cmp_ne_u32_e32 vcc_lo, 0, v4
	v_lshlrev_b32_e32 v1, 8, v1
	v_cndmask_b32_e32 v19, 0, v1, vcc_lo
.LBB4_3268:                             ;   in Loop: Header=BB4_3233 Depth=4
	s_or_b32 exec_lo, exec_lo, s76
.LBB4_3269:                             ;   in Loop: Header=BB4_3233 Depth=4
	s_or_b32 exec_lo, exec_lo, s75
	v_and_b32_sdwa v4, v8, v112 dst_sel:DWORD dst_unused:UNUSED_PAD src0_sel:WORD_1 src1_sel:DWORD
	s_mov_b32 s17, 0
	s_mov_b32 s75, exec_lo
	v_cmpx_lt_i16_e32 0x7f, v4
	s_xor_b32 s75, exec_lo, s75
	s_cbranch_execz .LBB4_3787
; %bb.3270:                             ;   in Loop: Header=BB4_3233 Depth=4
	s_mov_b32 s17, -1
	s_mov_b32 s76, exec_lo
	v_cmpx_eq_u16_e32 0x80, v4
; %bb.3271:                             ;   in Loop: Header=BB4_3233 Depth=4
	s_xor_b32 s17, exec_lo, -1
; %bb.3272:                             ;   in Loop: Header=BB4_3233 Depth=4
	s_or_b32 exec_lo, exec_lo, s76
	s_and_b32 s17, s17, exec_lo
                                        ; implicit-def: $vgpr4
	s_or_saveexec_b32 s75, s75
	v_mov_b32_e32 v1, 0x7f800001
	s_xor_b32 exec_lo, exec_lo, s75
	s_cbranch_execnz .LBB4_3788
.LBB4_3273:                             ;   in Loop: Header=BB4_3233 Depth=4
	s_or_b32 exec_lo, exec_lo, s75
	s_and_saveexec_b32 s75, s17
	s_cbranch_execz .LBB4_3275
.LBB4_3274:                             ;   in Loop: Header=BB4_3233 Depth=4
	v_bfe_u32 v1, v8, 16, 2
	v_bfe_u32 v17, v8, 18, 5
	v_lshlrev_b32_e32 v18, 8, v8
	v_ffbh_u32_e32 v4, v1
	v_cmp_eq_u32_e32 vcc_lo, 0, v17
	v_min_u32_e32 v4, 32, v4
	v_subrev_nc_u32_e32 v5, 29, v4
	v_sub_nc_u32_e32 v4, 30, v4
	v_lshlrev_b32_sdwa v5, v5, v8 dst_sel:DWORD dst_unused:UNUSED_PAD src0_sel:DWORD src1_sel:WORD_1
	v_cndmask_b32_e32 v4, v17, v4, vcc_lo
	v_and_b32_e32 v5, 3, v5
	v_lshl_add_u32 v4, v4, 23, 0x37800000
	v_cndmask_b32_e32 v1, v1, v5, vcc_lo
	v_and_b32_e32 v5, 0x80000000, v18
	v_lshlrev_b32_e32 v1, 21, v1
	v_or3_b32 v1, v5, v4, v1
.LBB4_3275:                             ;   in Loop: Header=BB4_3233 Depth=4
	s_or_b32 exec_lo, exec_lo, s75
	v_mul_f32_e32 v1, s74, v1
	v_mov_b32_e32 v30, 0x80
	s_mov_b32 s75, exec_lo
	v_and_b32_e32 v4, 0x7f800000, v1
	v_cmpx_ne_u32_e32 0x7f800000, v4
	s_cbranch_execz .LBB4_3283
; %bb.3276:                             ;   in Loop: Header=BB4_3233 Depth=4
	v_mov_b32_e32 v30, 0
	s_mov_b32 s76, exec_lo
	v_cmpx_ne_u32_e32 0, v1
	s_cbranch_execz .LBB4_3282
; %bb.3277:                             ;   in Loop: Header=BB4_3233 Depth=4
	v_bfe_u32 v4, v1, 23, 8
	v_and_b32_e32 v5, 0x7fffff, v1
	v_sub_nc_u32_e32 v17, 0x70, v4
	v_cmp_gt_u32_e32 vcc_lo, 0x71, v4
	v_or_b32_e32 v18, 0x800000, v5
	v_cndmask_b32_e32 v17, 0, v17, vcc_lo
	v_cmp_eq_u32_e32 vcc_lo, 0, v4
	v_add_nc_u32_e32 v4, 0xffffff91, v4
	v_cndmask_b32_e64 v17, v17, 0x6f, vcc_lo
	v_cndmask_b32_e32 v5, v18, v5, vcc_lo
	v_cndmask_b32_e64 v4, v4, 0xffffff92, vcc_lo
	v_lshl_add_u32 v18, 0x200000, v17, -1
	v_lshrrev_b32_e32 v20, v17, v5
	v_lshlrev_b32_e64 v30, v17, 0x100000
	v_add_nc_u32_e32 v17, v17, v4
	v_and_b32_e32 v5, v18, v5
	v_bfe_u32 v21, v20, 21, 1
	v_cmp_eq_u32_e64 s17, v5, v30
	v_add_nc_u32_e32 v18, -1, v21
	v_cndmask_b32_e64 v5, 0, v18, s17
	v_lshrrev_b32_e32 v18, 23, v20
	s_mov_b32 s17, exec_lo
	v_add_nc_u32_e32 v5, v5, v20
	v_xor_b32_e32 v18, 1, v18
	v_and_b32_e32 v4, 0x1fffff, v5
	v_add_nc_u32_e32 v5, v4, v20
                                        ; implicit-def: $vgpr4
	v_cmpx_ne_u32_e64 v17, v18
	s_xor_b32 s17, exec_lo, s17
; %bb.3278:                             ;   in Loop: Header=BB4_3233 Depth=4
	v_cmp_lt_u32_e32 vcc_lo, 0xffffff, v5
	v_sub_nc_u32_e32 v4, v17, v18
	v_cndmask_b32_e64 v17, 0, 1, vcc_lo
	v_add_co_ci_u32_e64 v4, null, 0, v4, vcc_lo
	v_lshrrev_b32_e32 v5, v17, v5
; %bb.3279:                             ;   in Loop: Header=BB4_3233 Depth=4
	s_andn2_saveexec_b32 s17, s17
; %bb.3280:                             ;   in Loop: Header=BB4_3233 Depth=4
	v_bfe_u32 v4, v5, 23, 1
; %bb.3281:                             ;   in Loop: Header=BB4_3233 Depth=4
	s_or_b32 exec_lo, exec_lo, s17
	v_lshrrev_b32_e32 v5, 21, v5
	v_min_i32_e32 v17, 31, v4
	v_cmp_gt_i32_e32 vcc_lo, 32, v4
	v_and_b32_sdwa v1, v1, v101 dst_sel:DWORD dst_unused:UNUSED_PAD src0_sel:BYTE_3 src1_sel:DWORD
	v_lshlrev_b32_e32 v17, 2, v17
	v_cndmask_b32_e32 v5, 3, v5, vcc_lo
	v_and_b32_e32 v17, 0xfc, v17
	v_and_b32_e32 v18, 3, v5
	v_or_b32_e32 v4, v4, v5
	v_or3_b32 v1, v17, v1, v18
	v_cmp_ne_u32_e32 vcc_lo, 0, v4
	v_cndmask_b32_e32 v30, 0, v1, vcc_lo
.LBB4_3282:                             ;   in Loop: Header=BB4_3233 Depth=4
	s_or_b32 exec_lo, exec_lo, s76
.LBB4_3283:                             ;   in Loop: Header=BB4_3233 Depth=4
	s_or_b32 exec_lo, exec_lo, s75
	v_cmp_gt_i16_sdwa s75, v8, v100 src0_sel:BYTE_3 src1_sel:DWORD
	s_mov_b32 s17, 0
	s_and_saveexec_b32 s76, s75
	s_xor_b32 s75, exec_lo, s76
	s_cbranch_execz .LBB4_3789
; %bb.3284:                             ;   in Loop: Header=BB4_3233 Depth=4
	v_cmp_eq_u16_sdwa s77, v8, v101 src0_sel:BYTE_3 src1_sel:DWORD
	s_mov_b32 s17, -1
	s_and_saveexec_b32 s76, s77
; %bb.3285:                             ;   in Loop: Header=BB4_3233 Depth=4
	s_xor_b32 s17, exec_lo, -1
; %bb.3286:                             ;   in Loop: Header=BB4_3233 Depth=4
	s_or_b32 exec_lo, exec_lo, s76
	s_and_b32 s17, s17, exec_lo
	s_or_saveexec_b32 s75, s75
	v_mov_b32_e32 v1, 0x7f800001
	s_xor_b32 exec_lo, exec_lo, s75
	s_cbranch_execnz .LBB4_3790
.LBB4_3287:                             ;   in Loop: Header=BB4_3233 Depth=4
	s_or_b32 exec_lo, exec_lo, s75
	s_and_saveexec_b32 s75, s17
	s_cbranch_execz .LBB4_3289
.LBB4_3288:                             ;   in Loop: Header=BB4_3233 Depth=4
	v_bfe_u32 v1, v8, 24, 2
	v_bfe_u32 v17, v8, 26, 5
	v_ffbh_u32_e32 v4, v1
	v_cmp_eq_u32_e32 vcc_lo, 0, v17
	v_min_u32_e32 v4, 32, v4
	v_subrev_nc_u32_e32 v5, 29, v4
	v_sub_nc_u32_e32 v4, 30, v4
	v_lshlrev_b32_sdwa v5, v5, v8 dst_sel:DWORD dst_unused:UNUSED_PAD src0_sel:DWORD src1_sel:BYTE_3
	v_cndmask_b32_e32 v4, v17, v4, vcc_lo
	v_and_b32_e32 v5, 3, v5
	v_lshl_add_u32 v4, v4, 23, 0x37800000
	v_cndmask_b32_e32 v1, v1, v5, vcc_lo
	v_and_b32_e32 v5, 0x80000000, v8
	v_lshlrev_b32_e32 v1, 21, v1
	v_or3_b32 v1, v5, v4, v1
.LBB4_3289:                             ;   in Loop: Header=BB4_3233 Depth=4
	s_or_b32 exec_lo, exec_lo, s75
	v_mul_f32_e32 v1, s74, v1
	v_mov_b32_e32 v34, 0x8000
	s_mov_b32 s75, exec_lo
	v_and_b32_e32 v4, 0x7f800000, v1
	v_cmpx_ne_u32_e32 0x7f800000, v4
	s_cbranch_execz .LBB4_3297
; %bb.3290:                             ;   in Loop: Header=BB4_3233 Depth=4
	v_mov_b32_e32 v34, 0
	s_mov_b32 s76, exec_lo
	v_cmpx_ne_u32_e32 0, v1
	s_cbranch_execz .LBB4_3296
; %bb.3291:                             ;   in Loop: Header=BB4_3233 Depth=4
	v_bfe_u32 v4, v1, 23, 8
	v_and_b32_e32 v5, 0x7fffff, v1
	v_sub_nc_u32_e32 v8, 0x70, v4
	v_cmp_gt_u32_e32 vcc_lo, 0x71, v4
	v_or_b32_e32 v17, 0x800000, v5
	v_cndmask_b32_e32 v8, 0, v8, vcc_lo
	v_cmp_eq_u32_e32 vcc_lo, 0, v4
	v_add_nc_u32_e32 v4, 0xffffff91, v4
	v_cndmask_b32_e64 v8, v8, 0x6f, vcc_lo
	v_cndmask_b32_e32 v5, v17, v5, vcc_lo
	v_cndmask_b32_e64 v4, v4, 0xffffff92, vcc_lo
	v_lshl_add_u32 v17, 0x200000, v8, -1
	v_lshrrev_b32_e32 v18, v8, v5
	v_lshlrev_b32_e64 v21, v8, 0x100000
	v_add_nc_u32_e32 v8, v8, v4
	v_and_b32_e32 v5, v17, v5
	v_bfe_u32 v20, v18, 21, 1
	v_cmp_eq_u32_e64 s17, v5, v21
	v_add_nc_u32_e32 v17, -1, v20
	v_cndmask_b32_e64 v5, 0, v17, s17
	v_lshrrev_b32_e32 v17, 23, v18
	s_mov_b32 s17, exec_lo
	v_add_nc_u32_e32 v5, v5, v18
	v_xor_b32_e32 v17, 1, v17
	v_and_b32_e32 v4, 0x1fffff, v5
	v_add_nc_u32_e32 v5, v4, v18
                                        ; implicit-def: $vgpr4
	v_cmpx_ne_u32_e64 v8, v17
	s_xor_b32 s17, exec_lo, s17
; %bb.3292:                             ;   in Loop: Header=BB4_3233 Depth=4
	v_cmp_lt_u32_e32 vcc_lo, 0xffffff, v5
	v_sub_nc_u32_e32 v4, v8, v17
	v_cndmask_b32_e64 v8, 0, 1, vcc_lo
	v_add_co_ci_u32_e64 v4, null, 0, v4, vcc_lo
	v_lshrrev_b32_e32 v5, v8, v5
; %bb.3293:                             ;   in Loop: Header=BB4_3233 Depth=4
	s_andn2_saveexec_b32 s17, s17
; %bb.3294:                             ;   in Loop: Header=BB4_3233 Depth=4
	v_bfe_u32 v4, v5, 23, 1
; %bb.3295:                             ;   in Loop: Header=BB4_3233 Depth=4
	s_or_b32 exec_lo, exec_lo, s17
	v_lshrrev_b32_e32 v5, 21, v5
	v_min_i32_e32 v8, 31, v4
	v_cmp_gt_i32_e32 vcc_lo, 32, v4
	v_and_b32_sdwa v1, v1, v101 dst_sel:DWORD dst_unused:UNUSED_PAD src0_sel:BYTE_3 src1_sel:DWORD
	v_lshlrev_b32_e32 v8, 2, v8
	v_cndmask_b32_e32 v5, 3, v5, vcc_lo
	v_and_b32_e32 v8, 0xfc, v8
	v_and_b32_e32 v17, 3, v5
	v_or_b32_e32 v4, v4, v5
	v_or3_b32 v1, v1, v8, v17
	v_cmp_ne_u32_e32 vcc_lo, 0, v4
	v_lshlrev_b32_e32 v1, 8, v1
	v_cndmask_b32_e32 v34, 0, v1, vcc_lo
.LBB4_3296:                             ;   in Loop: Header=BB4_3233 Depth=4
	s_or_b32 exec_lo, exec_lo, s76
.LBB4_3297:                             ;   in Loop: Header=BB4_3233 Depth=4
	s_or_b32 exec_lo, exec_lo, s75
	v_cmp_gt_i16_sdwa s75, v9, v100 src0_sel:BYTE_0 src1_sel:DWORD
	s_mov_b32 s17, 0
	s_and_saveexec_b32 s76, s75
	s_xor_b32 s75, exec_lo, s76
	s_cbranch_execz .LBB4_3791
; %bb.3298:                             ;   in Loop: Header=BB4_3233 Depth=4
	v_cmp_eq_u16_sdwa s77, v9, v101 src0_sel:BYTE_0 src1_sel:DWORD
	s_mov_b32 s17, -1
	s_and_saveexec_b32 s76, s77
; %bb.3299:                             ;   in Loop: Header=BB4_3233 Depth=4
	s_xor_b32 s17, exec_lo, -1
; %bb.3300:                             ;   in Loop: Header=BB4_3233 Depth=4
	s_or_b32 exec_lo, exec_lo, s76
	s_and_b32 s17, s17, exec_lo
	s_or_saveexec_b32 s75, s75
	v_mov_b32_e32 v1, 0x7f800001
	s_xor_b32 exec_lo, exec_lo, s75
	s_cbranch_execnz .LBB4_3792
.LBB4_3301:                             ;   in Loop: Header=BB4_3233 Depth=4
	s_or_b32 exec_lo, exec_lo, s75
	s_and_saveexec_b32 s75, s17
	s_cbranch_execz .LBB4_3303
.LBB4_3302:                             ;   in Loop: Header=BB4_3233 Depth=4
	v_and_b32_e32 v1, 3, v9
	v_bfe_u32 v8, v9, 2, 5
	v_lshlrev_b32_e32 v17, 24, v9
	v_ffbh_u32_e32 v4, v1
	v_cmp_eq_u32_e32 vcc_lo, 0, v8
	v_min_u32_e32 v4, 32, v4
	v_subrev_nc_u32_e32 v5, 29, v4
	v_sub_nc_u32_e32 v4, 30, v4
	v_lshlrev_b32_e32 v5, v5, v9
	v_cndmask_b32_e32 v4, v8, v4, vcc_lo
	v_and_b32_e32 v5, 3, v5
	v_lshl_add_u32 v4, v4, 23, 0x37800000
	v_cndmask_b32_e32 v1, v1, v5, vcc_lo
	v_and_b32_e32 v5, 0x80000000, v17
	v_lshlrev_b32_e32 v1, 21, v1
	v_or3_b32 v1, v5, v4, v1
.LBB4_3303:                             ;   in Loop: Header=BB4_3233 Depth=4
	s_or_b32 exec_lo, exec_lo, s75
	v_mul_f32_e32 v1, s74, v1
	v_mov_b32_e32 v61, 0x80
	s_mov_b32 s75, exec_lo
	v_and_b32_e32 v4, 0x7f800000, v1
	v_cmpx_ne_u32_e32 0x7f800000, v4
	s_cbranch_execz .LBB4_3311
; %bb.3304:                             ;   in Loop: Header=BB4_3233 Depth=4
	v_mov_b32_e32 v61, 0
	s_mov_b32 s76, exec_lo
	v_cmpx_ne_u32_e32 0, v1
	s_cbranch_execz .LBB4_3310
; %bb.3305:                             ;   in Loop: Header=BB4_3233 Depth=4
	v_bfe_u32 v4, v1, 23, 8
	v_and_b32_e32 v5, 0x7fffff, v1
	v_sub_nc_u32_e32 v8, 0x70, v4
	v_cmp_gt_u32_e32 vcc_lo, 0x71, v4
	v_or_b32_e32 v17, 0x800000, v5
	v_cndmask_b32_e32 v8, 0, v8, vcc_lo
	v_cmp_eq_u32_e32 vcc_lo, 0, v4
	v_add_nc_u32_e32 v4, 0xffffff91, v4
	v_cndmask_b32_e64 v8, v8, 0x6f, vcc_lo
	v_cndmask_b32_e32 v5, v17, v5, vcc_lo
	v_cndmask_b32_e64 v4, v4, 0xffffff92, vcc_lo
	v_lshl_add_u32 v17, 0x200000, v8, -1
	v_lshrrev_b32_e32 v18, v8, v5
	v_lshlrev_b32_e64 v21, v8, 0x100000
	v_add_nc_u32_e32 v8, v8, v4
	v_and_b32_e32 v5, v17, v5
	v_bfe_u32 v20, v18, 21, 1
	v_cmp_eq_u32_e64 s17, v5, v21
	v_add_nc_u32_e32 v17, -1, v20
	v_cndmask_b32_e64 v5, 0, v17, s17
	v_lshrrev_b32_e32 v17, 23, v18
	s_mov_b32 s17, exec_lo
	v_add_nc_u32_e32 v5, v5, v18
	v_xor_b32_e32 v17, 1, v17
	v_and_b32_e32 v4, 0x1fffff, v5
	v_add_nc_u32_e32 v5, v4, v18
                                        ; implicit-def: $vgpr4
	v_cmpx_ne_u32_e64 v8, v17
	s_xor_b32 s17, exec_lo, s17
; %bb.3306:                             ;   in Loop: Header=BB4_3233 Depth=4
	v_cmp_lt_u32_e32 vcc_lo, 0xffffff, v5
	v_sub_nc_u32_e32 v4, v8, v17
	v_cndmask_b32_e64 v8, 0, 1, vcc_lo
	v_add_co_ci_u32_e64 v4, null, 0, v4, vcc_lo
	v_lshrrev_b32_e32 v5, v8, v5
; %bb.3307:                             ;   in Loop: Header=BB4_3233 Depth=4
	s_andn2_saveexec_b32 s17, s17
; %bb.3308:                             ;   in Loop: Header=BB4_3233 Depth=4
	v_bfe_u32 v4, v5, 23, 1
; %bb.3309:                             ;   in Loop: Header=BB4_3233 Depth=4
	s_or_b32 exec_lo, exec_lo, s17
	v_lshrrev_b32_e32 v5, 21, v5
	v_min_i32_e32 v8, 31, v4
	v_cmp_gt_i32_e32 vcc_lo, 32, v4
	v_and_b32_sdwa v1, v1, v101 dst_sel:DWORD dst_unused:UNUSED_PAD src0_sel:BYTE_3 src1_sel:DWORD
	v_lshlrev_b32_e32 v8, 2, v8
	v_cndmask_b32_e32 v5, 3, v5, vcc_lo
	v_and_b32_e32 v8, 0xfc, v8
	v_and_b32_e32 v17, 3, v5
	v_or_b32_e32 v4, v4, v5
	v_or3_b32 v1, v8, v1, v17
	v_cmp_ne_u32_e32 vcc_lo, 0, v4
	v_cndmask_b32_e32 v61, 0, v1, vcc_lo
.LBB4_3310:                             ;   in Loop: Header=BB4_3233 Depth=4
	s_or_b32 exec_lo, exec_lo, s76
.LBB4_3311:                             ;   in Loop: Header=BB4_3233 Depth=4
	s_or_b32 exec_lo, exec_lo, s75
	v_cmp_gt_i16_sdwa s75, v9, v100 src0_sel:BYTE_1 src1_sel:DWORD
	s_mov_b32 s17, 0
	s_and_saveexec_b32 s76, s75
	s_xor_b32 s75, exec_lo, s76
	s_cbranch_execz .LBB4_3793
; %bb.3312:                             ;   in Loop: Header=BB4_3233 Depth=4
	v_cmp_eq_u16_sdwa s77, v9, v101 src0_sel:BYTE_1 src1_sel:DWORD
	s_mov_b32 s17, -1
	s_and_saveexec_b32 s76, s77
; %bb.3313:                             ;   in Loop: Header=BB4_3233 Depth=4
	s_xor_b32 s17, exec_lo, -1
; %bb.3314:                             ;   in Loop: Header=BB4_3233 Depth=4
	s_or_b32 exec_lo, exec_lo, s76
	s_and_b32 s17, s17, exec_lo
	s_or_saveexec_b32 s75, s75
	v_mov_b32_e32 v1, 0x7f800001
	s_xor_b32 exec_lo, exec_lo, s75
	s_cbranch_execnz .LBB4_3794
.LBB4_3315:                             ;   in Loop: Header=BB4_3233 Depth=4
	s_or_b32 exec_lo, exec_lo, s75
	s_and_saveexec_b32 s75, s17
	s_cbranch_execz .LBB4_3317
.LBB4_3316:                             ;   in Loop: Header=BB4_3233 Depth=4
	v_and_b32_sdwa v1, v102, v9 dst_sel:DWORD dst_unused:UNUSED_PAD src0_sel:DWORD src1_sel:BYTE_1
	v_and_b32_e32 v4, 3, v1
	v_bfe_u32 v17, v1, 2, 5
	v_ffbh_u32_e32 v5, v4
	v_cmp_eq_u32_e32 vcc_lo, 0, v17
	v_min_u32_e32 v5, 32, v5
	v_subrev_nc_u32_e32 v8, 29, v5
	v_sub_nc_u32_e32 v5, 30, v5
	v_lshlrev_b32_e32 v1, v8, v1
	v_lshlrev_b32_sdwa v8, v103, v9 dst_sel:DWORD dst_unused:UNUSED_PAD src0_sel:DWORD src1_sel:BYTE_1
	v_cndmask_b32_e32 v5, v17, v5, vcc_lo
	v_and_b32_e32 v1, 3, v1
	v_lshl_add_u32 v5, v5, 23, 0x37800000
	v_cndmask_b32_e32 v1, v4, v1, vcc_lo
	v_and_b32_e32 v4, 0x80000000, v8
	v_lshlrev_b32_e32 v1, 21, v1
	v_or3_b32 v1, v4, v5, v1
.LBB4_3317:                             ;   in Loop: Header=BB4_3233 Depth=4
	s_or_b32 exec_lo, exec_lo, s75
	v_mul_f32_e32 v1, s74, v1
	v_mov_b32_e32 v63, 0x8000
	s_mov_b32 s75, exec_lo
	v_and_b32_e32 v4, 0x7f800000, v1
	v_cmpx_ne_u32_e32 0x7f800000, v4
	s_cbranch_execz .LBB4_3325
; %bb.3318:                             ;   in Loop: Header=BB4_3233 Depth=4
	v_mov_b32_e32 v63, 0
	s_mov_b32 s76, exec_lo
	v_cmpx_ne_u32_e32 0, v1
	s_cbranch_execz .LBB4_3324
; %bb.3319:                             ;   in Loop: Header=BB4_3233 Depth=4
	v_bfe_u32 v4, v1, 23, 8
	v_and_b32_e32 v5, 0x7fffff, v1
	v_sub_nc_u32_e32 v8, 0x70, v4
	v_cmp_gt_u32_e32 vcc_lo, 0x71, v4
	v_or_b32_e32 v17, 0x800000, v5
	v_cndmask_b32_e32 v8, 0, v8, vcc_lo
	v_cmp_eq_u32_e32 vcc_lo, 0, v4
	v_add_nc_u32_e32 v4, 0xffffff91, v4
	v_cndmask_b32_e64 v8, v8, 0x6f, vcc_lo
	v_cndmask_b32_e32 v5, v17, v5, vcc_lo
	v_cndmask_b32_e64 v4, v4, 0xffffff92, vcc_lo
	v_lshl_add_u32 v17, 0x200000, v8, -1
	v_lshrrev_b32_e32 v18, v8, v5
	v_lshlrev_b32_e64 v21, v8, 0x100000
	v_add_nc_u32_e32 v8, v8, v4
	v_and_b32_e32 v5, v17, v5
	v_bfe_u32 v20, v18, 21, 1
	v_cmp_eq_u32_e64 s17, v5, v21
	v_add_nc_u32_e32 v17, -1, v20
	v_cndmask_b32_e64 v5, 0, v17, s17
	v_lshrrev_b32_e32 v17, 23, v18
	s_mov_b32 s17, exec_lo
	v_add_nc_u32_e32 v5, v5, v18
	v_xor_b32_e32 v17, 1, v17
	v_and_b32_e32 v4, 0x1fffff, v5
	v_add_nc_u32_e32 v5, v4, v18
                                        ; implicit-def: $vgpr4
	v_cmpx_ne_u32_e64 v8, v17
	s_xor_b32 s17, exec_lo, s17
; %bb.3320:                             ;   in Loop: Header=BB4_3233 Depth=4
	v_cmp_lt_u32_e32 vcc_lo, 0xffffff, v5
	v_sub_nc_u32_e32 v4, v8, v17
	v_cndmask_b32_e64 v8, 0, 1, vcc_lo
	v_add_co_ci_u32_e64 v4, null, 0, v4, vcc_lo
	v_lshrrev_b32_e32 v5, v8, v5
; %bb.3321:                             ;   in Loop: Header=BB4_3233 Depth=4
	s_andn2_saveexec_b32 s17, s17
; %bb.3322:                             ;   in Loop: Header=BB4_3233 Depth=4
	v_bfe_u32 v4, v5, 23, 1
; %bb.3323:                             ;   in Loop: Header=BB4_3233 Depth=4
	s_or_b32 exec_lo, exec_lo, s17
	v_lshrrev_b32_e32 v5, 21, v5
	v_min_i32_e32 v8, 31, v4
	v_cmp_gt_i32_e32 vcc_lo, 32, v4
	v_and_b32_sdwa v1, v1, v101 dst_sel:DWORD dst_unused:UNUSED_PAD src0_sel:BYTE_3 src1_sel:DWORD
	v_lshlrev_b32_e32 v8, 2, v8
	v_cndmask_b32_e32 v5, 3, v5, vcc_lo
	v_and_b32_e32 v8, 0xfc, v8
	v_and_b32_e32 v17, 3, v5
	v_or_b32_e32 v4, v4, v5
	v_or3_b32 v1, v1, v8, v17
	v_cmp_ne_u32_e32 vcc_lo, 0, v4
	v_lshlrev_b32_e32 v1, 8, v1
	v_cndmask_b32_e32 v63, 0, v1, vcc_lo
.LBB4_3324:                             ;   in Loop: Header=BB4_3233 Depth=4
	s_or_b32 exec_lo, exec_lo, s76
.LBB4_3325:                             ;   in Loop: Header=BB4_3233 Depth=4
	s_or_b32 exec_lo, exec_lo, s75
	v_and_b32_sdwa v4, v9, v112 dst_sel:DWORD dst_unused:UNUSED_PAD src0_sel:WORD_1 src1_sel:DWORD
	s_mov_b32 s17, 0
	s_mov_b32 s75, exec_lo
	v_cmpx_lt_i16_e32 0x7f, v4
	s_xor_b32 s75, exec_lo, s75
	s_cbranch_execz .LBB4_3795
; %bb.3326:                             ;   in Loop: Header=BB4_3233 Depth=4
	s_mov_b32 s17, -1
	s_mov_b32 s76, exec_lo
	v_cmpx_eq_u16_e32 0x80, v4
; %bb.3327:                             ;   in Loop: Header=BB4_3233 Depth=4
	s_xor_b32 s17, exec_lo, -1
; %bb.3328:                             ;   in Loop: Header=BB4_3233 Depth=4
	s_or_b32 exec_lo, exec_lo, s76
	s_and_b32 s17, s17, exec_lo
                                        ; implicit-def: $vgpr4
	s_or_saveexec_b32 s75, s75
	v_mov_b32_e32 v1, 0x7f800001
	s_xor_b32 exec_lo, exec_lo, s75
	s_cbranch_execnz .LBB4_3796
.LBB4_3329:                             ;   in Loop: Header=BB4_3233 Depth=4
	s_or_b32 exec_lo, exec_lo, s75
	s_and_saveexec_b32 s75, s17
	s_cbranch_execz .LBB4_3331
.LBB4_3330:                             ;   in Loop: Header=BB4_3233 Depth=4
	v_bfe_u32 v1, v9, 16, 2
	v_bfe_u32 v8, v9, 18, 5
	v_lshlrev_b32_e32 v17, 8, v9
	v_ffbh_u32_e32 v4, v1
	v_cmp_eq_u32_e32 vcc_lo, 0, v8
	v_min_u32_e32 v4, 32, v4
	v_subrev_nc_u32_e32 v5, 29, v4
	v_sub_nc_u32_e32 v4, 30, v4
	v_lshlrev_b32_sdwa v5, v5, v9 dst_sel:DWORD dst_unused:UNUSED_PAD src0_sel:DWORD src1_sel:WORD_1
	v_cndmask_b32_e32 v4, v8, v4, vcc_lo
	v_and_b32_e32 v5, 3, v5
	v_lshl_add_u32 v4, v4, 23, 0x37800000
	v_cndmask_b32_e32 v1, v1, v5, vcc_lo
	v_and_b32_e32 v5, 0x80000000, v17
	v_lshlrev_b32_e32 v1, 21, v1
	v_or3_b32 v1, v5, v4, v1
.LBB4_3331:                             ;   in Loop: Header=BB4_3233 Depth=4
	s_or_b32 exec_lo, exec_lo, s75
	v_mul_f32_e32 v1, s74, v1
	v_mov_b32_e32 v37, 0x80
	s_mov_b32 s75, exec_lo
	v_and_b32_e32 v4, 0x7f800000, v1
	v_cmpx_ne_u32_e32 0x7f800000, v4
	s_cbranch_execz .LBB4_3339
; %bb.3332:                             ;   in Loop: Header=BB4_3233 Depth=4
	v_mov_b32_e32 v37, 0
	s_mov_b32 s76, exec_lo
	v_cmpx_ne_u32_e32 0, v1
	s_cbranch_execz .LBB4_3338
; %bb.3333:                             ;   in Loop: Header=BB4_3233 Depth=4
	v_bfe_u32 v4, v1, 23, 8
	v_and_b32_e32 v5, 0x7fffff, v1
	v_sub_nc_u32_e32 v8, 0x70, v4
	v_cmp_gt_u32_e32 vcc_lo, 0x71, v4
	v_or_b32_e32 v17, 0x800000, v5
	v_cndmask_b32_e32 v8, 0, v8, vcc_lo
	v_cmp_eq_u32_e32 vcc_lo, 0, v4
	v_add_nc_u32_e32 v4, 0xffffff91, v4
	v_cndmask_b32_e64 v8, v8, 0x6f, vcc_lo
	v_cndmask_b32_e32 v5, v17, v5, vcc_lo
	v_cndmask_b32_e64 v4, v4, 0xffffff92, vcc_lo
	v_lshl_add_u32 v17, 0x200000, v8, -1
	v_lshrrev_b32_e32 v18, v8, v5
	v_lshlrev_b32_e64 v21, v8, 0x100000
	v_add_nc_u32_e32 v8, v8, v4
	v_and_b32_e32 v5, v17, v5
	v_bfe_u32 v20, v18, 21, 1
	v_cmp_eq_u32_e64 s17, v5, v21
	v_add_nc_u32_e32 v17, -1, v20
	v_cndmask_b32_e64 v5, 0, v17, s17
	v_lshrrev_b32_e32 v17, 23, v18
	s_mov_b32 s17, exec_lo
	v_add_nc_u32_e32 v5, v5, v18
	v_xor_b32_e32 v17, 1, v17
	v_and_b32_e32 v4, 0x1fffff, v5
	v_add_nc_u32_e32 v5, v4, v18
                                        ; implicit-def: $vgpr4
	v_cmpx_ne_u32_e64 v8, v17
	s_xor_b32 s17, exec_lo, s17
; %bb.3334:                             ;   in Loop: Header=BB4_3233 Depth=4
	v_cmp_lt_u32_e32 vcc_lo, 0xffffff, v5
	v_sub_nc_u32_e32 v4, v8, v17
	v_cndmask_b32_e64 v8, 0, 1, vcc_lo
	v_add_co_ci_u32_e64 v4, null, 0, v4, vcc_lo
	v_lshrrev_b32_e32 v5, v8, v5
; %bb.3335:                             ;   in Loop: Header=BB4_3233 Depth=4
	s_andn2_saveexec_b32 s17, s17
; %bb.3336:                             ;   in Loop: Header=BB4_3233 Depth=4
	v_bfe_u32 v4, v5, 23, 1
; %bb.3337:                             ;   in Loop: Header=BB4_3233 Depth=4
	s_or_b32 exec_lo, exec_lo, s17
	v_lshrrev_b32_e32 v5, 21, v5
	v_min_i32_e32 v8, 31, v4
	v_cmp_gt_i32_e32 vcc_lo, 32, v4
	v_and_b32_sdwa v1, v1, v101 dst_sel:DWORD dst_unused:UNUSED_PAD src0_sel:BYTE_3 src1_sel:DWORD
	v_lshlrev_b32_e32 v8, 2, v8
	v_cndmask_b32_e32 v5, 3, v5, vcc_lo
	v_and_b32_e32 v8, 0xfc, v8
	v_and_b32_e32 v17, 3, v5
	v_or_b32_e32 v4, v4, v5
	v_or3_b32 v1, v8, v1, v17
	v_cmp_ne_u32_e32 vcc_lo, 0, v4
	v_cndmask_b32_e32 v37, 0, v1, vcc_lo
.LBB4_3338:                             ;   in Loop: Header=BB4_3233 Depth=4
	s_or_b32 exec_lo, exec_lo, s76
.LBB4_3339:                             ;   in Loop: Header=BB4_3233 Depth=4
	s_or_b32 exec_lo, exec_lo, s75
	v_cmp_gt_i16_sdwa s75, v9, v100 src0_sel:BYTE_3 src1_sel:DWORD
	s_mov_b32 s17, 0
	s_and_saveexec_b32 s76, s75
	s_xor_b32 s75, exec_lo, s76
	s_cbranch_execz .LBB4_3797
; %bb.3340:                             ;   in Loop: Header=BB4_3233 Depth=4
	v_cmp_eq_u16_sdwa s77, v9, v101 src0_sel:BYTE_3 src1_sel:DWORD
	s_mov_b32 s17, -1
	s_and_saveexec_b32 s76, s77
; %bb.3341:                             ;   in Loop: Header=BB4_3233 Depth=4
	s_xor_b32 s17, exec_lo, -1
; %bb.3342:                             ;   in Loop: Header=BB4_3233 Depth=4
	s_or_b32 exec_lo, exec_lo, s76
	s_and_b32 s17, s17, exec_lo
	s_or_saveexec_b32 s75, s75
	v_mov_b32_e32 v1, 0x7f800001
	s_xor_b32 exec_lo, exec_lo, s75
	s_cbranch_execnz .LBB4_3798
.LBB4_3343:                             ;   in Loop: Header=BB4_3233 Depth=4
	s_or_b32 exec_lo, exec_lo, s75
	s_and_saveexec_b32 s75, s17
	s_cbranch_execz .LBB4_3345
.LBB4_3344:                             ;   in Loop: Header=BB4_3233 Depth=4
	v_bfe_u32 v1, v9, 24, 2
	v_bfe_u32 v8, v9, 26, 5
	v_ffbh_u32_e32 v4, v1
	v_cmp_eq_u32_e32 vcc_lo, 0, v8
	v_min_u32_e32 v4, 32, v4
	v_subrev_nc_u32_e32 v5, 29, v4
	v_sub_nc_u32_e32 v4, 30, v4
	v_lshlrev_b32_sdwa v5, v5, v9 dst_sel:DWORD dst_unused:UNUSED_PAD src0_sel:DWORD src1_sel:BYTE_3
	v_cndmask_b32_e32 v4, v8, v4, vcc_lo
	v_and_b32_e32 v5, 3, v5
	v_lshl_add_u32 v4, v4, 23, 0x37800000
	v_cndmask_b32_e32 v1, v1, v5, vcc_lo
	v_and_b32_e32 v5, 0x80000000, v9
	v_lshlrev_b32_e32 v1, 21, v1
	v_or3_b32 v1, v5, v4, v1
.LBB4_3345:                             ;   in Loop: Header=BB4_3233 Depth=4
	s_or_b32 exec_lo, exec_lo, s75
	v_mul_f32_e32 v1, s74, v1
	v_mov_b32_e32 v62, 0x8000
	s_mov_b32 s75, exec_lo
	v_and_b32_e32 v4, 0x7f800000, v1
	v_cmpx_ne_u32_e32 0x7f800000, v4
	s_cbranch_execz .LBB4_3353
; %bb.3346:                             ;   in Loop: Header=BB4_3233 Depth=4
	v_mov_b32_e32 v62, 0
	s_mov_b32 s76, exec_lo
	v_cmpx_ne_u32_e32 0, v1
	s_cbranch_execz .LBB4_3352
; %bb.3347:                             ;   in Loop: Header=BB4_3233 Depth=4
	v_bfe_u32 v4, v1, 23, 8
	v_and_b32_e32 v5, 0x7fffff, v1
	v_sub_nc_u32_e32 v8, 0x70, v4
	v_cmp_gt_u32_e32 vcc_lo, 0x71, v4
	v_or_b32_e32 v9, 0x800000, v5
	v_cndmask_b32_e32 v8, 0, v8, vcc_lo
	v_cmp_eq_u32_e32 vcc_lo, 0, v4
	v_add_nc_u32_e32 v4, 0xffffff91, v4
	v_cndmask_b32_e64 v8, v8, 0x6f, vcc_lo
	v_cndmask_b32_e32 v5, v9, v5, vcc_lo
	v_cndmask_b32_e64 v4, v4, 0xffffff92, vcc_lo
	v_lshl_add_u32 v9, 0x200000, v8, -1
	v_lshrrev_b32_e32 v17, v8, v5
	v_lshlrev_b32_e64 v20, v8, 0x100000
	v_add_nc_u32_e32 v8, v8, v4
	v_and_b32_e32 v5, v9, v5
	v_bfe_u32 v18, v17, 21, 1
	v_cmp_eq_u32_e64 s17, v5, v20
	v_add_nc_u32_e32 v9, -1, v18
	v_cndmask_b32_e64 v5, 0, v9, s17
	v_lshrrev_b32_e32 v9, 23, v17
	s_mov_b32 s17, exec_lo
	v_add_nc_u32_e32 v5, v5, v17
	v_xor_b32_e32 v9, 1, v9
	v_and_b32_e32 v4, 0x1fffff, v5
	v_add_nc_u32_e32 v5, v4, v17
                                        ; implicit-def: $vgpr4
	v_cmpx_ne_u32_e64 v8, v9
	s_xor_b32 s17, exec_lo, s17
; %bb.3348:                             ;   in Loop: Header=BB4_3233 Depth=4
	v_cmp_lt_u32_e32 vcc_lo, 0xffffff, v5
	v_sub_nc_u32_e32 v4, v8, v9
	v_cndmask_b32_e64 v8, 0, 1, vcc_lo
	v_add_co_ci_u32_e64 v4, null, 0, v4, vcc_lo
	v_lshrrev_b32_e32 v5, v8, v5
; %bb.3349:                             ;   in Loop: Header=BB4_3233 Depth=4
	s_andn2_saveexec_b32 s17, s17
; %bb.3350:                             ;   in Loop: Header=BB4_3233 Depth=4
	v_bfe_u32 v4, v5, 23, 1
; %bb.3351:                             ;   in Loop: Header=BB4_3233 Depth=4
	s_or_b32 exec_lo, exec_lo, s17
	v_lshrrev_b32_e32 v5, 21, v5
	v_min_i32_e32 v8, 31, v4
	v_cmp_gt_i32_e32 vcc_lo, 32, v4
	v_and_b32_sdwa v1, v1, v101 dst_sel:DWORD dst_unused:UNUSED_PAD src0_sel:BYTE_3 src1_sel:DWORD
	v_lshlrev_b32_e32 v8, 2, v8
	v_cndmask_b32_e32 v5, 3, v5, vcc_lo
	v_and_b32_e32 v8, 0xfc, v8
	v_and_b32_e32 v9, 3, v5
	v_or_b32_e32 v4, v4, v5
	v_or3_b32 v1, v1, v8, v9
	v_cmp_ne_u32_e32 vcc_lo, 0, v4
	v_lshlrev_b32_e32 v1, 8, v1
	v_cndmask_b32_e32 v62, 0, v1, vcc_lo
.LBB4_3352:                             ;   in Loop: Header=BB4_3233 Depth=4
	s_or_b32 exec_lo, exec_lo, s76
.LBB4_3353:                             ;   in Loop: Header=BB4_3233 Depth=4
	s_or_b32 exec_lo, exec_lo, s75
	v_cmp_gt_i16_sdwa s75, v10, v100 src0_sel:BYTE_0 src1_sel:DWORD
	s_mov_b32 s17, 0
	s_and_saveexec_b32 s76, s75
	s_xor_b32 s75, exec_lo, s76
	s_cbranch_execz .LBB4_3799
; %bb.3354:                             ;   in Loop: Header=BB4_3233 Depth=4
	v_cmp_eq_u16_sdwa s77, v10, v101 src0_sel:BYTE_0 src1_sel:DWORD
	s_mov_b32 s17, -1
	s_and_saveexec_b32 s76, s77
; %bb.3355:                             ;   in Loop: Header=BB4_3233 Depth=4
	s_xor_b32 s17, exec_lo, -1
; %bb.3356:                             ;   in Loop: Header=BB4_3233 Depth=4
	s_or_b32 exec_lo, exec_lo, s76
	s_and_b32 s17, s17, exec_lo
	s_or_saveexec_b32 s75, s75
	v_mov_b32_e32 v1, 0x7f800001
	s_xor_b32 exec_lo, exec_lo, s75
	s_cbranch_execnz .LBB4_3800
.LBB4_3357:                             ;   in Loop: Header=BB4_3233 Depth=4
	s_or_b32 exec_lo, exec_lo, s75
	s_and_saveexec_b32 s75, s17
	s_cbranch_execz .LBB4_3359
.LBB4_3358:                             ;   in Loop: Header=BB4_3233 Depth=4
	v_and_b32_e32 v1, 3, v10
	v_bfe_u32 v8, v10, 2, 5
	v_lshlrev_b32_e32 v9, 24, v10
	v_ffbh_u32_e32 v4, v1
	v_cmp_eq_u32_e32 vcc_lo, 0, v8
	v_min_u32_e32 v4, 32, v4
	v_subrev_nc_u32_e32 v5, 29, v4
	v_sub_nc_u32_e32 v4, 30, v4
	v_lshlrev_b32_e32 v5, v5, v10
	v_cndmask_b32_e32 v4, v8, v4, vcc_lo
	v_and_b32_e32 v5, 3, v5
	v_lshl_add_u32 v4, v4, 23, 0x37800000
	v_cndmask_b32_e32 v1, v1, v5, vcc_lo
	v_and_b32_e32 v5, 0x80000000, v9
	v_lshlrev_b32_e32 v1, 21, v1
	v_or3_b32 v1, v5, v4, v1
.LBB4_3359:                             ;   in Loop: Header=BB4_3233 Depth=4
	s_or_b32 exec_lo, exec_lo, s75
	v_mul_f32_e32 v1, s74, v1
	v_mov_b32_e32 v21, 0x80
	s_mov_b32 s75, exec_lo
	v_and_b32_e32 v4, 0x7f800000, v1
	v_cmpx_ne_u32_e32 0x7f800000, v4
	s_cbranch_execz .LBB4_3367
; %bb.3360:                             ;   in Loop: Header=BB4_3233 Depth=4
	v_mov_b32_e32 v21, 0
	s_mov_b32 s76, exec_lo
	v_cmpx_ne_u32_e32 0, v1
	s_cbranch_execz .LBB4_3366
; %bb.3361:                             ;   in Loop: Header=BB4_3233 Depth=4
	v_bfe_u32 v4, v1, 23, 8
	v_and_b32_e32 v5, 0x7fffff, v1
	v_sub_nc_u32_e32 v8, 0x70, v4
	v_cmp_gt_u32_e32 vcc_lo, 0x71, v4
	v_or_b32_e32 v9, 0x800000, v5
	v_cndmask_b32_e32 v8, 0, v8, vcc_lo
	v_cmp_eq_u32_e32 vcc_lo, 0, v4
	v_add_nc_u32_e32 v4, 0xffffff91, v4
	v_cndmask_b32_e64 v8, v8, 0x6f, vcc_lo
	v_cndmask_b32_e32 v5, v9, v5, vcc_lo
	v_cndmask_b32_e64 v4, v4, 0xffffff92, vcc_lo
	v_lshl_add_u32 v9, 0x200000, v8, -1
	v_lshrrev_b32_e32 v17, v8, v5
	v_lshlrev_b32_e64 v20, v8, 0x100000
	v_add_nc_u32_e32 v8, v8, v4
	v_and_b32_e32 v5, v9, v5
	v_bfe_u32 v18, v17, 21, 1
	v_cmp_eq_u32_e64 s17, v5, v20
	v_add_nc_u32_e32 v9, -1, v18
	v_cndmask_b32_e64 v5, 0, v9, s17
	v_lshrrev_b32_e32 v9, 23, v17
	s_mov_b32 s17, exec_lo
	v_add_nc_u32_e32 v5, v5, v17
	v_xor_b32_e32 v9, 1, v9
	v_and_b32_e32 v4, 0x1fffff, v5
	v_add_nc_u32_e32 v5, v4, v17
                                        ; implicit-def: $vgpr4
	v_cmpx_ne_u32_e64 v8, v9
	s_xor_b32 s17, exec_lo, s17
; %bb.3362:                             ;   in Loop: Header=BB4_3233 Depth=4
	v_cmp_lt_u32_e32 vcc_lo, 0xffffff, v5
	v_sub_nc_u32_e32 v4, v8, v9
	v_cndmask_b32_e64 v8, 0, 1, vcc_lo
	v_add_co_ci_u32_e64 v4, null, 0, v4, vcc_lo
	v_lshrrev_b32_e32 v5, v8, v5
; %bb.3363:                             ;   in Loop: Header=BB4_3233 Depth=4
	s_andn2_saveexec_b32 s17, s17
; %bb.3364:                             ;   in Loop: Header=BB4_3233 Depth=4
	v_bfe_u32 v4, v5, 23, 1
; %bb.3365:                             ;   in Loop: Header=BB4_3233 Depth=4
	s_or_b32 exec_lo, exec_lo, s17
	v_lshrrev_b32_e32 v5, 21, v5
	v_min_i32_e32 v8, 31, v4
	v_cmp_gt_i32_e32 vcc_lo, 32, v4
	v_and_b32_sdwa v1, v1, v101 dst_sel:DWORD dst_unused:UNUSED_PAD src0_sel:BYTE_3 src1_sel:DWORD
	v_lshlrev_b32_e32 v8, 2, v8
	v_cndmask_b32_e32 v5, 3, v5, vcc_lo
	v_and_b32_e32 v8, 0xfc, v8
	v_and_b32_e32 v9, 3, v5
	v_or_b32_e32 v4, v4, v5
	v_or3_b32 v1, v8, v1, v9
	v_cmp_ne_u32_e32 vcc_lo, 0, v4
	v_cndmask_b32_e32 v21, 0, v1, vcc_lo
.LBB4_3366:                             ;   in Loop: Header=BB4_3233 Depth=4
	s_or_b32 exec_lo, exec_lo, s76
.LBB4_3367:                             ;   in Loop: Header=BB4_3233 Depth=4
	s_or_b32 exec_lo, exec_lo, s75
	v_cmp_gt_i16_sdwa s75, v10, v100 src0_sel:BYTE_1 src1_sel:DWORD
	s_mov_b32 s17, 0
	s_and_saveexec_b32 s76, s75
	s_xor_b32 s75, exec_lo, s76
	s_cbranch_execz .LBB4_3801
; %bb.3368:                             ;   in Loop: Header=BB4_3233 Depth=4
	v_cmp_eq_u16_sdwa s77, v10, v101 src0_sel:BYTE_1 src1_sel:DWORD
	s_mov_b32 s17, -1
	s_and_saveexec_b32 s76, s77
; %bb.3369:                             ;   in Loop: Header=BB4_3233 Depth=4
	s_xor_b32 s17, exec_lo, -1
; %bb.3370:                             ;   in Loop: Header=BB4_3233 Depth=4
	s_or_b32 exec_lo, exec_lo, s76
	s_and_b32 s17, s17, exec_lo
	s_or_saveexec_b32 s75, s75
	v_mov_b32_e32 v1, 0x7f800001
	s_xor_b32 exec_lo, exec_lo, s75
	s_cbranch_execnz .LBB4_3802
.LBB4_3371:                             ;   in Loop: Header=BB4_3233 Depth=4
	s_or_b32 exec_lo, exec_lo, s75
	s_and_saveexec_b32 s75, s17
	s_cbranch_execz .LBB4_3373
.LBB4_3372:                             ;   in Loop: Header=BB4_3233 Depth=4
	v_and_b32_sdwa v1, v102, v10 dst_sel:DWORD dst_unused:UNUSED_PAD src0_sel:DWORD src1_sel:BYTE_1
	v_and_b32_e32 v4, 3, v1
	v_bfe_u32 v9, v1, 2, 5
	v_ffbh_u32_e32 v5, v4
	v_cmp_eq_u32_e32 vcc_lo, 0, v9
	v_min_u32_e32 v5, 32, v5
	v_subrev_nc_u32_e32 v8, 29, v5
	v_sub_nc_u32_e32 v5, 30, v5
	v_lshlrev_b32_e32 v1, v8, v1
	v_lshlrev_b32_sdwa v8, v103, v10 dst_sel:DWORD dst_unused:UNUSED_PAD src0_sel:DWORD src1_sel:BYTE_1
	v_cndmask_b32_e32 v5, v9, v5, vcc_lo
	v_and_b32_e32 v1, 3, v1
	v_lshl_add_u32 v5, v5, 23, 0x37800000
	v_cndmask_b32_e32 v1, v4, v1, vcc_lo
	v_and_b32_e32 v4, 0x80000000, v8
	v_lshlrev_b32_e32 v1, 21, v1
	v_or3_b32 v1, v4, v5, v1
.LBB4_3373:                             ;   in Loop: Header=BB4_3233 Depth=4
	s_or_b32 exec_lo, exec_lo, s75
	v_mul_f32_e32 v1, s74, v1
	v_mov_b32_e32 v60, 0x8000
	s_mov_b32 s75, exec_lo
	v_and_b32_e32 v4, 0x7f800000, v1
	v_cmpx_ne_u32_e32 0x7f800000, v4
	s_cbranch_execz .LBB4_3381
; %bb.3374:                             ;   in Loop: Header=BB4_3233 Depth=4
	v_mov_b32_e32 v60, 0
	s_mov_b32 s76, exec_lo
	v_cmpx_ne_u32_e32 0, v1
	s_cbranch_execz .LBB4_3380
; %bb.3375:                             ;   in Loop: Header=BB4_3233 Depth=4
	v_bfe_u32 v4, v1, 23, 8
	v_and_b32_e32 v5, 0x7fffff, v1
	v_sub_nc_u32_e32 v8, 0x70, v4
	v_cmp_gt_u32_e32 vcc_lo, 0x71, v4
	v_or_b32_e32 v9, 0x800000, v5
	v_cndmask_b32_e32 v8, 0, v8, vcc_lo
	v_cmp_eq_u32_e32 vcc_lo, 0, v4
	v_add_nc_u32_e32 v4, 0xffffff91, v4
	v_cndmask_b32_e64 v8, v8, 0x6f, vcc_lo
	v_cndmask_b32_e32 v5, v9, v5, vcc_lo
	v_cndmask_b32_e64 v4, v4, 0xffffff92, vcc_lo
	v_lshl_add_u32 v9, 0x200000, v8, -1
	v_lshrrev_b32_e32 v17, v8, v5
	v_lshlrev_b32_e64 v20, v8, 0x100000
	v_add_nc_u32_e32 v8, v8, v4
	v_and_b32_e32 v5, v9, v5
	v_bfe_u32 v18, v17, 21, 1
	v_cmp_eq_u32_e64 s17, v5, v20
	v_add_nc_u32_e32 v9, -1, v18
	v_cndmask_b32_e64 v5, 0, v9, s17
	v_lshrrev_b32_e32 v9, 23, v17
	s_mov_b32 s17, exec_lo
	v_add_nc_u32_e32 v5, v5, v17
	v_xor_b32_e32 v9, 1, v9
	v_and_b32_e32 v4, 0x1fffff, v5
	v_add_nc_u32_e32 v5, v4, v17
                                        ; implicit-def: $vgpr4
	v_cmpx_ne_u32_e64 v8, v9
	s_xor_b32 s17, exec_lo, s17
; %bb.3376:                             ;   in Loop: Header=BB4_3233 Depth=4
	v_cmp_lt_u32_e32 vcc_lo, 0xffffff, v5
	v_sub_nc_u32_e32 v4, v8, v9
	v_cndmask_b32_e64 v8, 0, 1, vcc_lo
	v_add_co_ci_u32_e64 v4, null, 0, v4, vcc_lo
	v_lshrrev_b32_e32 v5, v8, v5
; %bb.3377:                             ;   in Loop: Header=BB4_3233 Depth=4
	s_andn2_saveexec_b32 s17, s17
; %bb.3378:                             ;   in Loop: Header=BB4_3233 Depth=4
	v_bfe_u32 v4, v5, 23, 1
; %bb.3379:                             ;   in Loop: Header=BB4_3233 Depth=4
	s_or_b32 exec_lo, exec_lo, s17
	v_lshrrev_b32_e32 v5, 21, v5
	v_min_i32_e32 v8, 31, v4
	v_cmp_gt_i32_e32 vcc_lo, 32, v4
	v_and_b32_sdwa v1, v1, v101 dst_sel:DWORD dst_unused:UNUSED_PAD src0_sel:BYTE_3 src1_sel:DWORD
	v_lshlrev_b32_e32 v8, 2, v8
	v_cndmask_b32_e32 v5, 3, v5, vcc_lo
	v_and_b32_e32 v8, 0xfc, v8
	v_and_b32_e32 v9, 3, v5
	v_or_b32_e32 v4, v4, v5
	v_or3_b32 v1, v1, v8, v9
	v_cmp_ne_u32_e32 vcc_lo, 0, v4
	v_lshlrev_b32_e32 v1, 8, v1
	v_cndmask_b32_e32 v60, 0, v1, vcc_lo
.LBB4_3380:                             ;   in Loop: Header=BB4_3233 Depth=4
	s_or_b32 exec_lo, exec_lo, s76
.LBB4_3381:                             ;   in Loop: Header=BB4_3233 Depth=4
	s_or_b32 exec_lo, exec_lo, s75
	v_and_b32_sdwa v4, v10, v112 dst_sel:DWORD dst_unused:UNUSED_PAD src0_sel:WORD_1 src1_sel:DWORD
	s_mov_b32 s17, 0
	s_mov_b32 s75, exec_lo
	v_cmpx_lt_i16_e32 0x7f, v4
	s_xor_b32 s75, exec_lo, s75
	s_cbranch_execz .LBB4_3803
; %bb.3382:                             ;   in Loop: Header=BB4_3233 Depth=4
	s_mov_b32 s17, -1
	s_mov_b32 s76, exec_lo
	v_cmpx_eq_u16_e32 0x80, v4
; %bb.3383:                             ;   in Loop: Header=BB4_3233 Depth=4
	s_xor_b32 s17, exec_lo, -1
; %bb.3384:                             ;   in Loop: Header=BB4_3233 Depth=4
	s_or_b32 exec_lo, exec_lo, s76
	s_and_b32 s17, s17, exec_lo
                                        ; implicit-def: $vgpr4
	s_or_saveexec_b32 s75, s75
	v_mov_b32_e32 v1, 0x7f800001
	s_xor_b32 exec_lo, exec_lo, s75
	s_cbranch_execnz .LBB4_3804
.LBB4_3385:                             ;   in Loop: Header=BB4_3233 Depth=4
	s_or_b32 exec_lo, exec_lo, s75
	s_and_saveexec_b32 s75, s17
	s_cbranch_execz .LBB4_3387
.LBB4_3386:                             ;   in Loop: Header=BB4_3233 Depth=4
	v_bfe_u32 v1, v10, 16, 2
	v_bfe_u32 v8, v10, 18, 5
	v_lshlrev_b32_e32 v9, 8, v10
	v_ffbh_u32_e32 v4, v1
	v_cmp_eq_u32_e32 vcc_lo, 0, v8
	v_min_u32_e32 v4, 32, v4
	v_subrev_nc_u32_e32 v5, 29, v4
	v_sub_nc_u32_e32 v4, 30, v4
	v_lshlrev_b32_sdwa v5, v5, v10 dst_sel:DWORD dst_unused:UNUSED_PAD src0_sel:DWORD src1_sel:WORD_1
	v_cndmask_b32_e32 v4, v8, v4, vcc_lo
	v_and_b32_e32 v5, 3, v5
	v_lshl_add_u32 v4, v4, 23, 0x37800000
	v_cndmask_b32_e32 v1, v1, v5, vcc_lo
	v_and_b32_e32 v5, 0x80000000, v9
	v_lshlrev_b32_e32 v1, 21, v1
	v_or3_b32 v1, v5, v4, v1
.LBB4_3387:                             ;   in Loop: Header=BB4_3233 Depth=4
	s_or_b32 exec_lo, exec_lo, s75
	v_mul_f32_e32 v1, s74, v1
	v_and_b32_e32 v4, 0x7f800000, v1
	v_cmp_ne_u32_e32 vcc_lo, 0x7f800000, v4
	v_mov_b32_e32 v4, 0x80
	s_and_saveexec_b32 s75, vcc_lo
	s_cbranch_execz .LBB4_3395
; %bb.3388:                             ;   in Loop: Header=BB4_3233 Depth=4
	v_mov_b32_e32 v4, 0
	s_mov_b32 s76, exec_lo
	v_cmpx_ne_u32_e32 0, v1
	s_cbranch_execz .LBB4_3394
; %bb.3389:                             ;   in Loop: Header=BB4_3233 Depth=4
	v_bfe_u32 v4, v1, 23, 8
	v_and_b32_e32 v5, 0x7fffff, v1
	v_sub_nc_u32_e32 v8, 0x70, v4
	v_cmp_gt_u32_e32 vcc_lo, 0x71, v4
	v_or_b32_e32 v9, 0x800000, v5
	v_cndmask_b32_e32 v8, 0, v8, vcc_lo
	v_cmp_eq_u32_e32 vcc_lo, 0, v4
	v_add_nc_u32_e32 v4, 0xffffff91, v4
	v_cndmask_b32_e64 v8, v8, 0x6f, vcc_lo
	v_cndmask_b32_e32 v5, v9, v5, vcc_lo
	v_cndmask_b32_e64 v4, v4, 0xffffff92, vcc_lo
	v_lshl_add_u32 v9, 0x200000, v8, -1
	v_lshrrev_b32_e32 v17, v8, v5
	v_lshlrev_b32_e64 v20, v8, 0x100000
	v_add_nc_u32_e32 v8, v8, v4
	v_and_b32_e32 v5, v9, v5
	v_bfe_u32 v18, v17, 21, 1
	v_cmp_eq_u32_e64 s17, v5, v20
	v_add_nc_u32_e32 v9, -1, v18
	v_cndmask_b32_e64 v5, 0, v9, s17
	v_lshrrev_b32_e32 v9, 23, v17
	s_mov_b32 s17, exec_lo
	v_add_nc_u32_e32 v5, v5, v17
	v_xor_b32_e32 v9, 1, v9
	v_and_b32_e32 v4, 0x1fffff, v5
	v_add_nc_u32_e32 v5, v4, v17
                                        ; implicit-def: $vgpr4
	v_cmpx_ne_u32_e64 v8, v9
	s_xor_b32 s17, exec_lo, s17
; %bb.3390:                             ;   in Loop: Header=BB4_3233 Depth=4
	v_cmp_lt_u32_e32 vcc_lo, 0xffffff, v5
	v_sub_nc_u32_e32 v4, v8, v9
	v_cndmask_b32_e64 v8, 0, 1, vcc_lo
	v_add_co_ci_u32_e64 v4, null, 0, v4, vcc_lo
	v_lshrrev_b32_e32 v5, v8, v5
; %bb.3391:                             ;   in Loop: Header=BB4_3233 Depth=4
	s_andn2_saveexec_b32 s17, s17
; %bb.3392:                             ;   in Loop: Header=BB4_3233 Depth=4
	v_bfe_u32 v4, v5, 23, 1
; %bb.3393:                             ;   in Loop: Header=BB4_3233 Depth=4
	s_or_b32 exec_lo, exec_lo, s17
	v_lshrrev_b32_e32 v5, 21, v5
	v_min_i32_e32 v8, 31, v4
	v_cmp_gt_i32_e32 vcc_lo, 32, v4
	v_and_b32_sdwa v1, v1, v101 dst_sel:DWORD dst_unused:UNUSED_PAD src0_sel:BYTE_3 src1_sel:DWORD
	v_lshlrev_b32_e32 v8, 2, v8
	v_cndmask_b32_e32 v5, 3, v5, vcc_lo
	v_and_b32_e32 v8, 0xfc, v8
	v_and_b32_e32 v9, 3, v5
	v_or_b32_e32 v4, v4, v5
	v_or3_b32 v1, v8, v1, v9
	v_cmp_ne_u32_e32 vcc_lo, 0, v4
	v_cndmask_b32_e32 v4, 0, v1, vcc_lo
.LBB4_3394:                             ;   in Loop: Header=BB4_3233 Depth=4
	s_or_b32 exec_lo, exec_lo, s76
.LBB4_3395:                             ;   in Loop: Header=BB4_3233 Depth=4
	s_or_b32 exec_lo, exec_lo, s75
	v_cmp_gt_i16_sdwa s75, v10, v100 src0_sel:BYTE_3 src1_sel:DWORD
	s_mov_b32 s17, 0
	s_and_saveexec_b32 s76, s75
	s_xor_b32 s75, exec_lo, s76
	s_cbranch_execz .LBB4_3805
; %bb.3396:                             ;   in Loop: Header=BB4_3233 Depth=4
	v_cmp_eq_u16_sdwa s77, v10, v101 src0_sel:BYTE_3 src1_sel:DWORD
	s_mov_b32 s17, -1
	s_and_saveexec_b32 s76, s77
; %bb.3397:                             ;   in Loop: Header=BB4_3233 Depth=4
	s_xor_b32 s17, exec_lo, -1
; %bb.3398:                             ;   in Loop: Header=BB4_3233 Depth=4
	s_or_b32 exec_lo, exec_lo, s76
	s_and_b32 s17, s17, exec_lo
	s_or_saveexec_b32 s75, s75
	v_mov_b32_e32 v1, 0x7f800001
	s_xor_b32 exec_lo, exec_lo, s75
	s_cbranch_execnz .LBB4_3806
.LBB4_3399:                             ;   in Loop: Header=BB4_3233 Depth=4
	s_or_b32 exec_lo, exec_lo, s75
	s_and_saveexec_b32 s75, s17
	s_cbranch_execz .LBB4_3401
.LBB4_3400:                             ;   in Loop: Header=BB4_3233 Depth=4
	v_bfe_u32 v1, v10, 24, 2
	v_bfe_u32 v9, v10, 26, 5
	v_ffbh_u32_e32 v5, v1
	v_cmp_eq_u32_e32 vcc_lo, 0, v9
	v_min_u32_e32 v5, 32, v5
	v_subrev_nc_u32_e32 v8, 29, v5
	v_sub_nc_u32_e32 v5, 30, v5
	v_lshlrev_b32_sdwa v8, v8, v10 dst_sel:DWORD dst_unused:UNUSED_PAD src0_sel:DWORD src1_sel:BYTE_3
	v_cndmask_b32_e32 v5, v9, v5, vcc_lo
	v_and_b32_e32 v8, 3, v8
	v_lshl_add_u32 v5, v5, 23, 0x37800000
	v_cndmask_b32_e32 v1, v1, v8, vcc_lo
	v_and_b32_e32 v8, 0x80000000, v10
	v_lshlrev_b32_e32 v1, 21, v1
	v_or3_b32 v1, v8, v5, v1
.LBB4_3401:                             ;   in Loop: Header=BB4_3233 Depth=4
	s_or_b32 exec_lo, exec_lo, s75
	v_mul_f32_e32 v1, s74, v1
	v_mov_b32_e32 v36, 0x8000
	s_mov_b32 s75, exec_lo
	v_and_b32_e32 v5, 0x7f800000, v1
	v_cmpx_ne_u32_e32 0x7f800000, v5
	s_cbranch_execz .LBB4_3409
; %bb.3402:                             ;   in Loop: Header=BB4_3233 Depth=4
	v_mov_b32_e32 v36, 0
	s_mov_b32 s76, exec_lo
	v_cmpx_ne_u32_e32 0, v1
	s_cbranch_execz .LBB4_3408
; %bb.3403:                             ;   in Loop: Header=BB4_3233 Depth=4
	v_bfe_u32 v5, v1, 23, 8
	v_and_b32_e32 v8, 0x7fffff, v1
	v_sub_nc_u32_e32 v9, 0x70, v5
	v_cmp_gt_u32_e32 vcc_lo, 0x71, v5
	v_or_b32_e32 v10, 0x800000, v8
	v_cndmask_b32_e32 v9, 0, v9, vcc_lo
	v_cmp_eq_u32_e32 vcc_lo, 0, v5
	v_add_nc_u32_e32 v5, 0xffffff91, v5
	v_cndmask_b32_e64 v9, v9, 0x6f, vcc_lo
	v_cndmask_b32_e32 v8, v10, v8, vcc_lo
	v_cndmask_b32_e64 v5, v5, 0xffffff92, vcc_lo
	v_lshl_add_u32 v10, 0x200000, v9, -1
	v_lshrrev_b32_e32 v17, v9, v8
	v_lshlrev_b32_e64 v20, v9, 0x100000
	v_add_nc_u32_e32 v9, v9, v5
	v_and_b32_e32 v8, v10, v8
	v_bfe_u32 v18, v17, 21, 1
	v_cmp_eq_u32_e64 s17, v8, v20
	v_add_nc_u32_e32 v10, -1, v18
	v_cndmask_b32_e64 v8, 0, v10, s17
	v_lshrrev_b32_e32 v10, 23, v17
	s_mov_b32 s17, exec_lo
	v_add_nc_u32_e32 v8, v8, v17
	v_xor_b32_e32 v10, 1, v10
	v_and_b32_e32 v5, 0x1fffff, v8
	v_add_nc_u32_e32 v8, v5, v17
                                        ; implicit-def: $vgpr5
	v_cmpx_ne_u32_e64 v9, v10
	s_xor_b32 s17, exec_lo, s17
; %bb.3404:                             ;   in Loop: Header=BB4_3233 Depth=4
	v_cmp_lt_u32_e32 vcc_lo, 0xffffff, v8
	v_sub_nc_u32_e32 v5, v9, v10
	v_cndmask_b32_e64 v9, 0, 1, vcc_lo
	v_add_co_ci_u32_e64 v5, null, 0, v5, vcc_lo
	v_lshrrev_b32_e32 v8, v9, v8
; %bb.3405:                             ;   in Loop: Header=BB4_3233 Depth=4
	s_andn2_saveexec_b32 s17, s17
; %bb.3406:                             ;   in Loop: Header=BB4_3233 Depth=4
	v_bfe_u32 v5, v8, 23, 1
; %bb.3407:                             ;   in Loop: Header=BB4_3233 Depth=4
	s_or_b32 exec_lo, exec_lo, s17
	v_lshrrev_b32_e32 v8, 21, v8
	v_min_i32_e32 v9, 31, v5
	v_cmp_gt_i32_e32 vcc_lo, 32, v5
	v_and_b32_sdwa v1, v1, v101 dst_sel:DWORD dst_unused:UNUSED_PAD src0_sel:BYTE_3 src1_sel:DWORD
	v_lshlrev_b32_e32 v9, 2, v9
	v_cndmask_b32_e32 v8, 3, v8, vcc_lo
	v_and_b32_e32 v9, 0xfc, v9
	v_and_b32_e32 v10, 3, v8
	v_or_b32_e32 v5, v5, v8
	v_or3_b32 v1, v1, v9, v10
	v_cmp_ne_u32_e32 vcc_lo, 0, v5
	v_lshlrev_b32_e32 v1, 8, v1
	v_cndmask_b32_e32 v36, 0, v1, vcc_lo
.LBB4_3408:                             ;   in Loop: Header=BB4_3233 Depth=4
	s_or_b32 exec_lo, exec_lo, s76
.LBB4_3409:                             ;   in Loop: Header=BB4_3233 Depth=4
	s_or_b32 exec_lo, exec_lo, s75
	v_cmp_gt_i16_sdwa s75, v11, v100 src0_sel:BYTE_0 src1_sel:DWORD
	s_mov_b32 s17, 0
	s_and_saveexec_b32 s76, s75
	s_xor_b32 s75, exec_lo, s76
	s_cbranch_execz .LBB4_3807
; %bb.3410:                             ;   in Loop: Header=BB4_3233 Depth=4
	v_cmp_eq_u16_sdwa s77, v11, v101 src0_sel:BYTE_0 src1_sel:DWORD
	s_mov_b32 s17, -1
	s_and_saveexec_b32 s76, s77
; %bb.3411:                             ;   in Loop: Header=BB4_3233 Depth=4
	s_xor_b32 s17, exec_lo, -1
; %bb.3412:                             ;   in Loop: Header=BB4_3233 Depth=4
	s_or_b32 exec_lo, exec_lo, s76
	s_and_b32 s17, s17, exec_lo
	s_or_saveexec_b32 s75, s75
	v_mov_b32_e32 v1, 0x7f800001
	s_xor_b32 exec_lo, exec_lo, s75
	s_cbranch_execnz .LBB4_3808
.LBB4_3413:                             ;   in Loop: Header=BB4_3233 Depth=4
	s_or_b32 exec_lo, exec_lo, s75
	s_and_saveexec_b32 s75, s17
	s_cbranch_execz .LBB4_3415
.LBB4_3414:                             ;   in Loop: Header=BB4_3233 Depth=4
	v_and_b32_e32 v1, 3, v11
	v_bfe_u32 v9, v11, 2, 5
	v_lshlrev_b32_e32 v10, 24, v11
	v_ffbh_u32_e32 v5, v1
	v_cmp_eq_u32_e32 vcc_lo, 0, v9
	v_min_u32_e32 v5, 32, v5
	v_subrev_nc_u32_e32 v8, 29, v5
	v_sub_nc_u32_e32 v5, 30, v5
	v_lshlrev_b32_e32 v8, v8, v11
	v_cndmask_b32_e32 v5, v9, v5, vcc_lo
	v_and_b32_e32 v8, 3, v8
	v_lshl_add_u32 v5, v5, 23, 0x37800000
	v_cndmask_b32_e32 v1, v1, v8, vcc_lo
	v_and_b32_e32 v8, 0x80000000, v10
	v_lshlrev_b32_e32 v1, 21, v1
	v_or3_b32 v1, v8, v5, v1
.LBB4_3415:                             ;   in Loop: Header=BB4_3233 Depth=4
	s_or_b32 exec_lo, exec_lo, s75
	v_mul_f32_e32 v1, s74, v1
	v_mov_b32_e32 v18, 0x80
	s_mov_b32 s75, exec_lo
	v_and_b32_e32 v5, 0x7f800000, v1
	v_cmpx_ne_u32_e32 0x7f800000, v5
	s_cbranch_execz .LBB4_3423
; %bb.3416:                             ;   in Loop: Header=BB4_3233 Depth=4
	v_mov_b32_e32 v18, 0
	s_mov_b32 s76, exec_lo
	v_cmpx_ne_u32_e32 0, v1
	s_cbranch_execz .LBB4_3422
; %bb.3417:                             ;   in Loop: Header=BB4_3233 Depth=4
	v_bfe_u32 v5, v1, 23, 8
	v_and_b32_e32 v8, 0x7fffff, v1
	v_sub_nc_u32_e32 v9, 0x70, v5
	v_cmp_gt_u32_e32 vcc_lo, 0x71, v5
	v_or_b32_e32 v10, 0x800000, v8
	v_cndmask_b32_e32 v9, 0, v9, vcc_lo
	v_cmp_eq_u32_e32 vcc_lo, 0, v5
	v_add_nc_u32_e32 v5, 0xffffff91, v5
	v_cndmask_b32_e64 v9, v9, 0x6f, vcc_lo
	v_cndmask_b32_e32 v8, v10, v8, vcc_lo
	v_cndmask_b32_e64 v5, v5, 0xffffff92, vcc_lo
	v_lshl_add_u32 v10, 0x200000, v9, -1
	v_lshrrev_b32_e32 v17, v9, v8
	v_lshlrev_b32_e64 v20, v9, 0x100000
	v_add_nc_u32_e32 v9, v9, v5
	v_and_b32_e32 v8, v10, v8
	v_bfe_u32 v18, v17, 21, 1
	v_cmp_eq_u32_e64 s17, v8, v20
	v_add_nc_u32_e32 v10, -1, v18
	v_cndmask_b32_e64 v8, 0, v10, s17
	v_lshrrev_b32_e32 v10, 23, v17
	s_mov_b32 s17, exec_lo
	v_add_nc_u32_e32 v8, v8, v17
	v_xor_b32_e32 v10, 1, v10
	v_and_b32_e32 v5, 0x1fffff, v8
	v_add_nc_u32_e32 v8, v5, v17
                                        ; implicit-def: $vgpr5
	v_cmpx_ne_u32_e64 v9, v10
	s_xor_b32 s17, exec_lo, s17
; %bb.3418:                             ;   in Loop: Header=BB4_3233 Depth=4
	v_cmp_lt_u32_e32 vcc_lo, 0xffffff, v8
	v_sub_nc_u32_e32 v5, v9, v10
	v_cndmask_b32_e64 v9, 0, 1, vcc_lo
	v_add_co_ci_u32_e64 v5, null, 0, v5, vcc_lo
	v_lshrrev_b32_e32 v8, v9, v8
; %bb.3419:                             ;   in Loop: Header=BB4_3233 Depth=4
	s_andn2_saveexec_b32 s17, s17
; %bb.3420:                             ;   in Loop: Header=BB4_3233 Depth=4
	v_bfe_u32 v5, v8, 23, 1
; %bb.3421:                             ;   in Loop: Header=BB4_3233 Depth=4
	s_or_b32 exec_lo, exec_lo, s17
	v_lshrrev_b32_e32 v8, 21, v8
	v_min_i32_e32 v9, 31, v5
	v_cmp_gt_i32_e32 vcc_lo, 32, v5
	v_and_b32_sdwa v1, v1, v101 dst_sel:DWORD dst_unused:UNUSED_PAD src0_sel:BYTE_3 src1_sel:DWORD
	v_lshlrev_b32_e32 v9, 2, v9
	v_cndmask_b32_e32 v8, 3, v8, vcc_lo
	v_and_b32_e32 v9, 0xfc, v9
	v_and_b32_e32 v10, 3, v8
	v_or_b32_e32 v5, v5, v8
	v_or3_b32 v1, v9, v1, v10
	v_cmp_ne_u32_e32 vcc_lo, 0, v5
	v_cndmask_b32_e32 v18, 0, v1, vcc_lo
.LBB4_3422:                             ;   in Loop: Header=BB4_3233 Depth=4
	s_or_b32 exec_lo, exec_lo, s76
.LBB4_3423:                             ;   in Loop: Header=BB4_3233 Depth=4
	s_or_b32 exec_lo, exec_lo, s75
	v_cmp_gt_i16_sdwa s75, v11, v100 src0_sel:BYTE_1 src1_sel:DWORD
	s_mov_b32 s17, 0
	s_and_saveexec_b32 s76, s75
	s_xor_b32 s75, exec_lo, s76
	s_cbranch_execz .LBB4_3809
; %bb.3424:                             ;   in Loop: Header=BB4_3233 Depth=4
	v_cmp_eq_u16_sdwa s77, v11, v101 src0_sel:BYTE_1 src1_sel:DWORD
	s_mov_b32 s17, -1
	s_and_saveexec_b32 s76, s77
; %bb.3425:                             ;   in Loop: Header=BB4_3233 Depth=4
	s_xor_b32 s17, exec_lo, -1
; %bb.3426:                             ;   in Loop: Header=BB4_3233 Depth=4
	s_or_b32 exec_lo, exec_lo, s76
	s_and_b32 s17, s17, exec_lo
	s_or_saveexec_b32 s75, s75
	v_mov_b32_e32 v1, 0x7f800001
	s_xor_b32 exec_lo, exec_lo, s75
	s_cbranch_execnz .LBB4_3810
.LBB4_3427:                             ;   in Loop: Header=BB4_3233 Depth=4
	s_or_b32 exec_lo, exec_lo, s75
	s_and_saveexec_b32 s75, s17
	s_cbranch_execz .LBB4_3429
.LBB4_3428:                             ;   in Loop: Header=BB4_3233 Depth=4
	v_and_b32_sdwa v1, v102, v11 dst_sel:DWORD dst_unused:UNUSED_PAD src0_sel:DWORD src1_sel:BYTE_1
	v_and_b32_e32 v5, 3, v1
	v_bfe_u32 v10, v1, 2, 5
	v_ffbh_u32_e32 v8, v5
	v_cmp_eq_u32_e32 vcc_lo, 0, v10
	v_min_u32_e32 v8, 32, v8
	v_subrev_nc_u32_e32 v9, 29, v8
	v_sub_nc_u32_e32 v8, 30, v8
	v_lshlrev_b32_e32 v1, v9, v1
	v_lshlrev_b32_sdwa v9, v103, v11 dst_sel:DWORD dst_unused:UNUSED_PAD src0_sel:DWORD src1_sel:BYTE_1
	v_cndmask_b32_e32 v8, v10, v8, vcc_lo
	v_and_b32_e32 v1, 3, v1
	v_lshl_add_u32 v8, v8, 23, 0x37800000
	v_cndmask_b32_e32 v1, v5, v1, vcc_lo
	v_and_b32_e32 v5, 0x80000000, v9
	v_lshlrev_b32_e32 v1, 21, v1
	v_or3_b32 v1, v5, v8, v1
.LBB4_3429:                             ;   in Loop: Header=BB4_3233 Depth=4
	s_or_b32 exec_lo, exec_lo, s75
	v_mul_f32_e32 v1, s74, v1
	v_and_b32_e32 v5, 0x7f800000, v1
	v_cmp_ne_u32_e32 vcc_lo, 0x7f800000, v5
	v_mov_b32_e32 v5, 0x8000
	s_and_saveexec_b32 s75, vcc_lo
	s_cbranch_execz .LBB4_3437
; %bb.3430:                             ;   in Loop: Header=BB4_3233 Depth=4
	v_mov_b32_e32 v5, 0
	s_mov_b32 s76, exec_lo
	v_cmpx_ne_u32_e32 0, v1
	s_cbranch_execz .LBB4_3436
; %bb.3431:                             ;   in Loop: Header=BB4_3233 Depth=4
	v_bfe_u32 v5, v1, 23, 8
	v_and_b32_e32 v8, 0x7fffff, v1
	v_sub_nc_u32_e32 v9, 0x70, v5
	v_cmp_gt_u32_e32 vcc_lo, 0x71, v5
	v_or_b32_e32 v10, 0x800000, v8
	v_cndmask_b32_e32 v9, 0, v9, vcc_lo
	v_cmp_eq_u32_e32 vcc_lo, 0, v5
	v_add_nc_u32_e32 v5, 0xffffff91, v5
	v_cndmask_b32_e64 v9, v9, 0x6f, vcc_lo
	v_cndmask_b32_e32 v8, v10, v8, vcc_lo
	v_cndmask_b32_e64 v5, v5, 0xffffff92, vcc_lo
	v_lshl_add_u32 v10, 0x200000, v9, -1
	v_lshrrev_b32_e32 v17, v9, v8
	v_lshlrev_b32_e64 v31, v9, 0x100000
	v_add_nc_u32_e32 v9, v9, v5
	v_and_b32_e32 v8, v10, v8
	v_bfe_u32 v20, v17, 21, 1
	v_cmp_eq_u32_e64 s17, v8, v31
	v_add_nc_u32_e32 v10, -1, v20
	v_cndmask_b32_e64 v8, 0, v10, s17
	v_lshrrev_b32_e32 v10, 23, v17
	s_mov_b32 s17, exec_lo
	v_add_nc_u32_e32 v8, v8, v17
	v_xor_b32_e32 v10, 1, v10
	v_and_b32_e32 v5, 0x1fffff, v8
	v_add_nc_u32_e32 v8, v5, v17
                                        ; implicit-def: $vgpr5
	v_cmpx_ne_u32_e64 v9, v10
	s_xor_b32 s17, exec_lo, s17
; %bb.3432:                             ;   in Loop: Header=BB4_3233 Depth=4
	v_cmp_lt_u32_e32 vcc_lo, 0xffffff, v8
	v_sub_nc_u32_e32 v5, v9, v10
	v_cndmask_b32_e64 v9, 0, 1, vcc_lo
	v_add_co_ci_u32_e64 v5, null, 0, v5, vcc_lo
	v_lshrrev_b32_e32 v8, v9, v8
; %bb.3433:                             ;   in Loop: Header=BB4_3233 Depth=4
	s_andn2_saveexec_b32 s17, s17
; %bb.3434:                             ;   in Loop: Header=BB4_3233 Depth=4
	v_bfe_u32 v5, v8, 23, 1
; %bb.3435:                             ;   in Loop: Header=BB4_3233 Depth=4
	s_or_b32 exec_lo, exec_lo, s17
	v_lshrrev_b32_e32 v8, 21, v8
	v_min_i32_e32 v9, 31, v5
	v_cmp_gt_i32_e32 vcc_lo, 32, v5
	v_and_b32_sdwa v1, v1, v101 dst_sel:DWORD dst_unused:UNUSED_PAD src0_sel:BYTE_3 src1_sel:DWORD
	v_lshlrev_b32_e32 v9, 2, v9
	v_cndmask_b32_e32 v8, 3, v8, vcc_lo
	v_and_b32_e32 v9, 0xfc, v9
	v_and_b32_e32 v10, 3, v8
	v_or_b32_e32 v5, v5, v8
	v_or3_b32 v1, v1, v9, v10
	v_cmp_ne_u32_e32 vcc_lo, 0, v5
	v_lshlrev_b32_e32 v1, 8, v1
	v_cndmask_b32_e32 v5, 0, v1, vcc_lo
.LBB4_3436:                             ;   in Loop: Header=BB4_3233 Depth=4
	s_or_b32 exec_lo, exec_lo, s76
.LBB4_3437:                             ;   in Loop: Header=BB4_3233 Depth=4
	s_or_b32 exec_lo, exec_lo, s75
	v_and_b32_sdwa v8, v11, v112 dst_sel:DWORD dst_unused:UNUSED_PAD src0_sel:WORD_1 src1_sel:DWORD
	s_mov_b32 s17, 0
	s_mov_b32 s75, exec_lo
	v_cmpx_lt_i16_e32 0x7f, v8
	s_xor_b32 s75, exec_lo, s75
	s_cbranch_execz .LBB4_3811
; %bb.3438:                             ;   in Loop: Header=BB4_3233 Depth=4
	s_mov_b32 s17, -1
	s_mov_b32 s76, exec_lo
	v_cmpx_eq_u16_e32 0x80, v8
; %bb.3439:                             ;   in Loop: Header=BB4_3233 Depth=4
	s_xor_b32 s17, exec_lo, -1
; %bb.3440:                             ;   in Loop: Header=BB4_3233 Depth=4
	s_or_b32 exec_lo, exec_lo, s76
	s_and_b32 s17, s17, exec_lo
                                        ; implicit-def: $vgpr8
	s_or_saveexec_b32 s75, s75
	v_mov_b32_e32 v1, 0x7f800001
	s_xor_b32 exec_lo, exec_lo, s75
	s_cbranch_execnz .LBB4_3812
.LBB4_3441:                             ;   in Loop: Header=BB4_3233 Depth=4
	s_or_b32 exec_lo, exec_lo, s75
	s_and_saveexec_b32 s75, s17
	s_cbranch_execz .LBB4_3443
.LBB4_3442:                             ;   in Loop: Header=BB4_3233 Depth=4
	v_bfe_u32 v1, v11, 16, 2
	v_bfe_u32 v10, v11, 18, 5
	v_lshlrev_b32_e32 v17, 8, v11
	v_ffbh_u32_e32 v8, v1
	v_cmp_eq_u32_e32 vcc_lo, 0, v10
	v_min_u32_e32 v8, 32, v8
	v_subrev_nc_u32_e32 v9, 29, v8
	v_sub_nc_u32_e32 v8, 30, v8
	v_lshlrev_b32_sdwa v9, v9, v11 dst_sel:DWORD dst_unused:UNUSED_PAD src0_sel:DWORD src1_sel:WORD_1
	v_cndmask_b32_e32 v8, v10, v8, vcc_lo
	v_and_b32_e32 v9, 3, v9
	v_lshl_add_u32 v8, v8, 23, 0x37800000
	v_cndmask_b32_e32 v1, v1, v9, vcc_lo
	v_and_b32_e32 v9, 0x80000000, v17
	v_lshlrev_b32_e32 v1, 21, v1
	v_or3_b32 v1, v9, v8, v1
.LBB4_3443:                             ;   in Loop: Header=BB4_3233 Depth=4
	s_or_b32 exec_lo, exec_lo, s75
	v_mul_f32_e32 v1, s74, v1
	v_mov_b32_e32 v17, 0x80
	s_mov_b32 s75, exec_lo
	v_and_b32_e32 v8, 0x7f800000, v1
	v_cmpx_ne_u32_e32 0x7f800000, v8
	s_cbranch_execz .LBB4_3451
; %bb.3444:                             ;   in Loop: Header=BB4_3233 Depth=4
	v_mov_b32_e32 v17, 0
	s_mov_b32 s76, exec_lo
	v_cmpx_ne_u32_e32 0, v1
	s_cbranch_execz .LBB4_3450
; %bb.3445:                             ;   in Loop: Header=BB4_3233 Depth=4
	v_bfe_u32 v8, v1, 23, 8
	v_and_b32_e32 v9, 0x7fffff, v1
	v_sub_nc_u32_e32 v10, 0x70, v8
	v_cmp_gt_u32_e32 vcc_lo, 0x71, v8
	v_or_b32_e32 v17, 0x800000, v9
	v_cndmask_b32_e32 v10, 0, v10, vcc_lo
	v_cmp_eq_u32_e32 vcc_lo, 0, v8
	v_add_nc_u32_e32 v8, 0xffffff91, v8
	v_cndmask_b32_e64 v10, v10, 0x6f, vcc_lo
	v_cndmask_b32_e32 v9, v17, v9, vcc_lo
	v_cndmask_b32_e64 v8, v8, 0xffffff92, vcc_lo
	v_lshl_add_u32 v17, 0x200000, v10, -1
	v_lshrrev_b32_e32 v20, v10, v9
	v_lshlrev_b32_e64 v35, v10, 0x100000
	v_add_nc_u32_e32 v10, v10, v8
	v_and_b32_e32 v9, v17, v9
	v_bfe_u32 v31, v20, 21, 1
	v_cmp_eq_u32_e64 s17, v9, v35
	v_add_nc_u32_e32 v17, -1, v31
	v_cndmask_b32_e64 v9, 0, v17, s17
	v_lshrrev_b32_e32 v17, 23, v20
	s_mov_b32 s17, exec_lo
	v_add_nc_u32_e32 v9, v9, v20
	v_xor_b32_e32 v17, 1, v17
	v_and_b32_e32 v8, 0x1fffff, v9
	v_add_nc_u32_e32 v9, v8, v20
                                        ; implicit-def: $vgpr8
	v_cmpx_ne_u32_e64 v10, v17
	s_xor_b32 s17, exec_lo, s17
; %bb.3446:                             ;   in Loop: Header=BB4_3233 Depth=4
	v_cmp_lt_u32_e32 vcc_lo, 0xffffff, v9
	v_sub_nc_u32_e32 v8, v10, v17
	v_cndmask_b32_e64 v10, 0, 1, vcc_lo
	v_add_co_ci_u32_e64 v8, null, 0, v8, vcc_lo
	v_lshrrev_b32_e32 v9, v10, v9
; %bb.3447:                             ;   in Loop: Header=BB4_3233 Depth=4
	s_andn2_saveexec_b32 s17, s17
; %bb.3448:                             ;   in Loop: Header=BB4_3233 Depth=4
	v_bfe_u32 v8, v9, 23, 1
; %bb.3449:                             ;   in Loop: Header=BB4_3233 Depth=4
	s_or_b32 exec_lo, exec_lo, s17
	v_lshrrev_b32_e32 v9, 21, v9
	v_min_i32_e32 v10, 31, v8
	v_cmp_gt_i32_e32 vcc_lo, 32, v8
	v_and_b32_sdwa v1, v1, v101 dst_sel:DWORD dst_unused:UNUSED_PAD src0_sel:BYTE_3 src1_sel:DWORD
	v_lshlrev_b32_e32 v10, 2, v10
	v_cndmask_b32_e32 v9, 3, v9, vcc_lo
	v_and_b32_e32 v10, 0xfc, v10
	v_and_b32_e32 v17, 3, v9
	v_or_b32_e32 v8, v8, v9
	v_or3_b32 v1, v10, v1, v17
	v_cmp_ne_u32_e32 vcc_lo, 0, v8
	v_cndmask_b32_e32 v17, 0, v1, vcc_lo
.LBB4_3450:                             ;   in Loop: Header=BB4_3233 Depth=4
	s_or_b32 exec_lo, exec_lo, s76
.LBB4_3451:                             ;   in Loop: Header=BB4_3233 Depth=4
	s_or_b32 exec_lo, exec_lo, s75
	v_cmp_gt_i16_sdwa s75, v11, v100 src0_sel:BYTE_3 src1_sel:DWORD
	s_mov_b32 s17, 0
	s_and_saveexec_b32 s76, s75
	s_xor_b32 s75, exec_lo, s76
	s_cbranch_execz .LBB4_3813
; %bb.3452:                             ;   in Loop: Header=BB4_3233 Depth=4
	v_cmp_eq_u16_sdwa s77, v11, v101 src0_sel:BYTE_3 src1_sel:DWORD
	s_mov_b32 s17, -1
	s_and_saveexec_b32 s76, s77
; %bb.3453:                             ;   in Loop: Header=BB4_3233 Depth=4
	s_xor_b32 s17, exec_lo, -1
; %bb.3454:                             ;   in Loop: Header=BB4_3233 Depth=4
	s_or_b32 exec_lo, exec_lo, s76
	s_and_b32 s17, s17, exec_lo
	s_or_saveexec_b32 s75, s75
	v_mov_b32_e32 v1, 0x7f800001
	s_xor_b32 exec_lo, exec_lo, s75
	s_cbranch_execnz .LBB4_3814
.LBB4_3455:                             ;   in Loop: Header=BB4_3233 Depth=4
	s_or_b32 exec_lo, exec_lo, s75
	s_and_saveexec_b32 s75, s17
	s_cbranch_execz .LBB4_3457
.LBB4_3456:                             ;   in Loop: Header=BB4_3233 Depth=4
	v_bfe_u32 v1, v11, 24, 2
	v_bfe_u32 v10, v11, 26, 5
	v_ffbh_u32_e32 v8, v1
	v_cmp_eq_u32_e32 vcc_lo, 0, v10
	v_min_u32_e32 v8, 32, v8
	v_subrev_nc_u32_e32 v9, 29, v8
	v_sub_nc_u32_e32 v8, 30, v8
	v_lshlrev_b32_sdwa v9, v9, v11 dst_sel:DWORD dst_unused:UNUSED_PAD src0_sel:DWORD src1_sel:BYTE_3
	v_cndmask_b32_e32 v8, v10, v8, vcc_lo
	v_and_b32_e32 v9, 3, v9
	v_lshl_add_u32 v8, v8, 23, 0x37800000
	v_cndmask_b32_e32 v1, v1, v9, vcc_lo
	v_and_b32_e32 v9, 0x80000000, v11
	v_lshlrev_b32_e32 v1, 21, v1
	v_or3_b32 v1, v9, v8, v1
.LBB4_3457:                             ;   in Loop: Header=BB4_3233 Depth=4
	s_or_b32 exec_lo, exec_lo, s75
	v_mul_f32_e32 v1, s74, v1
	v_mov_b32_e32 v20, 0x8000
	s_mov_b32 s74, exec_lo
	v_and_b32_e32 v8, 0x7f800000, v1
	v_cmpx_ne_u32_e32 0x7f800000, v8
	s_cbranch_execz .LBB4_3465
; %bb.3458:                             ;   in Loop: Header=BB4_3233 Depth=4
	v_mov_b32_e32 v20, 0
	s_mov_b32 s75, exec_lo
	v_cmpx_ne_u32_e32 0, v1
	s_cbranch_execz .LBB4_3464
; %bb.3459:                             ;   in Loop: Header=BB4_3233 Depth=4
	v_bfe_u32 v8, v1, 23, 8
	v_and_b32_e32 v9, 0x7fffff, v1
	v_sub_nc_u32_e32 v10, 0x70, v8
	v_cmp_gt_u32_e32 vcc_lo, 0x71, v8
	v_or_b32_e32 v11, 0x800000, v9
	v_cndmask_b32_e32 v10, 0, v10, vcc_lo
	v_cmp_eq_u32_e32 vcc_lo, 0, v8
	v_add_nc_u32_e32 v8, 0xffffff91, v8
	v_cndmask_b32_e64 v10, v10, 0x6f, vcc_lo
	v_cndmask_b32_e32 v9, v11, v9, vcc_lo
	v_cndmask_b32_e64 v8, v8, 0xffffff92, vcc_lo
	v_lshl_add_u32 v11, 0x200000, v10, -1
	v_lshrrev_b32_e32 v20, v10, v9
	v_lshlrev_b32_e64 v35, v10, 0x100000
	v_add_nc_u32_e32 v10, v10, v8
	v_and_b32_e32 v9, v11, v9
	v_bfe_u32 v31, v20, 21, 1
	v_cmp_eq_u32_e64 s17, v9, v35
	v_add_nc_u32_e32 v11, -1, v31
	v_cndmask_b32_e64 v9, 0, v11, s17
	v_lshrrev_b32_e32 v11, 23, v20
	s_mov_b32 s17, exec_lo
	v_add_nc_u32_e32 v9, v9, v20
	v_xor_b32_e32 v11, 1, v11
	v_and_b32_e32 v8, 0x1fffff, v9
	v_add_nc_u32_e32 v9, v8, v20
                                        ; implicit-def: $vgpr8
	v_cmpx_ne_u32_e64 v10, v11
	s_xor_b32 s17, exec_lo, s17
; %bb.3460:                             ;   in Loop: Header=BB4_3233 Depth=4
	v_cmp_lt_u32_e32 vcc_lo, 0xffffff, v9
	v_sub_nc_u32_e32 v8, v10, v11
	v_cndmask_b32_e64 v10, 0, 1, vcc_lo
	v_add_co_ci_u32_e64 v8, null, 0, v8, vcc_lo
	v_lshrrev_b32_e32 v9, v10, v9
; %bb.3461:                             ;   in Loop: Header=BB4_3233 Depth=4
	s_andn2_saveexec_b32 s17, s17
; %bb.3462:                             ;   in Loop: Header=BB4_3233 Depth=4
	v_bfe_u32 v8, v9, 23, 1
; %bb.3463:                             ;   in Loop: Header=BB4_3233 Depth=4
	s_or_b32 exec_lo, exec_lo, s17
	v_lshrrev_b32_e32 v9, 21, v9
	v_min_i32_e32 v10, 31, v8
	v_cmp_gt_i32_e32 vcc_lo, 32, v8
	v_and_b32_sdwa v1, v1, v101 dst_sel:DWORD dst_unused:UNUSED_PAD src0_sel:BYTE_3 src1_sel:DWORD
	v_lshlrev_b32_e32 v10, 2, v10
	v_cndmask_b32_e32 v9, 3, v9, vcc_lo
	v_and_b32_e32 v10, 0xfc, v10
	v_and_b32_e32 v11, 3, v9
	v_or_b32_e32 v8, v8, v9
	v_or3_b32 v1, v1, v10, v11
	v_cmp_ne_u32_e32 vcc_lo, 0, v8
	v_lshlrev_b32_e32 v1, 8, v1
	v_cndmask_b32_e32 v20, 0, v1, vcc_lo
.LBB4_3464:                             ;   in Loop: Header=BB4_3233 Depth=4
	s_or_b32 exec_lo, exec_lo, s75
.LBB4_3465:                             ;   in Loop: Header=BB4_3233 Depth=4
	s_or_b32 exec_lo, exec_lo, s74
	global_load_dwordx4 v[8:11], v[68:69], off slc
	v_or_b32_e32 v1, v19, v16
	s_mov_b32 s17, 0
	v_cmp_gt_i16_sdwa s74, v1, v100 src0_sel:BYTE_0 src1_sel:DWORD
	s_and_saveexec_b32 s75, s74
	s_xor_b32 s74, exec_lo, s75
	s_cbranch_execz .LBB4_3815
; %bb.3466:                             ;   in Loop: Header=BB4_3233 Depth=4
	v_cmp_eq_u16_sdwa s76, v1, v101 src0_sel:BYTE_0 src1_sel:DWORD
	s_mov_b32 s17, -1
	s_and_saveexec_b32 s75, s76
; %bb.3467:                             ;   in Loop: Header=BB4_3233 Depth=4
	s_xor_b32 s17, exec_lo, -1
; %bb.3468:                             ;   in Loop: Header=BB4_3233 Depth=4
	s_or_b32 exec_lo, exec_lo, s75
	s_and_b32 s17, s17, exec_lo
	s_or_saveexec_b32 s74, s74
	v_mov_b32_e32 v16, 0x7f800001
	s_xor_b32 exec_lo, exec_lo, s74
	s_cbranch_execnz .LBB4_3816
.LBB4_3469:                             ;   in Loop: Header=BB4_3233 Depth=4
	s_or_b32 exec_lo, exec_lo, s74
	s_and_saveexec_b32 s74, s17
	s_cbranch_execz .LBB4_3471
.LBB4_3470:                             ;   in Loop: Header=BB4_3233 Depth=4
	v_and_b32_e32 v16, 3, v1
	v_bfe_u32 v35, v1, 2, 5
	v_lshlrev_b32_e32 v50, 24, v1
	v_ffbh_u32_e32 v19, v16
	v_cmp_eq_u32_e32 vcc_lo, 0, v35
	v_min_u32_e32 v19, 32, v19
	v_subrev_nc_u32_e32 v31, 29, v19
	v_sub_nc_u32_e32 v19, 30, v19
	v_lshlrev_b32_e32 v31, v31, v1
	v_cndmask_b32_e32 v19, v35, v19, vcc_lo
	v_and_b32_e32 v31, 3, v31
	v_lshl_add_u32 v19, v19, 23, 0x37800000
	v_cndmask_b32_e32 v16, v16, v31, vcc_lo
	v_and_b32_e32 v31, 0x80000000, v50
	v_lshlrev_b32_e32 v16, 21, v16
	v_or3_b32 v16, v31, v19, v16
.LBB4_3471:                             ;   in Loop: Header=BB4_3233 Depth=4
	s_or_b32 exec_lo, exec_lo, s74
	s_waitcnt vmcnt(0)
	v_cmp_gt_i16_sdwa s74, v8, v100 src0_sel:BYTE_0 src1_sel:DWORD
	s_mov_b32 s17, 0
	s_and_saveexec_b32 s75, s74
	s_xor_b32 s74, exec_lo, s75
	s_cbranch_execz .LBB4_3817
; %bb.3472:                             ;   in Loop: Header=BB4_3233 Depth=4
	v_cmp_eq_u16_sdwa s76, v8, v101 src0_sel:BYTE_0 src1_sel:DWORD
	s_mov_b32 s17, -1
	s_and_saveexec_b32 s75, s76
; %bb.3473:                             ;   in Loop: Header=BB4_3233 Depth=4
	s_xor_b32 s17, exec_lo, -1
; %bb.3474:                             ;   in Loop: Header=BB4_3233 Depth=4
	s_or_b32 exec_lo, exec_lo, s75
	s_and_b32 s17, s17, exec_lo
	s_or_saveexec_b32 s74, s74
	v_mov_b32_e32 v19, 0x7f800001
	s_xor_b32 exec_lo, exec_lo, s74
	s_cbranch_execnz .LBB4_3818
.LBB4_3475:                             ;   in Loop: Header=BB4_3233 Depth=4
	s_or_b32 exec_lo, exec_lo, s74
	s_and_saveexec_b32 s74, s17
	s_cbranch_execz .LBB4_3477
.LBB4_3476:                             ;   in Loop: Header=BB4_3233 Depth=4
	v_and_b32_e32 v19, 3, v8
	v_bfe_u32 v50, v8, 2, 5
	v_lshlrev_b32_e32 v51, 24, v8
	v_ffbh_u32_e32 v31, v19
	v_cmp_eq_u32_e32 vcc_lo, 0, v50
	v_min_u32_e32 v31, 32, v31
	v_subrev_nc_u32_e32 v35, 29, v31
	v_sub_nc_u32_e32 v31, 30, v31
	v_lshlrev_b32_e32 v35, v35, v8
	v_cndmask_b32_e32 v31, v50, v31, vcc_lo
	v_and_b32_e32 v35, 3, v35
	v_lshl_add_u32 v31, v31, 23, 0x37800000
	v_cndmask_b32_e32 v19, v19, v35, vcc_lo
	v_and_b32_e32 v35, 0x80000000, v51
	v_lshlrev_b32_e32 v19, 21, v19
	v_or3_b32 v19, v35, v31, v19
.LBB4_3477:                             ;   in Loop: Header=BB4_3233 Depth=4
	s_or_b32 exec_lo, exec_lo, s74
	v_add_f32_e32 v19, v16, v19
	v_and_b32_e32 v16, 0x7f800000, v19
	v_cmp_ne_u32_e32 vcc_lo, 0x7f800000, v16
	v_mov_b32_e32 v16, 0x80
	s_and_saveexec_b32 s74, vcc_lo
	s_cbranch_execz .LBB4_3485
; %bb.3478:                             ;   in Loop: Header=BB4_3233 Depth=4
	v_mov_b32_e32 v16, 0
	s_mov_b32 s75, exec_lo
	v_cmpx_ne_u32_e32 0, v19
	s_cbranch_execz .LBB4_3484
; %bb.3479:                             ;   in Loop: Header=BB4_3233 Depth=4
	v_bfe_u32 v16, v19, 23, 8
	v_and_b32_e32 v31, 0x7fffff, v19
	v_sub_nc_u32_e32 v35, 0x70, v16
	v_cmp_gt_u32_e32 vcc_lo, 0x71, v16
	v_or_b32_e32 v50, 0x800000, v31
	v_cndmask_b32_e32 v35, 0, v35, vcc_lo
	v_cmp_eq_u32_e32 vcc_lo, 0, v16
	v_add_nc_u32_e32 v16, 0xffffff91, v16
	v_cndmask_b32_e64 v35, v35, 0x6f, vcc_lo
	v_cndmask_b32_e32 v31, v50, v31, vcc_lo
	v_cndmask_b32_e64 v16, v16, 0xffffff92, vcc_lo
	v_lshl_add_u32 v50, 0x200000, v35, -1
	v_lshrrev_b32_e32 v51, v35, v31
	v_lshlrev_b32_e64 v97, v35, 0x100000
	v_add_nc_u32_e32 v35, v35, v16
	v_and_b32_e32 v31, v50, v31
	v_bfe_u32 v96, v51, 21, 1
	v_cmp_eq_u32_e64 s17, v31, v97
	v_add_nc_u32_e32 v50, -1, v96
	v_cndmask_b32_e64 v31, 0, v50, s17
	v_lshrrev_b32_e32 v50, 23, v51
	s_mov_b32 s17, exec_lo
	v_add_nc_u32_e32 v31, v31, v51
	v_xor_b32_e32 v50, 1, v50
	v_and_b32_e32 v16, 0x1fffff, v31
	v_add_nc_u32_e32 v31, v16, v51
                                        ; implicit-def: $vgpr16
	v_cmpx_ne_u32_e64 v35, v50
	s_xor_b32 s17, exec_lo, s17
; %bb.3480:                             ;   in Loop: Header=BB4_3233 Depth=4
	v_cmp_lt_u32_e32 vcc_lo, 0xffffff, v31
	v_sub_nc_u32_e32 v16, v35, v50
	v_cndmask_b32_e64 v35, 0, 1, vcc_lo
	v_add_co_ci_u32_e64 v16, null, 0, v16, vcc_lo
	v_lshrrev_b32_e32 v31, v35, v31
; %bb.3481:                             ;   in Loop: Header=BB4_3233 Depth=4
	s_andn2_saveexec_b32 s17, s17
; %bb.3482:                             ;   in Loop: Header=BB4_3233 Depth=4
	v_bfe_u32 v16, v31, 23, 1
; %bb.3483:                             ;   in Loop: Header=BB4_3233 Depth=4
	s_or_b32 exec_lo, exec_lo, s17
	v_lshrrev_b32_e32 v31, 21, v31
	v_min_i32_e32 v35, 31, v16
	v_cmp_gt_i32_e32 vcc_lo, 32, v16
	v_and_b32_sdwa v19, v19, v101 dst_sel:DWORD dst_unused:UNUSED_PAD src0_sel:BYTE_3 src1_sel:DWORD
	v_lshlrev_b32_e32 v35, 2, v35
	v_cndmask_b32_e32 v31, 3, v31, vcc_lo
	v_and_b32_e32 v35, 0xfc, v35
	v_and_b32_e32 v50, 3, v31
	v_or_b32_e32 v16, v16, v31
	v_or3_b32 v19, v35, v19, v50
	v_cmp_ne_u32_e32 vcc_lo, 0, v16
	v_cndmask_b32_e32 v16, 0, v19, vcc_lo
.LBB4_3484:                             ;   in Loop: Header=BB4_3233 Depth=4
	s_or_b32 exec_lo, exec_lo, s75
.LBB4_3485:                             ;   in Loop: Header=BB4_3233 Depth=4
	s_or_b32 exec_lo, exec_lo, s74
	v_cmp_gt_i16_sdwa s74, v1, v100 src0_sel:BYTE_1 src1_sel:DWORD
	s_mov_b32 s17, 0
	s_and_saveexec_b32 s75, s74
	s_xor_b32 s74, exec_lo, s75
	s_cbranch_execz .LBB4_3819
; %bb.3486:                             ;   in Loop: Header=BB4_3233 Depth=4
	v_cmp_eq_u16_sdwa s76, v1, v101 src0_sel:BYTE_1 src1_sel:DWORD
	s_mov_b32 s17, -1
	s_and_saveexec_b32 s75, s76
; %bb.3487:                             ;   in Loop: Header=BB4_3233 Depth=4
	s_xor_b32 s17, exec_lo, -1
; %bb.3488:                             ;   in Loop: Header=BB4_3233 Depth=4
	s_or_b32 exec_lo, exec_lo, s75
	s_and_b32 s17, s17, exec_lo
	s_or_saveexec_b32 s74, s74
	v_mov_b32_e32 v19, 0x7f800001
	s_xor_b32 exec_lo, exec_lo, s74
	s_cbranch_execnz .LBB4_3820
.LBB4_3489:                             ;   in Loop: Header=BB4_3233 Depth=4
	s_or_b32 exec_lo, exec_lo, s74
	s_and_saveexec_b32 s74, s17
	s_cbranch_execz .LBB4_3491
.LBB4_3490:                             ;   in Loop: Header=BB4_3233 Depth=4
	v_and_b32_sdwa v19, v102, v1 dst_sel:DWORD dst_unused:UNUSED_PAD src0_sel:DWORD src1_sel:BYTE_1
	v_and_b32_e32 v31, 3, v19
	v_bfe_u32 v51, v19, 2, 5
	v_ffbh_u32_e32 v35, v31
	v_cmp_eq_u32_e32 vcc_lo, 0, v51
	v_min_u32_e32 v35, 32, v35
	v_subrev_nc_u32_e32 v50, 29, v35
	v_sub_nc_u32_e32 v35, 30, v35
	v_lshlrev_b32_e32 v19, v50, v19
	v_lshlrev_b32_sdwa v50, v103, v1 dst_sel:DWORD dst_unused:UNUSED_PAD src0_sel:DWORD src1_sel:BYTE_1
	v_cndmask_b32_e32 v35, v51, v35, vcc_lo
	v_and_b32_e32 v19, 3, v19
	v_lshl_add_u32 v35, v35, 23, 0x37800000
	v_cndmask_b32_e32 v19, v31, v19, vcc_lo
	v_and_b32_e32 v31, 0x80000000, v50
	v_lshlrev_b32_e32 v19, 21, v19
	v_or3_b32 v19, v31, v35, v19
.LBB4_3491:                             ;   in Loop: Header=BB4_3233 Depth=4
	s_or_b32 exec_lo, exec_lo, s74
	v_cmp_gt_i16_sdwa s74, v8, v100 src0_sel:BYTE_1 src1_sel:DWORD
	s_mov_b32 s17, 0
	s_and_saveexec_b32 s75, s74
	s_xor_b32 s74, exec_lo, s75
	s_cbranch_execz .LBB4_3821
; %bb.3492:                             ;   in Loop: Header=BB4_3233 Depth=4
	v_cmp_eq_u16_sdwa s76, v8, v101 src0_sel:BYTE_1 src1_sel:DWORD
	s_mov_b32 s17, -1
	s_and_saveexec_b32 s75, s76
; %bb.3493:                             ;   in Loop: Header=BB4_3233 Depth=4
	s_xor_b32 s17, exec_lo, -1
; %bb.3494:                             ;   in Loop: Header=BB4_3233 Depth=4
	s_or_b32 exec_lo, exec_lo, s75
	s_and_b32 s17, s17, exec_lo
	s_or_saveexec_b32 s74, s74
	v_mov_b32_e32 v31, 0x7f800001
	s_xor_b32 exec_lo, exec_lo, s74
	s_cbranch_execnz .LBB4_3822
.LBB4_3495:                             ;   in Loop: Header=BB4_3233 Depth=4
	s_or_b32 exec_lo, exec_lo, s74
	s_and_saveexec_b32 s74, s17
	s_cbranch_execz .LBB4_3497
.LBB4_3496:                             ;   in Loop: Header=BB4_3233 Depth=4
	v_and_b32_sdwa v31, v102, v8 dst_sel:DWORD dst_unused:UNUSED_PAD src0_sel:DWORD src1_sel:BYTE_1
	v_and_b32_e32 v35, 3, v31
	v_bfe_u32 v96, v31, 2, 5
	v_ffbh_u32_e32 v50, v35
	v_cmp_eq_u32_e32 vcc_lo, 0, v96
	v_min_u32_e32 v50, 32, v50
	v_subrev_nc_u32_e32 v51, 29, v50
	v_sub_nc_u32_e32 v50, 30, v50
	v_lshlrev_b32_e32 v31, v51, v31
	v_lshlrev_b32_sdwa v51, v103, v8 dst_sel:DWORD dst_unused:UNUSED_PAD src0_sel:DWORD src1_sel:BYTE_1
	v_cndmask_b32_e32 v50, v96, v50, vcc_lo
	v_and_b32_e32 v31, 3, v31
	v_lshl_add_u32 v50, v50, 23, 0x37800000
	v_cndmask_b32_e32 v31, v35, v31, vcc_lo
	v_and_b32_e32 v35, 0x80000000, v51
	v_lshlrev_b32_e32 v31, 21, v31
	v_or3_b32 v31, v35, v50, v31
.LBB4_3497:                             ;   in Loop: Header=BB4_3233 Depth=4
	s_or_b32 exec_lo, exec_lo, s74
	v_add_f32_e32 v31, v19, v31
	v_and_b32_e32 v19, 0x7f800000, v31
	v_cmp_ne_u32_e32 vcc_lo, 0x7f800000, v19
	v_mov_b32_e32 v19, 0x8000
	s_and_saveexec_b32 s74, vcc_lo
	s_cbranch_execz .LBB4_3505
; %bb.3498:                             ;   in Loop: Header=BB4_3233 Depth=4
	v_mov_b32_e32 v19, 0
	s_mov_b32 s75, exec_lo
	v_cmpx_ne_u32_e32 0, v31
	s_cbranch_execz .LBB4_3504
; %bb.3499:                             ;   in Loop: Header=BB4_3233 Depth=4
	v_bfe_u32 v19, v31, 23, 8
	v_and_b32_e32 v35, 0x7fffff, v31
	v_sub_nc_u32_e32 v50, 0x70, v19
	v_cmp_gt_u32_e32 vcc_lo, 0x71, v19
	v_or_b32_e32 v51, 0x800000, v35
	v_cndmask_b32_e32 v50, 0, v50, vcc_lo
	v_cmp_eq_u32_e32 vcc_lo, 0, v19
	v_add_nc_u32_e32 v19, 0xffffff91, v19
	v_cndmask_b32_e64 v50, v50, 0x6f, vcc_lo
	v_cndmask_b32_e32 v35, v51, v35, vcc_lo
	v_cndmask_b32_e64 v19, v19, 0xffffff92, vcc_lo
	v_lshl_add_u32 v51, 0x200000, v50, -1
	v_lshrrev_b32_e32 v96, v50, v35
	v_lshlrev_b32_e64 v115, v50, 0x100000
	v_add_nc_u32_e32 v50, v50, v19
	v_and_b32_e32 v35, v51, v35
	v_bfe_u32 v97, v96, 21, 1
	v_cmp_eq_u32_e64 s17, v35, v115
	v_add_nc_u32_e32 v51, -1, v97
	v_cndmask_b32_e64 v35, 0, v51, s17
	v_lshrrev_b32_e32 v51, 23, v96
	s_mov_b32 s17, exec_lo
	v_add_nc_u32_e32 v35, v35, v96
	v_xor_b32_e32 v51, 1, v51
	v_and_b32_e32 v19, 0x1fffff, v35
	v_add_nc_u32_e32 v35, v19, v96
                                        ; implicit-def: $vgpr19
	v_cmpx_ne_u32_e64 v50, v51
	s_xor_b32 s17, exec_lo, s17
; %bb.3500:                             ;   in Loop: Header=BB4_3233 Depth=4
	v_cmp_lt_u32_e32 vcc_lo, 0xffffff, v35
	v_sub_nc_u32_e32 v19, v50, v51
	v_cndmask_b32_e64 v50, 0, 1, vcc_lo
	v_add_co_ci_u32_e64 v19, null, 0, v19, vcc_lo
	v_lshrrev_b32_e32 v35, v50, v35
; %bb.3501:                             ;   in Loop: Header=BB4_3233 Depth=4
	s_andn2_saveexec_b32 s17, s17
; %bb.3502:                             ;   in Loop: Header=BB4_3233 Depth=4
	v_bfe_u32 v19, v35, 23, 1
; %bb.3503:                             ;   in Loop: Header=BB4_3233 Depth=4
	s_or_b32 exec_lo, exec_lo, s17
	v_lshrrev_b32_e32 v35, 21, v35
	v_min_i32_e32 v50, 31, v19
	v_cmp_gt_i32_e32 vcc_lo, 32, v19
	v_and_b32_sdwa v31, v31, v101 dst_sel:DWORD dst_unused:UNUSED_PAD src0_sel:BYTE_3 src1_sel:DWORD
	v_lshlrev_b32_e32 v50, 2, v50
	v_cndmask_b32_e32 v35, 3, v35, vcc_lo
	v_and_b32_e32 v50, 0xfc, v50
	v_and_b32_e32 v51, 3, v35
	v_or_b32_e32 v19, v19, v35
	v_or3_b32 v31, v31, v50, v51
	v_cmp_ne_u32_e32 vcc_lo, 0, v19
	v_lshlrev_b32_e32 v31, 8, v31
	v_cndmask_b32_e32 v19, 0, v31, vcc_lo
.LBB4_3504:                             ;   in Loop: Header=BB4_3233 Depth=4
	s_or_b32 exec_lo, exec_lo, s75
.LBB4_3505:                             ;   in Loop: Header=BB4_3233 Depth=4
	s_or_b32 exec_lo, exec_lo, s74
	v_or_b32_e32 v31, v34, v30
	s_mov_b32 s17, 0
	v_cmp_gt_i16_sdwa s74, v31, v100 src0_sel:BYTE_0 src1_sel:DWORD
	s_and_saveexec_b32 s75, s74
	s_xor_b32 s74, exec_lo, s75
	s_cbranch_execz .LBB4_3823
; %bb.3506:                             ;   in Loop: Header=BB4_3233 Depth=4
	v_cmp_eq_u16_sdwa s76, v31, v101 src0_sel:BYTE_0 src1_sel:DWORD
	s_mov_b32 s17, -1
	s_and_saveexec_b32 s75, s76
; %bb.3507:                             ;   in Loop: Header=BB4_3233 Depth=4
	s_xor_b32 s17, exec_lo, -1
; %bb.3508:                             ;   in Loop: Header=BB4_3233 Depth=4
	s_or_b32 exec_lo, exec_lo, s75
	s_and_b32 s17, s17, exec_lo
	s_or_saveexec_b32 s74, s74
	v_mov_b32_e32 v30, 0x7f800001
	s_xor_b32 exec_lo, exec_lo, s74
	s_cbranch_execnz .LBB4_3824
.LBB4_3509:                             ;   in Loop: Header=BB4_3233 Depth=4
	s_or_b32 exec_lo, exec_lo, s74
	v_lshl_or_b32 v1, v31, 16, v1
	s_and_saveexec_b32 s74, s17
	s_cbranch_execz .LBB4_3511
.LBB4_3510:                             ;   in Loop: Header=BB4_3233 Depth=4
	v_bfe_u32 v30, v1, 16, 2
	v_bfe_u32 v35, v1, 18, 5
	v_lshlrev_b32_e32 v50, 8, v1
	v_ffbh_u32_e32 v31, v30
	v_cmp_eq_u32_e32 vcc_lo, 0, v35
	v_min_u32_e32 v31, 32, v31
	v_subrev_nc_u32_e32 v34, 29, v31
	v_sub_nc_u32_e32 v31, 30, v31
	v_lshlrev_b32_sdwa v34, v34, v1 dst_sel:DWORD dst_unused:UNUSED_PAD src0_sel:DWORD src1_sel:WORD_1
	v_cndmask_b32_e32 v31, v35, v31, vcc_lo
	v_and_b32_e32 v34, 3, v34
	v_lshl_add_u32 v31, v31, 23, 0x37800000
	v_cndmask_b32_e32 v30, v30, v34, vcc_lo
	v_and_b32_e32 v34, 0x80000000, v50
	v_lshlrev_b32_e32 v30, 21, v30
	v_or3_b32 v30, v34, v31, v30
.LBB4_3511:                             ;   in Loop: Header=BB4_3233 Depth=4
	s_or_b32 exec_lo, exec_lo, s74
	v_and_b32_sdwa v34, v8, v112 dst_sel:DWORD dst_unused:UNUSED_PAD src0_sel:WORD_1 src1_sel:DWORD
	s_mov_b32 s17, 0
	s_mov_b32 s74, exec_lo
	v_cmpx_lt_i16_e32 0x7f, v34
	s_xor_b32 s74, exec_lo, s74
	s_cbranch_execz .LBB4_3825
; %bb.3512:                             ;   in Loop: Header=BB4_3233 Depth=4
	s_mov_b32 s17, -1
	s_mov_b32 s75, exec_lo
	v_cmpx_eq_u16_e32 0x80, v34
; %bb.3513:                             ;   in Loop: Header=BB4_3233 Depth=4
	s_xor_b32 s17, exec_lo, -1
; %bb.3514:                             ;   in Loop: Header=BB4_3233 Depth=4
	s_or_b32 exec_lo, exec_lo, s75
	s_and_b32 s17, s17, exec_lo
                                        ; implicit-def: $vgpr34
	s_or_saveexec_b32 s74, s74
	v_mov_b32_e32 v31, 0x7f800001
	s_xor_b32 exec_lo, exec_lo, s74
	s_cbranch_execnz .LBB4_3826
.LBB4_3515:                             ;   in Loop: Header=BB4_3233 Depth=4
	s_or_b32 exec_lo, exec_lo, s74
	s_and_saveexec_b32 s74, s17
	s_cbranch_execz .LBB4_3517
.LBB4_3516:                             ;   in Loop: Header=BB4_3233 Depth=4
	v_and_b32_sdwa v31, v8, v114 dst_sel:DWORD dst_unused:UNUSED_PAD src0_sel:WORD_1 src1_sel:DWORD
	v_bfe_u32 v50, v8, 18, 5
	v_lshlrev_b32_sdwa v51, v103, v8 dst_sel:DWORD dst_unused:UNUSED_PAD src0_sel:DWORD src1_sel:WORD_1
	v_ffbh_u32_e32 v34, v31
	v_cmp_eq_u32_e32 vcc_lo, 0, v50
	v_min_u32_e32 v34, 32, v34
	v_subrev_nc_u32_e32 v35, 29, v34
	v_sub_nc_u32_e32 v34, 30, v34
	v_lshlrev_b32_sdwa v35, v35, v8 dst_sel:DWORD dst_unused:UNUSED_PAD src0_sel:DWORD src1_sel:WORD_1
	v_cndmask_b32_e32 v34, v50, v34, vcc_lo
	v_and_b32_e32 v35, 3, v35
	v_lshl_add_u32 v34, v34, 23, 0x37800000
	v_cndmask_b32_e32 v31, v31, v35, vcc_lo
	v_and_b32_e32 v35, 0x80000000, v51
	v_lshlrev_b32_e32 v31, 21, v31
	v_or3_b32 v31, v35, v34, v31
.LBB4_3517:                             ;   in Loop: Header=BB4_3233 Depth=4
	s_or_b32 exec_lo, exec_lo, s74
	v_add_f32_e32 v31, v30, v31
	v_and_b32_e32 v30, 0x7f800000, v31
	v_cmp_ne_u32_e32 vcc_lo, 0x7f800000, v30
	v_mov_b32_e32 v30, 0x80
	s_and_saveexec_b32 s74, vcc_lo
	s_cbranch_execz .LBB4_3525
; %bb.3518:                             ;   in Loop: Header=BB4_3233 Depth=4
	v_mov_b32_e32 v30, 0
	s_mov_b32 s75, exec_lo
	v_cmpx_ne_u32_e32 0, v31
	s_cbranch_execz .LBB4_3524
; %bb.3519:                             ;   in Loop: Header=BB4_3233 Depth=4
	v_bfe_u32 v30, v31, 23, 8
	v_and_b32_e32 v34, 0x7fffff, v31
	v_sub_nc_u32_e32 v35, 0x70, v30
	v_cmp_gt_u32_e32 vcc_lo, 0x71, v30
	v_or_b32_e32 v50, 0x800000, v34
	v_cndmask_b32_e32 v35, 0, v35, vcc_lo
	v_cmp_eq_u32_e32 vcc_lo, 0, v30
	v_add_nc_u32_e32 v30, 0xffffff91, v30
	v_cndmask_b32_e64 v35, v35, 0x6f, vcc_lo
	v_cndmask_b32_e32 v34, v50, v34, vcc_lo
	v_cndmask_b32_e64 v30, v30, 0xffffff92, vcc_lo
	v_lshl_add_u32 v50, 0x200000, v35, -1
	v_lshrrev_b32_e32 v51, v35, v34
	v_lshlrev_b32_e64 v97, v35, 0x100000
	v_add_nc_u32_e32 v35, v35, v30
	v_and_b32_e32 v34, v50, v34
	v_bfe_u32 v96, v51, 21, 1
	v_cmp_eq_u32_e64 s17, v34, v97
	v_add_nc_u32_e32 v50, -1, v96
	v_cndmask_b32_e64 v34, 0, v50, s17
	v_lshrrev_b32_e32 v50, 23, v51
	s_mov_b32 s17, exec_lo
	v_add_nc_u32_e32 v34, v34, v51
	v_xor_b32_e32 v50, 1, v50
	v_and_b32_e32 v30, 0x1fffff, v34
	v_add_nc_u32_e32 v34, v30, v51
                                        ; implicit-def: $vgpr30
	v_cmpx_ne_u32_e64 v35, v50
	s_xor_b32 s17, exec_lo, s17
; %bb.3520:                             ;   in Loop: Header=BB4_3233 Depth=4
	v_cmp_lt_u32_e32 vcc_lo, 0xffffff, v34
	v_sub_nc_u32_e32 v30, v35, v50
	v_cndmask_b32_e64 v35, 0, 1, vcc_lo
	v_add_co_ci_u32_e64 v30, null, 0, v30, vcc_lo
	v_lshrrev_b32_e32 v34, v35, v34
; %bb.3521:                             ;   in Loop: Header=BB4_3233 Depth=4
	s_andn2_saveexec_b32 s17, s17
; %bb.3522:                             ;   in Loop: Header=BB4_3233 Depth=4
	v_bfe_u32 v30, v34, 23, 1
; %bb.3523:                             ;   in Loop: Header=BB4_3233 Depth=4
	s_or_b32 exec_lo, exec_lo, s17
	v_lshrrev_b32_e32 v34, 21, v34
	v_min_i32_e32 v35, 31, v30
	v_cmp_gt_i32_e32 vcc_lo, 32, v30
	v_and_b32_sdwa v31, v31, v101 dst_sel:DWORD dst_unused:UNUSED_PAD src0_sel:BYTE_3 src1_sel:DWORD
	v_lshlrev_b32_e32 v35, 2, v35
	v_cndmask_b32_e32 v34, 3, v34, vcc_lo
	v_and_b32_e32 v35, 0xfc, v35
	v_and_b32_e32 v50, 3, v34
	v_or_b32_e32 v30, v30, v34
	v_or3_b32 v31, v35, v31, v50
	v_cmp_ne_u32_e32 vcc_lo, 0, v30
	v_cndmask_b32_e32 v30, 0, v31, vcc_lo
.LBB4_3524:                             ;   in Loop: Header=BB4_3233 Depth=4
	s_or_b32 exec_lo, exec_lo, s75
.LBB4_3525:                             ;   in Loop: Header=BB4_3233 Depth=4
	s_or_b32 exec_lo, exec_lo, s74
	v_cmp_gt_i16_sdwa s74, v1, v100 src0_sel:BYTE_3 src1_sel:DWORD
	s_mov_b32 s17, 0
	s_and_saveexec_b32 s75, s74
	s_xor_b32 s74, exec_lo, s75
	s_cbranch_execz .LBB4_3827
; %bb.3526:                             ;   in Loop: Header=BB4_3233 Depth=4
	v_cmp_eq_u16_sdwa s76, v1, v101 src0_sel:BYTE_3 src1_sel:DWORD
	s_mov_b32 s17, -1
	s_and_saveexec_b32 s75, s76
; %bb.3527:                             ;   in Loop: Header=BB4_3233 Depth=4
	s_xor_b32 s17, exec_lo, -1
; %bb.3528:                             ;   in Loop: Header=BB4_3233 Depth=4
	s_or_b32 exec_lo, exec_lo, s75
	s_and_b32 s17, s17, exec_lo
	s_or_saveexec_b32 s74, s74
	v_mov_b32_e32 v31, 0x7f800001
	s_xor_b32 exec_lo, exec_lo, s74
	s_cbranch_execnz .LBB4_3828
.LBB4_3529:                             ;   in Loop: Header=BB4_3233 Depth=4
	s_or_b32 exec_lo, exec_lo, s74
	s_and_saveexec_b32 s74, s17
	s_cbranch_execz .LBB4_3531
.LBB4_3530:                             ;   in Loop: Header=BB4_3233 Depth=4
	v_bfe_u32 v31, v1, 24, 2
	v_bfe_u32 v50, v1, 26, 5
	v_ffbh_u32_e32 v34, v31
	v_cmp_eq_u32_e32 vcc_lo, 0, v50
	v_min_u32_e32 v34, 32, v34
	v_subrev_nc_u32_e32 v35, 29, v34
	v_sub_nc_u32_e32 v34, 30, v34
	v_lshlrev_b32_sdwa v35, v35, v1 dst_sel:DWORD dst_unused:UNUSED_PAD src0_sel:DWORD src1_sel:BYTE_3
	v_cndmask_b32_e32 v34, v50, v34, vcc_lo
	v_and_b32_e32 v1, 0x80000000, v1
	v_and_b32_e32 v35, 3, v35
	v_lshl_add_u32 v34, v34, 23, 0x37800000
	v_cndmask_b32_e32 v31, v31, v35, vcc_lo
	v_lshlrev_b32_e32 v31, 21, v31
	v_or3_b32 v31, v1, v34, v31
.LBB4_3531:                             ;   in Loop: Header=BB4_3233 Depth=4
	s_or_b32 exec_lo, exec_lo, s74
	v_cmp_gt_i16_sdwa s74, v8, v100 src0_sel:BYTE_3 src1_sel:DWORD
	s_mov_b32 s17, 0
	s_and_saveexec_b32 s75, s74
	s_xor_b32 s74, exec_lo, s75
	s_cbranch_execz .LBB4_3829
; %bb.3532:                             ;   in Loop: Header=BB4_3233 Depth=4
	v_cmp_eq_u16_sdwa s76, v8, v101 src0_sel:BYTE_3 src1_sel:DWORD
	s_mov_b32 s17, -1
	s_and_saveexec_b32 s75, s76
; %bb.3533:                             ;   in Loop: Header=BB4_3233 Depth=4
	s_xor_b32 s17, exec_lo, -1
; %bb.3534:                             ;   in Loop: Header=BB4_3233 Depth=4
	s_or_b32 exec_lo, exec_lo, s75
	s_and_b32 s17, s17, exec_lo
	s_or_saveexec_b32 s74, s74
	v_mov_b32_e32 v1, 0x7f800001
	s_xor_b32 exec_lo, exec_lo, s74
	s_cbranch_execnz .LBB4_3830
.LBB4_3535:                             ;   in Loop: Header=BB4_3233 Depth=4
	s_or_b32 exec_lo, exec_lo, s74
	s_and_saveexec_b32 s74, s17
	s_cbranch_execz .LBB4_3537
.LBB4_3536:                             ;   in Loop: Header=BB4_3233 Depth=4
	v_and_b32_sdwa v1, v8, v114 dst_sel:DWORD dst_unused:UNUSED_PAD src0_sel:BYTE_3 src1_sel:DWORD
	v_bfe_u32 v50, v8, 26, 5
	v_ffbh_u32_e32 v34, v1
	v_cmp_eq_u32_e32 vcc_lo, 0, v50
	v_min_u32_e32 v34, 32, v34
	v_subrev_nc_u32_e32 v35, 29, v34
	v_sub_nc_u32_e32 v34, 30, v34
	v_lshlrev_b32_sdwa v35, v35, v8 dst_sel:DWORD dst_unused:UNUSED_PAD src0_sel:DWORD src1_sel:BYTE_3
	v_cndmask_b32_e32 v34, v50, v34, vcc_lo
	v_and_b32_e32 v8, 0x80000000, v8
	v_and_b32_e32 v35, 3, v35
	v_lshl_add_u32 v34, v34, 23, 0x37800000
	v_cndmask_b32_e32 v1, v1, v35, vcc_lo
	v_lshlrev_b32_e32 v1, 21, v1
	v_or3_b32 v1, v8, v34, v1
.LBB4_3537:                             ;   in Loop: Header=BB4_3233 Depth=4
	s_or_b32 exec_lo, exec_lo, s74
	v_add_f32_e32 v1, v31, v1
	v_and_b32_e32 v8, 0x7f800000, v1
	v_cmp_ne_u32_e32 vcc_lo, 0x7f800000, v8
	v_mov_b32_e32 v8, 0x8000
	s_and_saveexec_b32 s74, vcc_lo
	s_cbranch_execz .LBB4_3545
; %bb.3538:                             ;   in Loop: Header=BB4_3233 Depth=4
	v_mov_b32_e32 v8, 0
	s_mov_b32 s75, exec_lo
	v_cmpx_ne_u32_e32 0, v1
	s_cbranch_execz .LBB4_3544
; %bb.3539:                             ;   in Loop: Header=BB4_3233 Depth=4
	v_bfe_u32 v8, v1, 23, 8
	v_and_b32_e32 v31, 0x7fffff, v1
	v_sub_nc_u32_e32 v34, 0x70, v8
	v_cmp_gt_u32_e32 vcc_lo, 0x71, v8
	v_or_b32_e32 v35, 0x800000, v31
	v_cndmask_b32_e32 v34, 0, v34, vcc_lo
	v_cmp_eq_u32_e32 vcc_lo, 0, v8
	v_add_nc_u32_e32 v8, 0xffffff91, v8
	v_cndmask_b32_e64 v34, v34, 0x6f, vcc_lo
	v_cndmask_b32_e32 v31, v35, v31, vcc_lo
	v_cndmask_b32_e64 v8, v8, 0xffffff92, vcc_lo
	v_lshl_add_u32 v35, 0x200000, v34, -1
	v_lshrrev_b32_e32 v50, v34, v31
	v_lshlrev_b32_e64 v96, v34, 0x100000
	v_add_nc_u32_e32 v34, v34, v8
	v_and_b32_e32 v31, v35, v31
	v_bfe_u32 v51, v50, 21, 1
	v_cmp_eq_u32_e64 s17, v31, v96
	v_add_nc_u32_e32 v35, -1, v51
	v_cndmask_b32_e64 v31, 0, v35, s17
	v_lshrrev_b32_e32 v35, 23, v50
	s_mov_b32 s17, exec_lo
	v_add_nc_u32_e32 v31, v31, v50
	v_xor_b32_e32 v35, 1, v35
	v_and_b32_e32 v8, 0x1fffff, v31
	v_add_nc_u32_e32 v31, v8, v50
                                        ; implicit-def: $vgpr8
	v_cmpx_ne_u32_e64 v34, v35
	s_xor_b32 s17, exec_lo, s17
; %bb.3540:                             ;   in Loop: Header=BB4_3233 Depth=4
	v_cmp_lt_u32_e32 vcc_lo, 0xffffff, v31
	v_sub_nc_u32_e32 v8, v34, v35
	v_cndmask_b32_e64 v34, 0, 1, vcc_lo
	v_add_co_ci_u32_e64 v8, null, 0, v8, vcc_lo
	v_lshrrev_b32_e32 v31, v34, v31
; %bb.3541:                             ;   in Loop: Header=BB4_3233 Depth=4
	s_andn2_saveexec_b32 s17, s17
; %bb.3542:                             ;   in Loop: Header=BB4_3233 Depth=4
	v_bfe_u32 v8, v31, 23, 1
; %bb.3543:                             ;   in Loop: Header=BB4_3233 Depth=4
	s_or_b32 exec_lo, exec_lo, s17
	v_lshrrev_b32_e32 v31, 21, v31
	v_min_i32_e32 v34, 31, v8
	v_cmp_gt_i32_e32 vcc_lo, 32, v8
	v_and_b32_sdwa v1, v1, v101 dst_sel:DWORD dst_unused:UNUSED_PAD src0_sel:BYTE_3 src1_sel:DWORD
	v_lshlrev_b32_e32 v34, 2, v34
	v_cndmask_b32_e32 v31, 3, v31, vcc_lo
	v_and_b32_e32 v34, 0xfc, v34
	v_and_b32_e32 v35, 3, v31
	v_or_b32_e32 v8, v8, v31
	v_or3_b32 v1, v1, v34, v35
	v_cmp_ne_u32_e32 vcc_lo, 0, v8
	v_lshlrev_b32_e32 v1, 8, v1
	v_cndmask_b32_e32 v8, 0, v1, vcc_lo
.LBB4_3544:                             ;   in Loop: Header=BB4_3233 Depth=4
	s_or_b32 exec_lo, exec_lo, s75
.LBB4_3545:                             ;   in Loop: Header=BB4_3233 Depth=4
	s_or_b32 exec_lo, exec_lo, s74
	v_or_b32_e32 v1, v63, v61
	s_mov_b32 s17, 0
	v_cmp_gt_i16_sdwa s74, v1, v100 src0_sel:BYTE_0 src1_sel:DWORD
	s_and_saveexec_b32 s75, s74
	s_xor_b32 s74, exec_lo, s75
	s_cbranch_execz .LBB4_3831
; %bb.3546:                             ;   in Loop: Header=BB4_3233 Depth=4
	v_cmp_eq_u16_sdwa s76, v1, v101 src0_sel:BYTE_0 src1_sel:DWORD
	s_mov_b32 s17, -1
	s_and_saveexec_b32 s75, s76
; %bb.3547:                             ;   in Loop: Header=BB4_3233 Depth=4
	s_xor_b32 s17, exec_lo, -1
; %bb.3548:                             ;   in Loop: Header=BB4_3233 Depth=4
	s_or_b32 exec_lo, exec_lo, s75
	s_and_b32 s17, s17, exec_lo
	s_or_saveexec_b32 s74, s74
	v_mov_b32_e32 v31, 0x7f800001
	s_xor_b32 exec_lo, exec_lo, s74
	s_cbranch_execnz .LBB4_3832
.LBB4_3549:                             ;   in Loop: Header=BB4_3233 Depth=4
	s_or_b32 exec_lo, exec_lo, s74
	s_and_saveexec_b32 s74, s17
	s_cbranch_execz .LBB4_3551
.LBB4_3550:                             ;   in Loop: Header=BB4_3233 Depth=4
	v_and_b32_e32 v31, 3, v1
	v_bfe_u32 v50, v1, 2, 5
	v_lshlrev_b32_e32 v51, 24, v1
	v_ffbh_u32_e32 v34, v31
	v_cmp_eq_u32_e32 vcc_lo, 0, v50
	v_min_u32_e32 v34, 32, v34
	v_subrev_nc_u32_e32 v35, 29, v34
	v_sub_nc_u32_e32 v34, 30, v34
	v_lshlrev_b32_e32 v35, v35, v1
	v_cndmask_b32_e32 v34, v50, v34, vcc_lo
	v_and_b32_e32 v35, 3, v35
	v_lshl_add_u32 v34, v34, 23, 0x37800000
	v_cndmask_b32_e32 v31, v31, v35, vcc_lo
	v_and_b32_e32 v35, 0x80000000, v51
	v_lshlrev_b32_e32 v31, 21, v31
	v_or3_b32 v31, v35, v34, v31
.LBB4_3551:                             ;   in Loop: Header=BB4_3233 Depth=4
	s_or_b32 exec_lo, exec_lo, s74
	v_cmp_gt_i16_sdwa s74, v9, v100 src0_sel:BYTE_0 src1_sel:DWORD
	s_mov_b32 s17, 0
	s_and_saveexec_b32 s75, s74
	s_xor_b32 s74, exec_lo, s75
	s_cbranch_execz .LBB4_3833
; %bb.3552:                             ;   in Loop: Header=BB4_3233 Depth=4
	v_cmp_eq_u16_sdwa s76, v9, v101 src0_sel:BYTE_0 src1_sel:DWORD
	s_mov_b32 s17, -1
	s_and_saveexec_b32 s75, s76
; %bb.3553:                             ;   in Loop: Header=BB4_3233 Depth=4
	s_xor_b32 s17, exec_lo, -1
; %bb.3554:                             ;   in Loop: Header=BB4_3233 Depth=4
	s_or_b32 exec_lo, exec_lo, s75
	s_and_b32 s17, s17, exec_lo
	s_or_saveexec_b32 s74, s74
	v_mov_b32_e32 v34, 0x7f800001
	s_xor_b32 exec_lo, exec_lo, s74
	s_cbranch_execnz .LBB4_3834
.LBB4_3555:                             ;   in Loop: Header=BB4_3233 Depth=4
	s_or_b32 exec_lo, exec_lo, s74
	s_and_saveexec_b32 s74, s17
	s_cbranch_execz .LBB4_3557
.LBB4_3556:                             ;   in Loop: Header=BB4_3233 Depth=4
	v_and_b32_e32 v34, 3, v9
	v_bfe_u32 v51, v9, 2, 5
	v_lshlrev_b32_e32 v96, 24, v9
	v_ffbh_u32_e32 v35, v34
	v_cmp_eq_u32_e32 vcc_lo, 0, v51
	v_min_u32_e32 v35, 32, v35
	v_subrev_nc_u32_e32 v50, 29, v35
	v_sub_nc_u32_e32 v35, 30, v35
	v_lshlrev_b32_e32 v50, v50, v9
	v_cndmask_b32_e32 v35, v51, v35, vcc_lo
	v_and_b32_e32 v50, 3, v50
	v_lshl_add_u32 v35, v35, 23, 0x37800000
	v_cndmask_b32_e32 v34, v34, v50, vcc_lo
	v_and_b32_e32 v50, 0x80000000, v96
	v_lshlrev_b32_e32 v34, 21, v34
	v_or3_b32 v34, v50, v35, v34
.LBB4_3557:                             ;   in Loop: Header=BB4_3233 Depth=4
	s_or_b32 exec_lo, exec_lo, s74
	v_add_f32_e32 v31, v31, v34
	v_mov_b32_e32 v61, 0x80
	s_mov_b32 s74, exec_lo
	v_and_b32_e32 v34, 0x7f800000, v31
	v_cmpx_ne_u32_e32 0x7f800000, v34
	s_cbranch_execz .LBB4_3565
; %bb.3558:                             ;   in Loop: Header=BB4_3233 Depth=4
	v_mov_b32_e32 v61, 0
	s_mov_b32 s75, exec_lo
	v_cmpx_ne_u32_e32 0, v31
	s_cbranch_execz .LBB4_3564
; %bb.3559:                             ;   in Loop: Header=BB4_3233 Depth=4
	v_bfe_u32 v34, v31, 23, 8
	v_and_b32_e32 v35, 0x7fffff, v31
	v_sub_nc_u32_e32 v50, 0x70, v34
	v_cmp_gt_u32_e32 vcc_lo, 0x71, v34
	v_or_b32_e32 v51, 0x800000, v35
	v_cndmask_b32_e32 v50, 0, v50, vcc_lo
	v_cmp_eq_u32_e32 vcc_lo, 0, v34
	v_add_nc_u32_e32 v34, 0xffffff91, v34
	v_cndmask_b32_e64 v50, v50, 0x6f, vcc_lo
	v_cndmask_b32_e32 v35, v51, v35, vcc_lo
	v_cndmask_b32_e64 v34, v34, 0xffffff92, vcc_lo
	v_lshl_add_u32 v51, 0x200000, v50, -1
	v_lshrrev_b32_e32 v96, v50, v35
	v_lshlrev_b32_e64 v115, v50, 0x100000
	v_add_nc_u32_e32 v50, v50, v34
	v_and_b32_e32 v35, v51, v35
	v_bfe_u32 v97, v96, 21, 1
	v_cmp_eq_u32_e64 s17, v35, v115
	v_add_nc_u32_e32 v51, -1, v97
	v_cndmask_b32_e64 v35, 0, v51, s17
	v_lshrrev_b32_e32 v51, 23, v96
	s_mov_b32 s17, exec_lo
	v_add_nc_u32_e32 v35, v35, v96
	v_xor_b32_e32 v51, 1, v51
	v_and_b32_e32 v34, 0x1fffff, v35
	v_add_nc_u32_e32 v35, v34, v96
                                        ; implicit-def: $vgpr34
	v_cmpx_ne_u32_e64 v50, v51
	s_xor_b32 s17, exec_lo, s17
; %bb.3560:                             ;   in Loop: Header=BB4_3233 Depth=4
	v_cmp_lt_u32_e32 vcc_lo, 0xffffff, v35
	v_sub_nc_u32_e32 v34, v50, v51
	v_cndmask_b32_e64 v50, 0, 1, vcc_lo
	v_add_co_ci_u32_e64 v34, null, 0, v34, vcc_lo
	v_lshrrev_b32_e32 v35, v50, v35
; %bb.3561:                             ;   in Loop: Header=BB4_3233 Depth=4
	s_andn2_saveexec_b32 s17, s17
; %bb.3562:                             ;   in Loop: Header=BB4_3233 Depth=4
	v_bfe_u32 v34, v35, 23, 1
; %bb.3563:                             ;   in Loop: Header=BB4_3233 Depth=4
	s_or_b32 exec_lo, exec_lo, s17
	v_lshrrev_b32_e32 v35, 21, v35
	v_min_i32_e32 v50, 31, v34
	v_cmp_gt_i32_e32 vcc_lo, 32, v34
	v_and_b32_sdwa v31, v31, v101 dst_sel:DWORD dst_unused:UNUSED_PAD src0_sel:BYTE_3 src1_sel:DWORD
	v_lshlrev_b32_e32 v50, 2, v50
	v_cndmask_b32_e32 v35, 3, v35, vcc_lo
	v_and_b32_e32 v50, 0xfc, v50
	v_and_b32_e32 v51, 3, v35
	v_or_b32_e32 v34, v34, v35
	v_or3_b32 v31, v50, v31, v51
	v_cmp_ne_u32_e32 vcc_lo, 0, v34
	v_cndmask_b32_e32 v61, 0, v31, vcc_lo
.LBB4_3564:                             ;   in Loop: Header=BB4_3233 Depth=4
	s_or_b32 exec_lo, exec_lo, s75
.LBB4_3565:                             ;   in Loop: Header=BB4_3233 Depth=4
	s_or_b32 exec_lo, exec_lo, s74
	v_cmp_gt_i16_sdwa s74, v1, v100 src0_sel:BYTE_1 src1_sel:DWORD
	s_mov_b32 s17, 0
	s_and_saveexec_b32 s75, s74
	s_xor_b32 s74, exec_lo, s75
	s_cbranch_execz .LBB4_3835
; %bb.3566:                             ;   in Loop: Header=BB4_3233 Depth=4
	v_cmp_eq_u16_sdwa s76, v1, v101 src0_sel:BYTE_1 src1_sel:DWORD
	s_mov_b32 s17, -1
	s_and_saveexec_b32 s75, s76
; %bb.3567:                             ;   in Loop: Header=BB4_3233 Depth=4
	s_xor_b32 s17, exec_lo, -1
; %bb.3568:                             ;   in Loop: Header=BB4_3233 Depth=4
	s_or_b32 exec_lo, exec_lo, s75
	s_and_b32 s17, s17, exec_lo
	s_or_saveexec_b32 s74, s74
	v_mov_b32_e32 v31, 0x7f800001
	s_xor_b32 exec_lo, exec_lo, s74
	s_cbranch_execnz .LBB4_3836
.LBB4_3569:                             ;   in Loop: Header=BB4_3233 Depth=4
	s_or_b32 exec_lo, exec_lo, s74
	s_and_saveexec_b32 s74, s17
	s_cbranch_execz .LBB4_3571
.LBB4_3570:                             ;   in Loop: Header=BB4_3233 Depth=4
	v_and_b32_sdwa v31, v102, v1 dst_sel:DWORD dst_unused:UNUSED_PAD src0_sel:DWORD src1_sel:BYTE_1
	v_and_b32_e32 v34, 3, v31
	v_bfe_u32 v51, v31, 2, 5
	v_ffbh_u32_e32 v35, v34
	v_cmp_eq_u32_e32 vcc_lo, 0, v51
	v_min_u32_e32 v35, 32, v35
	v_subrev_nc_u32_e32 v50, 29, v35
	v_sub_nc_u32_e32 v35, 30, v35
	v_lshlrev_b32_e32 v31, v50, v31
	v_lshlrev_b32_sdwa v50, v103, v1 dst_sel:DWORD dst_unused:UNUSED_PAD src0_sel:DWORD src1_sel:BYTE_1
	v_cndmask_b32_e32 v35, v51, v35, vcc_lo
	v_and_b32_e32 v31, 3, v31
	v_lshl_add_u32 v35, v35, 23, 0x37800000
	v_cndmask_b32_e32 v31, v34, v31, vcc_lo
	v_and_b32_e32 v34, 0x80000000, v50
	v_lshlrev_b32_e32 v31, 21, v31
	v_or3_b32 v31, v34, v35, v31
.LBB4_3571:                             ;   in Loop: Header=BB4_3233 Depth=4
	s_or_b32 exec_lo, exec_lo, s74
	v_cmp_gt_i16_sdwa s74, v9, v100 src0_sel:BYTE_1 src1_sel:DWORD
	s_mov_b32 s17, 0
	s_and_saveexec_b32 s75, s74
	s_xor_b32 s74, exec_lo, s75
	s_cbranch_execz .LBB4_3837
; %bb.3572:                             ;   in Loop: Header=BB4_3233 Depth=4
	v_cmp_eq_u16_sdwa s76, v9, v101 src0_sel:BYTE_1 src1_sel:DWORD
	s_mov_b32 s17, -1
	s_and_saveexec_b32 s75, s76
; %bb.3573:                             ;   in Loop: Header=BB4_3233 Depth=4
	s_xor_b32 s17, exec_lo, -1
; %bb.3574:                             ;   in Loop: Header=BB4_3233 Depth=4
	s_or_b32 exec_lo, exec_lo, s75
	s_and_b32 s17, s17, exec_lo
	s_or_saveexec_b32 s74, s74
	v_mov_b32_e32 v34, 0x7f800001
	s_xor_b32 exec_lo, exec_lo, s74
	s_cbranch_execnz .LBB4_3838
.LBB4_3575:                             ;   in Loop: Header=BB4_3233 Depth=4
	s_or_b32 exec_lo, exec_lo, s74
	s_and_saveexec_b32 s74, s17
	s_cbranch_execz .LBB4_3577
.LBB4_3576:                             ;   in Loop: Header=BB4_3233 Depth=4
	v_and_b32_sdwa v34, v102, v9 dst_sel:DWORD dst_unused:UNUSED_PAD src0_sel:DWORD src1_sel:BYTE_1
	v_and_b32_e32 v35, 3, v34
	v_bfe_u32 v96, v34, 2, 5
	v_ffbh_u32_e32 v50, v35
	v_cmp_eq_u32_e32 vcc_lo, 0, v96
	v_min_u32_e32 v50, 32, v50
	v_subrev_nc_u32_e32 v51, 29, v50
	v_sub_nc_u32_e32 v50, 30, v50
	v_lshlrev_b32_e32 v34, v51, v34
	v_lshlrev_b32_sdwa v51, v103, v9 dst_sel:DWORD dst_unused:UNUSED_PAD src0_sel:DWORD src1_sel:BYTE_1
	v_cndmask_b32_e32 v50, v96, v50, vcc_lo
	v_and_b32_e32 v34, 3, v34
	v_lshl_add_u32 v50, v50, 23, 0x37800000
	v_cndmask_b32_e32 v34, v35, v34, vcc_lo
	v_and_b32_e32 v35, 0x80000000, v51
	v_lshlrev_b32_e32 v34, 21, v34
	v_or3_b32 v34, v35, v50, v34
.LBB4_3577:                             ;   in Loop: Header=BB4_3233 Depth=4
	s_or_b32 exec_lo, exec_lo, s74
	v_add_f32_e32 v31, v31, v34
	v_and_b32_e32 v34, 0x7f800000, v31
	v_cmp_ne_u32_e32 vcc_lo, 0x7f800000, v34
	v_mov_b32_e32 v34, 0x8000
	s_and_saveexec_b32 s74, vcc_lo
	s_cbranch_execz .LBB4_3585
; %bb.3578:                             ;   in Loop: Header=BB4_3233 Depth=4
	v_mov_b32_e32 v34, 0
	s_mov_b32 s75, exec_lo
	v_cmpx_ne_u32_e32 0, v31
	s_cbranch_execz .LBB4_3584
; %bb.3579:                             ;   in Loop: Header=BB4_3233 Depth=4
	v_bfe_u32 v34, v31, 23, 8
	v_and_b32_e32 v35, 0x7fffff, v31
	v_sub_nc_u32_e32 v50, 0x70, v34
	v_cmp_gt_u32_e32 vcc_lo, 0x71, v34
	v_or_b32_e32 v51, 0x800000, v35
	v_cndmask_b32_e32 v50, 0, v50, vcc_lo
	v_cmp_eq_u32_e32 vcc_lo, 0, v34
	v_add_nc_u32_e32 v34, 0xffffff91, v34
	v_cndmask_b32_e64 v50, v50, 0x6f, vcc_lo
	v_cndmask_b32_e32 v35, v51, v35, vcc_lo
	v_cndmask_b32_e64 v34, v34, 0xffffff92, vcc_lo
	v_lshl_add_u32 v51, 0x200000, v50, -1
	v_lshrrev_b32_e32 v96, v50, v35
	v_lshlrev_b32_e64 v115, v50, 0x100000
	v_add_nc_u32_e32 v50, v50, v34
	v_and_b32_e32 v35, v51, v35
	v_bfe_u32 v97, v96, 21, 1
	v_cmp_eq_u32_e64 s17, v35, v115
	v_add_nc_u32_e32 v51, -1, v97
	v_cndmask_b32_e64 v35, 0, v51, s17
	v_lshrrev_b32_e32 v51, 23, v96
	s_mov_b32 s17, exec_lo
	v_add_nc_u32_e32 v35, v35, v96
	v_xor_b32_e32 v51, 1, v51
	v_and_b32_e32 v34, 0x1fffff, v35
	v_add_nc_u32_e32 v35, v34, v96
                                        ; implicit-def: $vgpr34
	v_cmpx_ne_u32_e64 v50, v51
	s_xor_b32 s17, exec_lo, s17
; %bb.3580:                             ;   in Loop: Header=BB4_3233 Depth=4
	v_cmp_lt_u32_e32 vcc_lo, 0xffffff, v35
	v_sub_nc_u32_e32 v34, v50, v51
	v_cndmask_b32_e64 v50, 0, 1, vcc_lo
	v_add_co_ci_u32_e64 v34, null, 0, v34, vcc_lo
	v_lshrrev_b32_e32 v35, v50, v35
; %bb.3581:                             ;   in Loop: Header=BB4_3233 Depth=4
	s_andn2_saveexec_b32 s17, s17
; %bb.3582:                             ;   in Loop: Header=BB4_3233 Depth=4
	v_bfe_u32 v34, v35, 23, 1
; %bb.3583:                             ;   in Loop: Header=BB4_3233 Depth=4
	s_or_b32 exec_lo, exec_lo, s17
	v_lshrrev_b32_e32 v35, 21, v35
	v_min_i32_e32 v50, 31, v34
	v_cmp_gt_i32_e32 vcc_lo, 32, v34
	v_and_b32_sdwa v31, v31, v101 dst_sel:DWORD dst_unused:UNUSED_PAD src0_sel:BYTE_3 src1_sel:DWORD
	v_lshlrev_b32_e32 v50, 2, v50
	v_cndmask_b32_e32 v35, 3, v35, vcc_lo
	v_and_b32_e32 v50, 0xfc, v50
	v_and_b32_e32 v51, 3, v35
	v_or_b32_e32 v34, v34, v35
	v_or3_b32 v31, v31, v50, v51
	v_cmp_ne_u32_e32 vcc_lo, 0, v34
	v_lshlrev_b32_e32 v31, 8, v31
	v_cndmask_b32_e32 v34, 0, v31, vcc_lo
.LBB4_3584:                             ;   in Loop: Header=BB4_3233 Depth=4
	s_or_b32 exec_lo, exec_lo, s75
.LBB4_3585:                             ;   in Loop: Header=BB4_3233 Depth=4
	s_or_b32 exec_lo, exec_lo, s74
	v_or_b32_e32 v35, v62, v37
	s_mov_b32 s17, 0
	v_cmp_gt_i16_sdwa s74, v35, v100 src0_sel:BYTE_0 src1_sel:DWORD
	s_and_saveexec_b32 s75, s74
	s_xor_b32 s74, exec_lo, s75
	s_cbranch_execz .LBB4_3839
; %bb.3586:                             ;   in Loop: Header=BB4_3233 Depth=4
	v_cmp_eq_u16_sdwa s76, v35, v101 src0_sel:BYTE_0 src1_sel:DWORD
	s_mov_b32 s17, -1
	s_and_saveexec_b32 s75, s76
; %bb.3587:                             ;   in Loop: Header=BB4_3233 Depth=4
	s_xor_b32 s17, exec_lo, -1
; %bb.3588:                             ;   in Loop: Header=BB4_3233 Depth=4
	s_or_b32 exec_lo, exec_lo, s75
	s_and_b32 s17, s17, exec_lo
	s_or_saveexec_b32 s74, s74
	v_mov_b32_e32 v31, 0x7f800001
	s_xor_b32 exec_lo, exec_lo, s74
	s_cbranch_execnz .LBB4_3840
.LBB4_3589:                             ;   in Loop: Header=BB4_3233 Depth=4
	s_or_b32 exec_lo, exec_lo, s74
	v_lshl_or_b32 v1, v35, 16, v1
	s_and_saveexec_b32 s74, s17
	s_cbranch_execz .LBB4_3591
.LBB4_3590:                             ;   in Loop: Header=BB4_3233 Depth=4
	v_bfe_u32 v31, v1, 16, 2
	v_bfe_u32 v50, v1, 18, 5
	v_lshlrev_b32_e32 v51, 8, v1
	v_ffbh_u32_e32 v35, v31
	v_cmp_eq_u32_e32 vcc_lo, 0, v50
	v_min_u32_e32 v35, 32, v35
	v_subrev_nc_u32_e32 v37, 29, v35
	v_sub_nc_u32_e32 v35, 30, v35
	v_lshlrev_b32_sdwa v37, v37, v1 dst_sel:DWORD dst_unused:UNUSED_PAD src0_sel:DWORD src1_sel:WORD_1
	v_cndmask_b32_e32 v35, v50, v35, vcc_lo
	v_and_b32_e32 v37, 3, v37
	v_lshl_add_u32 v35, v35, 23, 0x37800000
	v_cndmask_b32_e32 v31, v31, v37, vcc_lo
	v_and_b32_e32 v37, 0x80000000, v51
	v_lshlrev_b32_e32 v31, 21, v31
	v_or3_b32 v31, v37, v35, v31
.LBB4_3591:                             ;   in Loop: Header=BB4_3233 Depth=4
	s_or_b32 exec_lo, exec_lo, s74
	v_and_b32_sdwa v37, v9, v112 dst_sel:DWORD dst_unused:UNUSED_PAD src0_sel:WORD_1 src1_sel:DWORD
	s_mov_b32 s17, 0
	s_mov_b32 s74, exec_lo
	v_cmpx_lt_i16_e32 0x7f, v37
	s_xor_b32 s74, exec_lo, s74
	s_cbranch_execz .LBB4_3841
; %bb.3592:                             ;   in Loop: Header=BB4_3233 Depth=4
	s_mov_b32 s17, -1
	s_mov_b32 s75, exec_lo
	v_cmpx_eq_u16_e32 0x80, v37
; %bb.3593:                             ;   in Loop: Header=BB4_3233 Depth=4
	s_xor_b32 s17, exec_lo, -1
; %bb.3594:                             ;   in Loop: Header=BB4_3233 Depth=4
	s_or_b32 exec_lo, exec_lo, s75
	s_and_b32 s17, s17, exec_lo
                                        ; implicit-def: $vgpr37
	s_or_saveexec_b32 s74, s74
	v_mov_b32_e32 v35, 0x7f800001
	s_xor_b32 exec_lo, exec_lo, s74
	s_cbranch_execnz .LBB4_3842
.LBB4_3595:                             ;   in Loop: Header=BB4_3233 Depth=4
	s_or_b32 exec_lo, exec_lo, s74
	s_and_saveexec_b32 s74, s17
	s_cbranch_execz .LBB4_3597
.LBB4_3596:                             ;   in Loop: Header=BB4_3233 Depth=4
	v_and_b32_sdwa v35, v9, v114 dst_sel:DWORD dst_unused:UNUSED_PAD src0_sel:WORD_1 src1_sel:DWORD
	v_bfe_u32 v51, v9, 18, 5
	v_lshlrev_b32_sdwa v96, v103, v9 dst_sel:DWORD dst_unused:UNUSED_PAD src0_sel:DWORD src1_sel:WORD_1
	v_ffbh_u32_e32 v37, v35
	v_cmp_eq_u32_e32 vcc_lo, 0, v51
	v_min_u32_e32 v37, 32, v37
	v_subrev_nc_u32_e32 v50, 29, v37
	v_sub_nc_u32_e32 v37, 30, v37
	v_lshlrev_b32_sdwa v50, v50, v9 dst_sel:DWORD dst_unused:UNUSED_PAD src0_sel:DWORD src1_sel:WORD_1
	v_cndmask_b32_e32 v37, v51, v37, vcc_lo
	v_and_b32_e32 v50, 3, v50
	v_lshl_add_u32 v37, v37, 23, 0x37800000
	v_cndmask_b32_e32 v35, v35, v50, vcc_lo
	v_and_b32_e32 v50, 0x80000000, v96
	v_lshlrev_b32_e32 v35, 21, v35
	v_or3_b32 v35, v50, v37, v35
.LBB4_3597:                             ;   in Loop: Header=BB4_3233 Depth=4
	s_or_b32 exec_lo, exec_lo, s74
	v_add_f32_e32 v31, v31, v35
	v_and_b32_e32 v35, 0x7f800000, v31
	v_cmp_ne_u32_e32 vcc_lo, 0x7f800000, v35
	v_mov_b32_e32 v35, 0x80
	s_and_saveexec_b32 s74, vcc_lo
	s_cbranch_execz .LBB4_3605
; %bb.3598:                             ;   in Loop: Header=BB4_3233 Depth=4
	v_mov_b32_e32 v35, 0
	s_mov_b32 s75, exec_lo
	v_cmpx_ne_u32_e32 0, v31
	s_cbranch_execz .LBB4_3604
; %bb.3599:                             ;   in Loop: Header=BB4_3233 Depth=4
	v_bfe_u32 v35, v31, 23, 8
	v_and_b32_e32 v37, 0x7fffff, v31
	v_sub_nc_u32_e32 v50, 0x70, v35
	v_cmp_gt_u32_e32 vcc_lo, 0x71, v35
	v_or_b32_e32 v51, 0x800000, v37
	v_cndmask_b32_e32 v50, 0, v50, vcc_lo
	v_cmp_eq_u32_e32 vcc_lo, 0, v35
	v_add_nc_u32_e32 v35, 0xffffff91, v35
	v_cndmask_b32_e64 v50, v50, 0x6f, vcc_lo
	v_cndmask_b32_e32 v37, v51, v37, vcc_lo
	v_cndmask_b32_e64 v35, v35, 0xffffff92, vcc_lo
	v_lshl_add_u32 v51, 0x200000, v50, -1
	v_lshrrev_b32_e32 v96, v50, v37
	v_lshlrev_b32_e64 v115, v50, 0x100000
	v_add_nc_u32_e32 v50, v50, v35
	v_and_b32_e32 v37, v51, v37
	v_bfe_u32 v97, v96, 21, 1
	v_cmp_eq_u32_e64 s17, v37, v115
	v_add_nc_u32_e32 v51, -1, v97
	v_cndmask_b32_e64 v37, 0, v51, s17
	v_lshrrev_b32_e32 v51, 23, v96
	s_mov_b32 s17, exec_lo
	v_add_nc_u32_e32 v37, v37, v96
	v_xor_b32_e32 v51, 1, v51
	v_and_b32_e32 v35, 0x1fffff, v37
	v_add_nc_u32_e32 v37, v35, v96
                                        ; implicit-def: $vgpr35
	v_cmpx_ne_u32_e64 v50, v51
	s_xor_b32 s17, exec_lo, s17
; %bb.3600:                             ;   in Loop: Header=BB4_3233 Depth=4
	v_cmp_lt_u32_e32 vcc_lo, 0xffffff, v37
	v_sub_nc_u32_e32 v35, v50, v51
	v_cndmask_b32_e64 v50, 0, 1, vcc_lo
	v_add_co_ci_u32_e64 v35, null, 0, v35, vcc_lo
	v_lshrrev_b32_e32 v37, v50, v37
; %bb.3601:                             ;   in Loop: Header=BB4_3233 Depth=4
	s_andn2_saveexec_b32 s17, s17
; %bb.3602:                             ;   in Loop: Header=BB4_3233 Depth=4
	v_bfe_u32 v35, v37, 23, 1
; %bb.3603:                             ;   in Loop: Header=BB4_3233 Depth=4
	s_or_b32 exec_lo, exec_lo, s17
	v_lshrrev_b32_e32 v37, 21, v37
	v_min_i32_e32 v50, 31, v35
	v_cmp_gt_i32_e32 vcc_lo, 32, v35
	v_and_b32_sdwa v31, v31, v101 dst_sel:DWORD dst_unused:UNUSED_PAD src0_sel:BYTE_3 src1_sel:DWORD
	v_lshlrev_b32_e32 v50, 2, v50
	v_cndmask_b32_e32 v37, 3, v37, vcc_lo
	v_and_b32_e32 v50, 0xfc, v50
	v_and_b32_e32 v51, 3, v37
	v_or_b32_e32 v35, v35, v37
	v_or3_b32 v31, v50, v31, v51
	v_cmp_ne_u32_e32 vcc_lo, 0, v35
	v_cndmask_b32_e32 v35, 0, v31, vcc_lo
.LBB4_3604:                             ;   in Loop: Header=BB4_3233 Depth=4
	s_or_b32 exec_lo, exec_lo, s75
.LBB4_3605:                             ;   in Loop: Header=BB4_3233 Depth=4
	s_or_b32 exec_lo, exec_lo, s74
	v_cmp_gt_i16_sdwa s74, v1, v100 src0_sel:BYTE_3 src1_sel:DWORD
	s_mov_b32 s17, 0
	s_and_saveexec_b32 s75, s74
	s_xor_b32 s74, exec_lo, s75
	s_cbranch_execz .LBB4_3843
; %bb.3606:                             ;   in Loop: Header=BB4_3233 Depth=4
	v_cmp_eq_u16_sdwa s76, v1, v101 src0_sel:BYTE_3 src1_sel:DWORD
	s_mov_b32 s17, -1
	s_and_saveexec_b32 s75, s76
; %bb.3607:                             ;   in Loop: Header=BB4_3233 Depth=4
	s_xor_b32 s17, exec_lo, -1
; %bb.3608:                             ;   in Loop: Header=BB4_3233 Depth=4
	s_or_b32 exec_lo, exec_lo, s75
	s_and_b32 s17, s17, exec_lo
	s_or_saveexec_b32 s74, s74
	v_mov_b32_e32 v31, 0x7f800001
	s_xor_b32 exec_lo, exec_lo, s74
	s_cbranch_execnz .LBB4_3844
.LBB4_3609:                             ;   in Loop: Header=BB4_3233 Depth=4
	s_or_b32 exec_lo, exec_lo, s74
	s_and_saveexec_b32 s74, s17
	s_cbranch_execz .LBB4_3611
.LBB4_3610:                             ;   in Loop: Header=BB4_3233 Depth=4
	v_bfe_u32 v31, v1, 24, 2
	v_bfe_u32 v51, v1, 26, 5
	v_ffbh_u32_e32 v37, v31
	v_cmp_eq_u32_e32 vcc_lo, 0, v51
	v_min_u32_e32 v37, 32, v37
	v_subrev_nc_u32_e32 v50, 29, v37
	v_sub_nc_u32_e32 v37, 30, v37
	v_lshlrev_b32_sdwa v50, v50, v1 dst_sel:DWORD dst_unused:UNUSED_PAD src0_sel:DWORD src1_sel:BYTE_3
	v_cndmask_b32_e32 v37, v51, v37, vcc_lo
	v_and_b32_e32 v1, 0x80000000, v1
	v_and_b32_e32 v50, 3, v50
	v_lshl_add_u32 v37, v37, 23, 0x37800000
	v_cndmask_b32_e32 v31, v31, v50, vcc_lo
	v_lshlrev_b32_e32 v31, 21, v31
	v_or3_b32 v31, v1, v37, v31
.LBB4_3611:                             ;   in Loop: Header=BB4_3233 Depth=4
	s_or_b32 exec_lo, exec_lo, s74
	v_cmp_gt_i16_sdwa s74, v9, v100 src0_sel:BYTE_3 src1_sel:DWORD
	s_mov_b32 s17, 0
	s_and_saveexec_b32 s75, s74
	s_xor_b32 s74, exec_lo, s75
	s_cbranch_execz .LBB4_3845
; %bb.3612:                             ;   in Loop: Header=BB4_3233 Depth=4
	v_cmp_eq_u16_sdwa s76, v9, v101 src0_sel:BYTE_3 src1_sel:DWORD
	s_mov_b32 s17, -1
	s_and_saveexec_b32 s75, s76
; %bb.3613:                             ;   in Loop: Header=BB4_3233 Depth=4
	s_xor_b32 s17, exec_lo, -1
; %bb.3614:                             ;   in Loop: Header=BB4_3233 Depth=4
	s_or_b32 exec_lo, exec_lo, s75
	s_and_b32 s17, s17, exec_lo
	s_or_saveexec_b32 s74, s74
	v_mov_b32_e32 v1, 0x7f800001
	s_xor_b32 exec_lo, exec_lo, s74
	s_cbranch_execnz .LBB4_3846
.LBB4_3615:                             ;   in Loop: Header=BB4_3233 Depth=4
	s_or_b32 exec_lo, exec_lo, s74
	s_and_saveexec_b32 s74, s17
	s_cbranch_execz .LBB4_3617
.LBB4_3616:                             ;   in Loop: Header=BB4_3233 Depth=4
	v_and_b32_sdwa v1, v9, v114 dst_sel:DWORD dst_unused:UNUSED_PAD src0_sel:BYTE_3 src1_sel:DWORD
	v_bfe_u32 v51, v9, 26, 5
	v_ffbh_u32_e32 v37, v1
	v_cmp_eq_u32_e32 vcc_lo, 0, v51
	v_min_u32_e32 v37, 32, v37
	v_subrev_nc_u32_e32 v50, 29, v37
	v_sub_nc_u32_e32 v37, 30, v37
	v_lshlrev_b32_sdwa v50, v50, v9 dst_sel:DWORD dst_unused:UNUSED_PAD src0_sel:DWORD src1_sel:BYTE_3
	v_cndmask_b32_e32 v37, v51, v37, vcc_lo
	v_and_b32_e32 v9, 0x80000000, v9
	v_and_b32_e32 v50, 3, v50
	v_lshl_add_u32 v37, v37, 23, 0x37800000
	v_cndmask_b32_e32 v1, v1, v50, vcc_lo
	v_lshlrev_b32_e32 v1, 21, v1
	v_or3_b32 v1, v9, v37, v1
.LBB4_3617:                             ;   in Loop: Header=BB4_3233 Depth=4
	s_or_b32 exec_lo, exec_lo, s74
	v_add_f32_e32 v1, v31, v1
	v_and_b32_e32 v9, 0x7f800000, v1
	v_cmp_ne_u32_e32 vcc_lo, 0x7f800000, v9
	v_mov_b32_e32 v9, 0x8000
	s_and_saveexec_b32 s74, vcc_lo
	s_cbranch_execz .LBB4_3625
; %bb.3618:                             ;   in Loop: Header=BB4_3233 Depth=4
	v_mov_b32_e32 v9, 0
	s_mov_b32 s75, exec_lo
	v_cmpx_ne_u32_e32 0, v1
	s_cbranch_execz .LBB4_3624
; %bb.3619:                             ;   in Loop: Header=BB4_3233 Depth=4
	v_bfe_u32 v9, v1, 23, 8
	v_and_b32_e32 v31, 0x7fffff, v1
	v_sub_nc_u32_e32 v37, 0x70, v9
	v_cmp_gt_u32_e32 vcc_lo, 0x71, v9
	v_or_b32_e32 v50, 0x800000, v31
	v_cndmask_b32_e32 v37, 0, v37, vcc_lo
	v_cmp_eq_u32_e32 vcc_lo, 0, v9
	v_add_nc_u32_e32 v9, 0xffffff91, v9
	v_cndmask_b32_e64 v37, v37, 0x6f, vcc_lo
	v_cndmask_b32_e32 v31, v50, v31, vcc_lo
	v_cndmask_b32_e64 v9, v9, 0xffffff92, vcc_lo
	v_lshl_add_u32 v50, 0x200000, v37, -1
	v_lshrrev_b32_e32 v51, v37, v31
	v_lshlrev_b32_e64 v97, v37, 0x100000
	v_add_nc_u32_e32 v37, v37, v9
	v_and_b32_e32 v31, v50, v31
	v_bfe_u32 v96, v51, 21, 1
	v_cmp_eq_u32_e64 s17, v31, v97
	v_add_nc_u32_e32 v50, -1, v96
	v_cndmask_b32_e64 v31, 0, v50, s17
	v_lshrrev_b32_e32 v50, 23, v51
	s_mov_b32 s17, exec_lo
	v_add_nc_u32_e32 v31, v31, v51
	v_xor_b32_e32 v50, 1, v50
	v_and_b32_e32 v9, 0x1fffff, v31
	v_add_nc_u32_e32 v31, v9, v51
                                        ; implicit-def: $vgpr9
	v_cmpx_ne_u32_e64 v37, v50
	s_xor_b32 s17, exec_lo, s17
; %bb.3620:                             ;   in Loop: Header=BB4_3233 Depth=4
	v_cmp_lt_u32_e32 vcc_lo, 0xffffff, v31
	v_sub_nc_u32_e32 v9, v37, v50
	v_cndmask_b32_e64 v37, 0, 1, vcc_lo
	v_add_co_ci_u32_e64 v9, null, 0, v9, vcc_lo
	v_lshrrev_b32_e32 v31, v37, v31
; %bb.3621:                             ;   in Loop: Header=BB4_3233 Depth=4
	s_andn2_saveexec_b32 s17, s17
; %bb.3622:                             ;   in Loop: Header=BB4_3233 Depth=4
	v_bfe_u32 v9, v31, 23, 1
; %bb.3623:                             ;   in Loop: Header=BB4_3233 Depth=4
	s_or_b32 exec_lo, exec_lo, s17
	v_lshrrev_b32_e32 v31, 21, v31
	v_min_i32_e32 v37, 31, v9
	v_cmp_gt_i32_e32 vcc_lo, 32, v9
	v_and_b32_sdwa v1, v1, v101 dst_sel:DWORD dst_unused:UNUSED_PAD src0_sel:BYTE_3 src1_sel:DWORD
	v_lshlrev_b32_e32 v37, 2, v37
	v_cndmask_b32_e32 v31, 3, v31, vcc_lo
	v_and_b32_e32 v37, 0xfc, v37
	v_and_b32_e32 v50, 3, v31
	v_or_b32_e32 v9, v9, v31
	v_or3_b32 v1, v1, v37, v50
	v_cmp_ne_u32_e32 vcc_lo, 0, v9
	v_lshlrev_b32_e32 v1, 8, v1
	v_cndmask_b32_e32 v9, 0, v1, vcc_lo
.LBB4_3624:                             ;   in Loop: Header=BB4_3233 Depth=4
	s_or_b32 exec_lo, exec_lo, s75
.LBB4_3625:                             ;   in Loop: Header=BB4_3233 Depth=4
	s_or_b32 exec_lo, exec_lo, s74
	v_or_b32_e32 v1, v60, v21
	s_mov_b32 s17, 0
	v_cmp_gt_i16_sdwa s74, v1, v100 src0_sel:BYTE_0 src1_sel:DWORD
	s_and_saveexec_b32 s75, s74
	s_xor_b32 s74, exec_lo, s75
	s_cbranch_execz .LBB4_3847
; %bb.3626:                             ;   in Loop: Header=BB4_3233 Depth=4
	v_cmp_eq_u16_sdwa s76, v1, v101 src0_sel:BYTE_0 src1_sel:DWORD
	s_mov_b32 s17, -1
	s_and_saveexec_b32 s75, s76
; %bb.3627:                             ;   in Loop: Header=BB4_3233 Depth=4
	s_xor_b32 s17, exec_lo, -1
; %bb.3628:                             ;   in Loop: Header=BB4_3233 Depth=4
	s_or_b32 exec_lo, exec_lo, s75
	s_and_b32 s17, s17, exec_lo
	s_or_saveexec_b32 s74, s74
	v_mov_b32_e32 v21, 0x7f800001
	s_xor_b32 exec_lo, exec_lo, s74
	s_cbranch_execnz .LBB4_3848
.LBB4_3629:                             ;   in Loop: Header=BB4_3233 Depth=4
	s_or_b32 exec_lo, exec_lo, s74
	s_and_saveexec_b32 s74, s17
	s_cbranch_execz .LBB4_3631
.LBB4_3630:                             ;   in Loop: Header=BB4_3233 Depth=4
	v_and_b32_e32 v21, 3, v1
	v_bfe_u32 v50, v1, 2, 5
	v_lshlrev_b32_e32 v51, 24, v1
	v_ffbh_u32_e32 v31, v21
	v_cmp_eq_u32_e32 vcc_lo, 0, v50
	v_min_u32_e32 v31, 32, v31
	v_subrev_nc_u32_e32 v37, 29, v31
	v_sub_nc_u32_e32 v31, 30, v31
	v_lshlrev_b32_e32 v37, v37, v1
	v_cndmask_b32_e32 v31, v50, v31, vcc_lo
	v_and_b32_e32 v37, 3, v37
	v_lshl_add_u32 v31, v31, 23, 0x37800000
	v_cndmask_b32_e32 v21, v21, v37, vcc_lo
	v_and_b32_e32 v37, 0x80000000, v51
	v_lshlrev_b32_e32 v21, 21, v21
	v_or3_b32 v21, v37, v31, v21
.LBB4_3631:                             ;   in Loop: Header=BB4_3233 Depth=4
	s_or_b32 exec_lo, exec_lo, s74
	v_cmp_gt_i16_sdwa s74, v10, v100 src0_sel:BYTE_0 src1_sel:DWORD
	s_mov_b32 s17, 0
	s_and_saveexec_b32 s75, s74
	s_xor_b32 s74, exec_lo, s75
	s_cbranch_execz .LBB4_3849
; %bb.3632:                             ;   in Loop: Header=BB4_3233 Depth=4
	v_cmp_eq_u16_sdwa s76, v10, v101 src0_sel:BYTE_0 src1_sel:DWORD
	s_mov_b32 s17, -1
	s_and_saveexec_b32 s75, s76
; %bb.3633:                             ;   in Loop: Header=BB4_3233 Depth=4
	s_xor_b32 s17, exec_lo, -1
; %bb.3634:                             ;   in Loop: Header=BB4_3233 Depth=4
	s_or_b32 exec_lo, exec_lo, s75
	s_and_b32 s17, s17, exec_lo
	s_or_saveexec_b32 s74, s74
	v_mov_b32_e32 v31, 0x7f800001
	s_xor_b32 exec_lo, exec_lo, s74
	s_cbranch_execnz .LBB4_3850
.LBB4_3635:                             ;   in Loop: Header=BB4_3233 Depth=4
	s_or_b32 exec_lo, exec_lo, s74
	s_and_saveexec_b32 s74, s17
	s_cbranch_execz .LBB4_3637
.LBB4_3636:                             ;   in Loop: Header=BB4_3233 Depth=4
	v_and_b32_e32 v31, 3, v10
	v_bfe_u32 v51, v10, 2, 5
	v_lshlrev_b32_e32 v96, 24, v10
	v_ffbh_u32_e32 v37, v31
	v_cmp_eq_u32_e32 vcc_lo, 0, v51
	v_min_u32_e32 v37, 32, v37
	v_subrev_nc_u32_e32 v50, 29, v37
	v_sub_nc_u32_e32 v37, 30, v37
	v_lshlrev_b32_e32 v50, v50, v10
	v_cndmask_b32_e32 v37, v51, v37, vcc_lo
	v_and_b32_e32 v50, 3, v50
	v_lshl_add_u32 v37, v37, 23, 0x37800000
	v_cndmask_b32_e32 v31, v31, v50, vcc_lo
	v_and_b32_e32 v50, 0x80000000, v96
	v_lshlrev_b32_e32 v31, 21, v31
	v_or3_b32 v31, v50, v37, v31
.LBB4_3637:                             ;   in Loop: Header=BB4_3233 Depth=4
	s_or_b32 exec_lo, exec_lo, s74
	v_add_f32_e32 v31, v21, v31
	v_and_b32_e32 v21, 0x7f800000, v31
	v_cmp_ne_u32_e32 vcc_lo, 0x7f800000, v21
	v_mov_b32_e32 v21, 0x80
	s_and_saveexec_b32 s74, vcc_lo
	s_cbranch_execz .LBB4_3645
; %bb.3638:                             ;   in Loop: Header=BB4_3233 Depth=4
	v_mov_b32_e32 v21, 0
	s_mov_b32 s75, exec_lo
	v_cmpx_ne_u32_e32 0, v31
	s_cbranch_execz .LBB4_3644
; %bb.3639:                             ;   in Loop: Header=BB4_3233 Depth=4
	v_bfe_u32 v21, v31, 23, 8
	v_and_b32_e32 v37, 0x7fffff, v31
	v_sub_nc_u32_e32 v50, 0x70, v21
	v_cmp_gt_u32_e32 vcc_lo, 0x71, v21
	v_or_b32_e32 v51, 0x800000, v37
	v_cndmask_b32_e32 v50, 0, v50, vcc_lo
	v_cmp_eq_u32_e32 vcc_lo, 0, v21
	v_add_nc_u32_e32 v21, 0xffffff91, v21
	v_cndmask_b32_e64 v50, v50, 0x6f, vcc_lo
	v_cndmask_b32_e32 v37, v51, v37, vcc_lo
	v_cndmask_b32_e64 v21, v21, 0xffffff92, vcc_lo
	v_lshl_add_u32 v51, 0x200000, v50, -1
	v_lshrrev_b32_e32 v96, v50, v37
	v_lshlrev_b32_e64 v115, v50, 0x100000
	v_add_nc_u32_e32 v50, v50, v21
	v_and_b32_e32 v37, v51, v37
	v_bfe_u32 v97, v96, 21, 1
	v_cmp_eq_u32_e64 s17, v37, v115
	v_add_nc_u32_e32 v51, -1, v97
	v_cndmask_b32_e64 v37, 0, v51, s17
	v_lshrrev_b32_e32 v51, 23, v96
	s_mov_b32 s17, exec_lo
	v_add_nc_u32_e32 v37, v37, v96
	v_xor_b32_e32 v51, 1, v51
	v_and_b32_e32 v21, 0x1fffff, v37
	v_add_nc_u32_e32 v37, v21, v96
                                        ; implicit-def: $vgpr21
	v_cmpx_ne_u32_e64 v50, v51
	s_xor_b32 s17, exec_lo, s17
; %bb.3640:                             ;   in Loop: Header=BB4_3233 Depth=4
	v_cmp_lt_u32_e32 vcc_lo, 0xffffff, v37
	v_sub_nc_u32_e32 v21, v50, v51
	v_cndmask_b32_e64 v50, 0, 1, vcc_lo
	v_add_co_ci_u32_e64 v21, null, 0, v21, vcc_lo
	v_lshrrev_b32_e32 v37, v50, v37
; %bb.3641:                             ;   in Loop: Header=BB4_3233 Depth=4
	s_andn2_saveexec_b32 s17, s17
; %bb.3642:                             ;   in Loop: Header=BB4_3233 Depth=4
	v_bfe_u32 v21, v37, 23, 1
; %bb.3643:                             ;   in Loop: Header=BB4_3233 Depth=4
	s_or_b32 exec_lo, exec_lo, s17
	v_lshrrev_b32_e32 v37, 21, v37
	v_min_i32_e32 v50, 31, v21
	v_cmp_gt_i32_e32 vcc_lo, 32, v21
	v_and_b32_sdwa v31, v31, v101 dst_sel:DWORD dst_unused:UNUSED_PAD src0_sel:BYTE_3 src1_sel:DWORD
	v_lshlrev_b32_e32 v50, 2, v50
	v_cndmask_b32_e32 v37, 3, v37, vcc_lo
	v_and_b32_e32 v50, 0xfc, v50
	v_and_b32_e32 v51, 3, v37
	v_or_b32_e32 v21, v21, v37
	v_or3_b32 v31, v50, v31, v51
	v_cmp_ne_u32_e32 vcc_lo, 0, v21
	v_cndmask_b32_e32 v21, 0, v31, vcc_lo
.LBB4_3644:                             ;   in Loop: Header=BB4_3233 Depth=4
	s_or_b32 exec_lo, exec_lo, s75
.LBB4_3645:                             ;   in Loop: Header=BB4_3233 Depth=4
	s_or_b32 exec_lo, exec_lo, s74
	v_cmp_gt_i16_sdwa s74, v1, v100 src0_sel:BYTE_1 src1_sel:DWORD
	s_mov_b32 s17, 0
	s_and_saveexec_b32 s75, s74
	s_xor_b32 s74, exec_lo, s75
	s_cbranch_execz .LBB4_3851
; %bb.3646:                             ;   in Loop: Header=BB4_3233 Depth=4
	v_cmp_eq_u16_sdwa s76, v1, v101 src0_sel:BYTE_1 src1_sel:DWORD
	s_mov_b32 s17, -1
	s_and_saveexec_b32 s75, s76
; %bb.3647:                             ;   in Loop: Header=BB4_3233 Depth=4
	s_xor_b32 s17, exec_lo, -1
; %bb.3648:                             ;   in Loop: Header=BB4_3233 Depth=4
	s_or_b32 exec_lo, exec_lo, s75
	s_and_b32 s17, s17, exec_lo
	s_or_saveexec_b32 s74, s74
	v_mov_b32_e32 v31, 0x7f800001
	s_xor_b32 exec_lo, exec_lo, s74
	s_cbranch_execnz .LBB4_3852
.LBB4_3649:                             ;   in Loop: Header=BB4_3233 Depth=4
	s_or_b32 exec_lo, exec_lo, s74
	s_and_saveexec_b32 s74, s17
	s_cbranch_execz .LBB4_3651
.LBB4_3650:                             ;   in Loop: Header=BB4_3233 Depth=4
	v_and_b32_sdwa v31, v102, v1 dst_sel:DWORD dst_unused:UNUSED_PAD src0_sel:DWORD src1_sel:BYTE_1
	v_and_b32_e32 v37, 3, v31
	v_bfe_u32 v96, v31, 2, 5
	v_ffbh_u32_e32 v50, v37
	v_cmp_eq_u32_e32 vcc_lo, 0, v96
	v_min_u32_e32 v50, 32, v50
	v_subrev_nc_u32_e32 v51, 29, v50
	v_sub_nc_u32_e32 v50, 30, v50
	v_lshlrev_b32_e32 v31, v51, v31
	v_lshlrev_b32_sdwa v51, v103, v1 dst_sel:DWORD dst_unused:UNUSED_PAD src0_sel:DWORD src1_sel:BYTE_1
	v_cndmask_b32_e32 v50, v96, v50, vcc_lo
	v_and_b32_e32 v31, 3, v31
	v_lshl_add_u32 v50, v50, 23, 0x37800000
	v_cndmask_b32_e32 v31, v37, v31, vcc_lo
	v_and_b32_e32 v37, 0x80000000, v51
	v_lshlrev_b32_e32 v31, 21, v31
	v_or3_b32 v31, v37, v50, v31
.LBB4_3651:                             ;   in Loop: Header=BB4_3233 Depth=4
	s_or_b32 exec_lo, exec_lo, s74
	v_cmp_gt_i16_sdwa s74, v10, v100 src0_sel:BYTE_1 src1_sel:DWORD
	s_mov_b32 s17, 0
	s_and_saveexec_b32 s75, s74
	s_xor_b32 s74, exec_lo, s75
	s_cbranch_execz .LBB4_3853
; %bb.3652:                             ;   in Loop: Header=BB4_3233 Depth=4
	v_cmp_eq_u16_sdwa s76, v10, v101 src0_sel:BYTE_1 src1_sel:DWORD
	s_mov_b32 s17, -1
	s_and_saveexec_b32 s75, s76
; %bb.3653:                             ;   in Loop: Header=BB4_3233 Depth=4
	s_xor_b32 s17, exec_lo, -1
; %bb.3654:                             ;   in Loop: Header=BB4_3233 Depth=4
	s_or_b32 exec_lo, exec_lo, s75
	s_and_b32 s17, s17, exec_lo
	s_or_saveexec_b32 s74, s74
	v_mov_b32_e32 v37, 0x7f800001
	s_xor_b32 exec_lo, exec_lo, s74
	s_cbranch_execnz .LBB4_3854
.LBB4_3655:                             ;   in Loop: Header=BB4_3233 Depth=4
	s_or_b32 exec_lo, exec_lo, s74
	s_and_saveexec_b32 s74, s17
	s_cbranch_execz .LBB4_3657
.LBB4_3656:                             ;   in Loop: Header=BB4_3233 Depth=4
	v_and_b32_sdwa v37, v102, v10 dst_sel:DWORD dst_unused:UNUSED_PAD src0_sel:DWORD src1_sel:BYTE_1
	v_and_b32_e32 v50, 3, v37
	v_bfe_u32 v97, v37, 2, 5
	v_ffbh_u32_e32 v51, v50
	v_cmp_eq_u32_e32 vcc_lo, 0, v97
	v_min_u32_e32 v51, 32, v51
	v_subrev_nc_u32_e32 v96, 29, v51
	v_sub_nc_u32_e32 v51, 30, v51
	v_lshlrev_b32_e32 v37, v96, v37
	v_lshlrev_b32_sdwa v96, v103, v10 dst_sel:DWORD dst_unused:UNUSED_PAD src0_sel:DWORD src1_sel:BYTE_1
	v_cndmask_b32_e32 v51, v97, v51, vcc_lo
	v_and_b32_e32 v37, 3, v37
	v_lshl_add_u32 v51, v51, 23, 0x37800000
	v_cndmask_b32_e32 v37, v50, v37, vcc_lo
	v_and_b32_e32 v50, 0x80000000, v96
	v_lshlrev_b32_e32 v37, 21, v37
	v_or3_b32 v37, v50, v51, v37
.LBB4_3657:                             ;   in Loop: Header=BB4_3233 Depth=4
	s_or_b32 exec_lo, exec_lo, s74
	v_add_f32_e32 v37, v31, v37
	v_and_b32_e32 v31, 0x7f800000, v37
	v_cmp_ne_u32_e32 vcc_lo, 0x7f800000, v31
	v_mov_b32_e32 v31, 0x8000
	s_and_saveexec_b32 s74, vcc_lo
	s_cbranch_execz .LBB4_3665
; %bb.3658:                             ;   in Loop: Header=BB4_3233 Depth=4
	v_mov_b32_e32 v31, 0
	s_mov_b32 s75, exec_lo
	v_cmpx_ne_u32_e32 0, v37
	s_cbranch_execz .LBB4_3664
; %bb.3659:                             ;   in Loop: Header=BB4_3233 Depth=4
	v_bfe_u32 v31, v37, 23, 8
	v_and_b32_e32 v50, 0x7fffff, v37
	v_sub_nc_u32_e32 v51, 0x70, v31
	v_cmp_gt_u32_e32 vcc_lo, 0x71, v31
	v_or_b32_e32 v96, 0x800000, v50
	v_cndmask_b32_e32 v51, 0, v51, vcc_lo
	v_cmp_eq_u32_e32 vcc_lo, 0, v31
	v_add_nc_u32_e32 v31, 0xffffff91, v31
	v_cndmask_b32_e64 v51, v51, 0x6f, vcc_lo
	v_cndmask_b32_e32 v50, v96, v50, vcc_lo
	v_cndmask_b32_e64 v31, v31, 0xffffff92, vcc_lo
	v_lshl_add_u32 v96, 0x200000, v51, -1
	v_lshrrev_b32_e32 v97, v51, v50
	v_lshlrev_b32_e64 v40, v51, 0x100000
	v_add_nc_u32_e32 v51, v51, v31
	v_and_b32_e32 v50, v96, v50
	v_bfe_u32 v115, v97, 21, 1
	v_cmp_eq_u32_e64 s17, v50, v40
	v_add_nc_u32_e32 v96, -1, v115
	v_cndmask_b32_e64 v50, 0, v96, s17
	v_lshrrev_b32_e32 v96, 23, v97
	s_mov_b32 s17, exec_lo
	v_add_nc_u32_e32 v50, v50, v97
	v_xor_b32_e32 v96, 1, v96
	v_and_b32_e32 v31, 0x1fffff, v50
	v_add_nc_u32_e32 v50, v31, v97
                                        ; implicit-def: $vgpr31
	v_cmpx_ne_u32_e64 v51, v96
	s_xor_b32 s17, exec_lo, s17
; %bb.3660:                             ;   in Loop: Header=BB4_3233 Depth=4
	v_cmp_lt_u32_e32 vcc_lo, 0xffffff, v50
	v_sub_nc_u32_e32 v31, v51, v96
	v_cndmask_b32_e64 v51, 0, 1, vcc_lo
	v_add_co_ci_u32_e64 v31, null, 0, v31, vcc_lo
	v_lshrrev_b32_e32 v50, v51, v50
; %bb.3661:                             ;   in Loop: Header=BB4_3233 Depth=4
	s_andn2_saveexec_b32 s17, s17
; %bb.3662:                             ;   in Loop: Header=BB4_3233 Depth=4
	v_bfe_u32 v31, v50, 23, 1
; %bb.3663:                             ;   in Loop: Header=BB4_3233 Depth=4
	s_or_b32 exec_lo, exec_lo, s17
	v_lshrrev_b32_e32 v50, 21, v50
	v_min_i32_e32 v51, 31, v31
	v_cmp_gt_i32_e32 vcc_lo, 32, v31
	v_and_b32_sdwa v37, v37, v101 dst_sel:DWORD dst_unused:UNUSED_PAD src0_sel:BYTE_3 src1_sel:DWORD
	v_lshlrev_b32_e32 v51, 2, v51
	v_cndmask_b32_e32 v50, 3, v50, vcc_lo
	v_and_b32_e32 v51, 0xfc, v51
	v_and_b32_e32 v96, 3, v50
	v_or_b32_e32 v31, v31, v50
	v_or3_b32 v37, v37, v51, v96
	v_cmp_ne_u32_e32 vcc_lo, 0, v31
	v_lshlrev_b32_e32 v37, 8, v37
	v_cndmask_b32_e32 v31, 0, v37, vcc_lo
.LBB4_3664:                             ;   in Loop: Header=BB4_3233 Depth=4
	s_or_b32 exec_lo, exec_lo, s75
.LBB4_3665:                             ;   in Loop: Header=BB4_3233 Depth=4
	s_or_b32 exec_lo, exec_lo, s74
	v_or_b32_e32 v4, v36, v4
	s_mov_b32 s17, 0
	v_cmp_gt_i16_sdwa s74, v4, v100 src0_sel:BYTE_0 src1_sel:DWORD
	s_and_saveexec_b32 s75, s74
	s_xor_b32 s74, exec_lo, s75
	s_cbranch_execz .LBB4_3855
; %bb.3666:                             ;   in Loop: Header=BB4_3233 Depth=4
	v_cmp_eq_u16_sdwa s76, v4, v101 src0_sel:BYTE_0 src1_sel:DWORD
	s_mov_b32 s17, -1
	s_and_saveexec_b32 s75, s76
; %bb.3667:                             ;   in Loop: Header=BB4_3233 Depth=4
	s_xor_b32 s17, exec_lo, -1
; %bb.3668:                             ;   in Loop: Header=BB4_3233 Depth=4
	s_or_b32 exec_lo, exec_lo, s75
	s_and_b32 s17, s17, exec_lo
	s_or_saveexec_b32 s74, s74
	v_mov_b32_e32 v36, 0x7f800001
	s_xor_b32 exec_lo, exec_lo, s74
	s_cbranch_execnz .LBB4_3856
.LBB4_3669:                             ;   in Loop: Header=BB4_3233 Depth=4
	s_or_b32 exec_lo, exec_lo, s74
	v_lshl_or_b32 v4, v4, 16, v1
	s_and_saveexec_b32 s74, s17
	s_cbranch_execz .LBB4_3671
.LBB4_3670:                             ;   in Loop: Header=BB4_3233 Depth=4
	v_bfe_u32 v1, v4, 16, 2
	v_bfe_u32 v50, v4, 18, 5
	v_lshlrev_b32_e32 v51, 8, v4
	v_ffbh_u32_e32 v36, v1
	v_cmp_eq_u32_e32 vcc_lo, 0, v50
	v_min_u32_e32 v36, 32, v36
	v_subrev_nc_u32_e32 v37, 29, v36
	v_sub_nc_u32_e32 v36, 30, v36
	v_lshlrev_b32_sdwa v37, v37, v4 dst_sel:DWORD dst_unused:UNUSED_PAD src0_sel:DWORD src1_sel:WORD_1
	v_cndmask_b32_e32 v36, v50, v36, vcc_lo
	v_and_b32_e32 v37, 3, v37
	v_lshl_add_u32 v36, v36, 23, 0x37800000
	v_cndmask_b32_e32 v1, v1, v37, vcc_lo
	v_and_b32_e32 v37, 0x80000000, v51
	v_lshlrev_b32_e32 v1, 21, v1
	v_or3_b32 v36, v37, v36, v1
.LBB4_3671:                             ;   in Loop: Header=BB4_3233 Depth=4
	s_or_b32 exec_lo, exec_lo, s74
	v_and_b32_sdwa v37, v10, v112 dst_sel:DWORD dst_unused:UNUSED_PAD src0_sel:WORD_1 src1_sel:DWORD
	s_mov_b32 s17, 0
	s_mov_b32 s74, exec_lo
	v_cmpx_lt_i16_e32 0x7f, v37
	s_xor_b32 s74, exec_lo, s74
	s_cbranch_execz .LBB4_3857
; %bb.3672:                             ;   in Loop: Header=BB4_3233 Depth=4
	s_mov_b32 s17, -1
	s_mov_b32 s75, exec_lo
	v_cmpx_eq_u16_e32 0x80, v37
; %bb.3673:                             ;   in Loop: Header=BB4_3233 Depth=4
	s_xor_b32 s17, exec_lo, -1
; %bb.3674:                             ;   in Loop: Header=BB4_3233 Depth=4
	s_or_b32 exec_lo, exec_lo, s75
	s_and_b32 s17, s17, exec_lo
                                        ; implicit-def: $vgpr37
	s_or_saveexec_b32 s74, s74
	v_mov_b32_e32 v1, 0x7f800001
	s_xor_b32 exec_lo, exec_lo, s74
	s_cbranch_execnz .LBB4_3858
.LBB4_3675:                             ;   in Loop: Header=BB4_3233 Depth=4
	s_or_b32 exec_lo, exec_lo, s74
	s_and_saveexec_b32 s74, s17
	s_cbranch_execz .LBB4_3677
.LBB4_3676:                             ;   in Loop: Header=BB4_3233 Depth=4
	v_and_b32_sdwa v1, v10, v114 dst_sel:DWORD dst_unused:UNUSED_PAD src0_sel:WORD_1 src1_sel:DWORD
	v_bfe_u32 v51, v10, 18, 5
	v_lshlrev_b32_sdwa v96, v103, v10 dst_sel:DWORD dst_unused:UNUSED_PAD src0_sel:DWORD src1_sel:WORD_1
	v_ffbh_u32_e32 v37, v1
	v_cmp_eq_u32_e32 vcc_lo, 0, v51
	v_min_u32_e32 v37, 32, v37
	v_subrev_nc_u32_e32 v50, 29, v37
	v_sub_nc_u32_e32 v37, 30, v37
	v_lshlrev_b32_sdwa v50, v50, v10 dst_sel:DWORD dst_unused:UNUSED_PAD src0_sel:DWORD src1_sel:WORD_1
	v_cndmask_b32_e32 v37, v51, v37, vcc_lo
	v_and_b32_e32 v50, 3, v50
	v_lshl_add_u32 v37, v37, 23, 0x37800000
	v_cndmask_b32_e32 v1, v1, v50, vcc_lo
	v_and_b32_e32 v50, 0x80000000, v96
	v_lshlrev_b32_e32 v1, 21, v1
	v_or3_b32 v1, v50, v37, v1
.LBB4_3677:                             ;   in Loop: Header=BB4_3233 Depth=4
	s_or_b32 exec_lo, exec_lo, s74
	v_add_f32_e32 v36, v36, v1
	v_and_b32_e32 v1, 0x7f800000, v36
	v_cmp_ne_u32_e32 vcc_lo, 0x7f800000, v1
	v_mov_b32_e32 v1, 0x80
	s_and_saveexec_b32 s74, vcc_lo
	s_cbranch_execz .LBB4_3685
; %bb.3678:                             ;   in Loop: Header=BB4_3233 Depth=4
	v_mov_b32_e32 v1, 0
	s_mov_b32 s75, exec_lo
	v_cmpx_ne_u32_e32 0, v36
	s_cbranch_execz .LBB4_3684
; %bb.3679:                             ;   in Loop: Header=BB4_3233 Depth=4
	v_bfe_u32 v1, v36, 23, 8
	v_and_b32_e32 v37, 0x7fffff, v36
	v_sub_nc_u32_e32 v50, 0x70, v1
	v_cmp_gt_u32_e32 vcc_lo, 0x71, v1
	v_or_b32_e32 v51, 0x800000, v37
	v_cndmask_b32_e32 v50, 0, v50, vcc_lo
	v_cmp_eq_u32_e32 vcc_lo, 0, v1
	v_add_nc_u32_e32 v1, 0xffffff91, v1
	v_cndmask_b32_e64 v50, v50, 0x6f, vcc_lo
	v_cndmask_b32_e32 v37, v51, v37, vcc_lo
	v_cndmask_b32_e64 v1, v1, 0xffffff92, vcc_lo
	v_lshl_add_u32 v51, 0x200000, v50, -1
	v_lshrrev_b32_e32 v96, v50, v37
	v_lshlrev_b32_e64 v115, v50, 0x100000
	v_add_nc_u32_e32 v50, v50, v1
	v_and_b32_e32 v37, v51, v37
	v_bfe_u32 v97, v96, 21, 1
	v_cmp_eq_u32_e64 s17, v37, v115
	v_add_nc_u32_e32 v51, -1, v97
	v_cndmask_b32_e64 v37, 0, v51, s17
	v_lshrrev_b32_e32 v51, 23, v96
	s_mov_b32 s17, exec_lo
	v_add_nc_u32_e32 v37, v37, v96
	v_xor_b32_e32 v51, 1, v51
	v_and_b32_e32 v1, 0x1fffff, v37
	v_add_nc_u32_e32 v37, v1, v96
                                        ; implicit-def: $vgpr1
	v_cmpx_ne_u32_e64 v50, v51
	s_xor_b32 s17, exec_lo, s17
; %bb.3680:                             ;   in Loop: Header=BB4_3233 Depth=4
	v_cmp_lt_u32_e32 vcc_lo, 0xffffff, v37
	v_sub_nc_u32_e32 v1, v50, v51
	v_cndmask_b32_e64 v50, 0, 1, vcc_lo
	v_add_co_ci_u32_e64 v1, null, 0, v1, vcc_lo
	v_lshrrev_b32_e32 v37, v50, v37
; %bb.3681:                             ;   in Loop: Header=BB4_3233 Depth=4
	s_andn2_saveexec_b32 s17, s17
; %bb.3682:                             ;   in Loop: Header=BB4_3233 Depth=4
	v_bfe_u32 v1, v37, 23, 1
; %bb.3683:                             ;   in Loop: Header=BB4_3233 Depth=4
	s_or_b32 exec_lo, exec_lo, s17
	v_lshrrev_b32_e32 v37, 21, v37
	v_min_i32_e32 v50, 31, v1
	v_cmp_gt_i32_e32 vcc_lo, 32, v1
	v_and_b32_sdwa v36, v36, v101 dst_sel:DWORD dst_unused:UNUSED_PAD src0_sel:BYTE_3 src1_sel:DWORD
	v_lshlrev_b32_e32 v50, 2, v50
	v_cndmask_b32_e32 v37, 3, v37, vcc_lo
	v_and_b32_e32 v50, 0xfc, v50
	v_and_b32_e32 v51, 3, v37
	v_or_b32_e32 v1, v1, v37
	v_or3_b32 v36, v50, v36, v51
	v_cmp_ne_u32_e32 vcc_lo, 0, v1
	v_cndmask_b32_e32 v1, 0, v36, vcc_lo
.LBB4_3684:                             ;   in Loop: Header=BB4_3233 Depth=4
	s_or_b32 exec_lo, exec_lo, s75
.LBB4_3685:                             ;   in Loop: Header=BB4_3233 Depth=4
	s_or_b32 exec_lo, exec_lo, s74
	v_cmp_gt_i16_sdwa s74, v4, v100 src0_sel:BYTE_3 src1_sel:DWORD
	s_mov_b32 s17, 0
	s_and_saveexec_b32 s75, s74
	s_xor_b32 s74, exec_lo, s75
	s_cbranch_execz .LBB4_3859
; %bb.3686:                             ;   in Loop: Header=BB4_3233 Depth=4
	v_cmp_eq_u16_sdwa s76, v4, v101 src0_sel:BYTE_3 src1_sel:DWORD
	s_mov_b32 s17, -1
	s_and_saveexec_b32 s75, s76
; %bb.3687:                             ;   in Loop: Header=BB4_3233 Depth=4
	s_xor_b32 s17, exec_lo, -1
; %bb.3688:                             ;   in Loop: Header=BB4_3233 Depth=4
	s_or_b32 exec_lo, exec_lo, s75
	s_and_b32 s17, s17, exec_lo
	s_or_saveexec_b32 s74, s74
	v_mov_b32_e32 v36, 0x7f800001
	s_xor_b32 exec_lo, exec_lo, s74
	s_cbranch_execnz .LBB4_3860
.LBB4_3689:                             ;   in Loop: Header=BB4_3233 Depth=4
	s_or_b32 exec_lo, exec_lo, s74
	s_and_saveexec_b32 s74, s17
	s_cbranch_execz .LBB4_3691
.LBB4_3690:                             ;   in Loop: Header=BB4_3233 Depth=4
	v_bfe_u32 v36, v4, 24, 2
	v_bfe_u32 v51, v4, 26, 5
	v_ffbh_u32_e32 v37, v36
	v_cmp_eq_u32_e32 vcc_lo, 0, v51
	v_min_u32_e32 v37, 32, v37
	v_subrev_nc_u32_e32 v50, 29, v37
	v_sub_nc_u32_e32 v37, 30, v37
	v_lshlrev_b32_sdwa v50, v50, v4 dst_sel:DWORD dst_unused:UNUSED_PAD src0_sel:DWORD src1_sel:BYTE_3
	v_cndmask_b32_e32 v37, v51, v37, vcc_lo
	v_and_b32_e32 v4, 0x80000000, v4
	v_and_b32_e32 v50, 3, v50
	v_lshl_add_u32 v37, v37, 23, 0x37800000
	v_cndmask_b32_e32 v36, v36, v50, vcc_lo
	v_lshlrev_b32_e32 v36, 21, v36
	v_or3_b32 v36, v4, v37, v36
.LBB4_3691:                             ;   in Loop: Header=BB4_3233 Depth=4
	s_or_b32 exec_lo, exec_lo, s74
	v_cmp_gt_i16_sdwa s74, v10, v100 src0_sel:BYTE_3 src1_sel:DWORD
	s_mov_b32 s17, 0
	s_and_saveexec_b32 s75, s74
	s_xor_b32 s74, exec_lo, s75
	s_cbranch_execz .LBB4_3861
; %bb.3692:                             ;   in Loop: Header=BB4_3233 Depth=4
	v_cmp_eq_u16_sdwa s76, v10, v101 src0_sel:BYTE_3 src1_sel:DWORD
	s_mov_b32 s17, -1
	s_and_saveexec_b32 s75, s76
; %bb.3693:                             ;   in Loop: Header=BB4_3233 Depth=4
	s_xor_b32 s17, exec_lo, -1
; %bb.3694:                             ;   in Loop: Header=BB4_3233 Depth=4
	s_or_b32 exec_lo, exec_lo, s75
	s_and_b32 s17, s17, exec_lo
	s_or_saveexec_b32 s74, s74
	v_mov_b32_e32 v4, 0x7f800001
	s_xor_b32 exec_lo, exec_lo, s74
	s_cbranch_execnz .LBB4_3862
.LBB4_3695:                             ;   in Loop: Header=BB4_3233 Depth=4
	s_or_b32 exec_lo, exec_lo, s74
	s_and_saveexec_b32 s74, s17
	s_cbranch_execz .LBB4_3697
.LBB4_3696:                             ;   in Loop: Header=BB4_3233 Depth=4
	v_and_b32_sdwa v4, v10, v114 dst_sel:DWORD dst_unused:UNUSED_PAD src0_sel:BYTE_3 src1_sel:DWORD
	v_bfe_u32 v51, v10, 26, 5
	v_ffbh_u32_e32 v37, v4
	v_cmp_eq_u32_e32 vcc_lo, 0, v51
	v_min_u32_e32 v37, 32, v37
	v_subrev_nc_u32_e32 v50, 29, v37
	v_sub_nc_u32_e32 v37, 30, v37
	v_lshlrev_b32_sdwa v50, v50, v10 dst_sel:DWORD dst_unused:UNUSED_PAD src0_sel:DWORD src1_sel:BYTE_3
	v_cndmask_b32_e32 v37, v51, v37, vcc_lo
	v_and_b32_e32 v10, 0x80000000, v10
	v_and_b32_e32 v50, 3, v50
	v_lshl_add_u32 v37, v37, 23, 0x37800000
	v_cndmask_b32_e32 v4, v4, v50, vcc_lo
	v_lshlrev_b32_e32 v4, 21, v4
	v_or3_b32 v4, v10, v37, v4
.LBB4_3697:                             ;   in Loop: Header=BB4_3233 Depth=4
	s_or_b32 exec_lo, exec_lo, s74
	v_add_f32_e32 v10, v36, v4
	v_and_b32_e32 v4, 0x7f800000, v10
	v_cmp_ne_u32_e32 vcc_lo, 0x7f800000, v4
	v_mov_b32_e32 v4, 0x8000
	s_and_saveexec_b32 s74, vcc_lo
	s_cbranch_execz .LBB4_3705
; %bb.3698:                             ;   in Loop: Header=BB4_3233 Depth=4
	v_mov_b32_e32 v4, 0
	s_mov_b32 s75, exec_lo
	v_cmpx_ne_u32_e32 0, v10
	s_cbranch_execz .LBB4_3704
; %bb.3699:                             ;   in Loop: Header=BB4_3233 Depth=4
	v_bfe_u32 v4, v10, 23, 8
	v_and_b32_e32 v36, 0x7fffff, v10
	v_sub_nc_u32_e32 v37, 0x70, v4
	v_cmp_gt_u32_e32 vcc_lo, 0x71, v4
	v_or_b32_e32 v50, 0x800000, v36
	v_cndmask_b32_e32 v37, 0, v37, vcc_lo
	v_cmp_eq_u32_e32 vcc_lo, 0, v4
	v_add_nc_u32_e32 v4, 0xffffff91, v4
	v_cndmask_b32_e64 v37, v37, 0x6f, vcc_lo
	v_cndmask_b32_e32 v36, v50, v36, vcc_lo
	v_cndmask_b32_e64 v4, v4, 0xffffff92, vcc_lo
	v_lshl_add_u32 v50, 0x200000, v37, -1
	v_lshrrev_b32_e32 v51, v37, v36
	v_lshlrev_b32_e64 v97, v37, 0x100000
	v_add_nc_u32_e32 v37, v37, v4
	v_and_b32_e32 v36, v50, v36
	v_bfe_u32 v96, v51, 21, 1
	v_cmp_eq_u32_e64 s17, v36, v97
	v_add_nc_u32_e32 v50, -1, v96
	v_cndmask_b32_e64 v36, 0, v50, s17
	v_lshrrev_b32_e32 v50, 23, v51
	s_mov_b32 s17, exec_lo
	v_add_nc_u32_e32 v36, v36, v51
	v_xor_b32_e32 v50, 1, v50
	v_and_b32_e32 v4, 0x1fffff, v36
	v_add_nc_u32_e32 v36, v4, v51
                                        ; implicit-def: $vgpr4
	v_cmpx_ne_u32_e64 v37, v50
	s_xor_b32 s17, exec_lo, s17
; %bb.3700:                             ;   in Loop: Header=BB4_3233 Depth=4
	v_cmp_lt_u32_e32 vcc_lo, 0xffffff, v36
	v_sub_nc_u32_e32 v4, v37, v50
	v_cndmask_b32_e64 v37, 0, 1, vcc_lo
	v_add_co_ci_u32_e64 v4, null, 0, v4, vcc_lo
	v_lshrrev_b32_e32 v36, v37, v36
; %bb.3701:                             ;   in Loop: Header=BB4_3233 Depth=4
	s_andn2_saveexec_b32 s17, s17
; %bb.3702:                             ;   in Loop: Header=BB4_3233 Depth=4
	v_bfe_u32 v4, v36, 23, 1
; %bb.3703:                             ;   in Loop: Header=BB4_3233 Depth=4
	s_or_b32 exec_lo, exec_lo, s17
	v_lshrrev_b32_e32 v36, 21, v36
	v_min_i32_e32 v37, 31, v4
	v_cmp_gt_i32_e32 vcc_lo, 32, v4
	v_and_b32_sdwa v10, v10, v101 dst_sel:DWORD dst_unused:UNUSED_PAD src0_sel:BYTE_3 src1_sel:DWORD
	v_lshlrev_b32_e32 v37, 2, v37
	v_cndmask_b32_e32 v36, 3, v36, vcc_lo
	v_and_b32_e32 v37, 0xfc, v37
	v_and_b32_e32 v50, 3, v36
	v_or_b32_e32 v4, v4, v36
	v_or3_b32 v10, v10, v37, v50
	v_cmp_ne_u32_e32 vcc_lo, 0, v4
	v_lshlrev_b32_e32 v10, 8, v10
	v_cndmask_b32_e32 v4, 0, v10, vcc_lo
.LBB4_3704:                             ;   in Loop: Header=BB4_3233 Depth=4
	s_or_b32 exec_lo, exec_lo, s75
.LBB4_3705:                             ;   in Loop: Header=BB4_3233 Depth=4
	s_or_b32 exec_lo, exec_lo, s74
	v_or_b32_e32 v10, v5, v18
	s_mov_b32 s17, 0
	v_cmp_gt_i16_sdwa s74, v10, v100 src0_sel:BYTE_0 src1_sel:DWORD
	s_and_saveexec_b32 s75, s74
	s_xor_b32 s74, exec_lo, s75
	s_cbranch_execz .LBB4_3863
; %bb.3706:                             ;   in Loop: Header=BB4_3233 Depth=4
	v_cmp_eq_u16_sdwa s76, v10, v101 src0_sel:BYTE_0 src1_sel:DWORD
	s_mov_b32 s17, -1
	s_and_saveexec_b32 s75, s76
; %bb.3707:                             ;   in Loop: Header=BB4_3233 Depth=4
	s_xor_b32 s17, exec_lo, -1
; %bb.3708:                             ;   in Loop: Header=BB4_3233 Depth=4
	s_or_b32 exec_lo, exec_lo, s75
	s_and_b32 s17, s17, exec_lo
	s_or_saveexec_b32 s74, s74
	v_mov_b32_e32 v5, 0x7f800001
	s_xor_b32 exec_lo, exec_lo, s74
	s_cbranch_execnz .LBB4_3864
.LBB4_3709:                             ;   in Loop: Header=BB4_3233 Depth=4
	s_or_b32 exec_lo, exec_lo, s74
	s_and_saveexec_b32 s74, s17
	s_cbranch_execz .LBB4_3711
.LBB4_3710:                             ;   in Loop: Header=BB4_3233 Depth=4
	v_and_b32_e32 v5, 3, v10
	v_bfe_u32 v37, v10, 2, 5
	v_lshlrev_b32_e32 v50, 24, v10
	v_ffbh_u32_e32 v18, v5
	v_cmp_eq_u32_e32 vcc_lo, 0, v37
	v_min_u32_e32 v18, 32, v18
	v_subrev_nc_u32_e32 v36, 29, v18
	v_sub_nc_u32_e32 v18, 30, v18
	v_lshlrev_b32_e32 v36, v36, v10
	v_cndmask_b32_e32 v18, v37, v18, vcc_lo
	v_and_b32_e32 v36, 3, v36
	v_lshl_add_u32 v18, v18, 23, 0x37800000
	v_cndmask_b32_e32 v5, v5, v36, vcc_lo
	v_and_b32_e32 v36, 0x80000000, v50
	v_lshlrev_b32_e32 v5, 21, v5
	v_or3_b32 v5, v36, v18, v5
.LBB4_3711:                             ;   in Loop: Header=BB4_3233 Depth=4
	s_or_b32 exec_lo, exec_lo, s74
	v_cmp_gt_i16_sdwa s74, v11, v100 src0_sel:BYTE_0 src1_sel:DWORD
	s_mov_b32 s17, 0
	s_and_saveexec_b32 s75, s74
	s_xor_b32 s74, exec_lo, s75
	s_cbranch_execz .LBB4_3865
; %bb.3712:                             ;   in Loop: Header=BB4_3233 Depth=4
	v_cmp_eq_u16_sdwa s76, v11, v101 src0_sel:BYTE_0 src1_sel:DWORD
	s_mov_b32 s17, -1
	s_and_saveexec_b32 s75, s76
; %bb.3713:                             ;   in Loop: Header=BB4_3233 Depth=4
	s_xor_b32 s17, exec_lo, -1
; %bb.3714:                             ;   in Loop: Header=BB4_3233 Depth=4
	s_or_b32 exec_lo, exec_lo, s75
	s_and_b32 s17, s17, exec_lo
	s_or_saveexec_b32 s74, s74
	v_mov_b32_e32 v18, 0x7f800001
	s_xor_b32 exec_lo, exec_lo, s74
	s_cbranch_execnz .LBB4_3866
.LBB4_3715:                             ;   in Loop: Header=BB4_3233 Depth=4
	s_or_b32 exec_lo, exec_lo, s74
	s_and_saveexec_b32 s74, s17
	s_cbranch_execz .LBB4_3717
.LBB4_3716:                             ;   in Loop: Header=BB4_3233 Depth=4
	v_and_b32_e32 v18, 3, v11
	v_bfe_u32 v50, v11, 2, 5
	v_lshlrev_b32_e32 v51, 24, v11
	v_ffbh_u32_e32 v36, v18
	v_cmp_eq_u32_e32 vcc_lo, 0, v50
	v_min_u32_e32 v36, 32, v36
	v_subrev_nc_u32_e32 v37, 29, v36
	v_sub_nc_u32_e32 v36, 30, v36
	v_lshlrev_b32_e32 v37, v37, v11
	v_cndmask_b32_e32 v36, v50, v36, vcc_lo
	v_and_b32_e32 v37, 3, v37
	v_lshl_add_u32 v36, v36, 23, 0x37800000
	v_cndmask_b32_e32 v18, v18, v37, vcc_lo
	v_and_b32_e32 v37, 0x80000000, v51
	v_lshlrev_b32_e32 v18, 21, v18
	v_or3_b32 v18, v37, v36, v18
.LBB4_3717:                             ;   in Loop: Header=BB4_3233 Depth=4
	s_or_b32 exec_lo, exec_lo, s74
	v_add_f32_e32 v18, v5, v18
	v_and_b32_e32 v5, 0x7f800000, v18
	v_cmp_ne_u32_e32 vcc_lo, 0x7f800000, v5
	v_mov_b32_e32 v5, 0x80
	s_and_saveexec_b32 s74, vcc_lo
	s_cbranch_execz .LBB4_3725
; %bb.3718:                             ;   in Loop: Header=BB4_3233 Depth=4
	v_mov_b32_e32 v5, 0
	s_mov_b32 s75, exec_lo
	v_cmpx_ne_u32_e32 0, v18
	s_cbranch_execz .LBB4_3724
; %bb.3719:                             ;   in Loop: Header=BB4_3233 Depth=4
	v_bfe_u32 v5, v18, 23, 8
	v_and_b32_e32 v36, 0x7fffff, v18
	v_sub_nc_u32_e32 v37, 0x70, v5
	v_cmp_gt_u32_e32 vcc_lo, 0x71, v5
	v_or_b32_e32 v50, 0x800000, v36
	v_cndmask_b32_e32 v37, 0, v37, vcc_lo
	v_cmp_eq_u32_e32 vcc_lo, 0, v5
	v_add_nc_u32_e32 v5, 0xffffff91, v5
	v_cndmask_b32_e64 v37, v37, 0x6f, vcc_lo
	v_cndmask_b32_e32 v36, v50, v36, vcc_lo
	v_cndmask_b32_e64 v5, v5, 0xffffff92, vcc_lo
	v_lshl_add_u32 v50, 0x200000, v37, -1
	v_lshrrev_b32_e32 v51, v37, v36
	v_lshlrev_b32_e64 v97, v37, 0x100000
	v_add_nc_u32_e32 v37, v37, v5
	v_and_b32_e32 v36, v50, v36
	v_bfe_u32 v96, v51, 21, 1
	v_cmp_eq_u32_e64 s17, v36, v97
	v_add_nc_u32_e32 v50, -1, v96
	v_cndmask_b32_e64 v36, 0, v50, s17
	v_lshrrev_b32_e32 v50, 23, v51
	s_mov_b32 s17, exec_lo
	v_add_nc_u32_e32 v36, v36, v51
	v_xor_b32_e32 v50, 1, v50
	v_and_b32_e32 v5, 0x1fffff, v36
	v_add_nc_u32_e32 v36, v5, v51
                                        ; implicit-def: $vgpr5
	v_cmpx_ne_u32_e64 v37, v50
	s_xor_b32 s17, exec_lo, s17
; %bb.3720:                             ;   in Loop: Header=BB4_3233 Depth=4
	v_cmp_lt_u32_e32 vcc_lo, 0xffffff, v36
	v_sub_nc_u32_e32 v5, v37, v50
	v_cndmask_b32_e64 v37, 0, 1, vcc_lo
	v_add_co_ci_u32_e64 v5, null, 0, v5, vcc_lo
	v_lshrrev_b32_e32 v36, v37, v36
; %bb.3721:                             ;   in Loop: Header=BB4_3233 Depth=4
	s_andn2_saveexec_b32 s17, s17
; %bb.3722:                             ;   in Loop: Header=BB4_3233 Depth=4
	v_bfe_u32 v5, v36, 23, 1
; %bb.3723:                             ;   in Loop: Header=BB4_3233 Depth=4
	s_or_b32 exec_lo, exec_lo, s17
	v_lshrrev_b32_e32 v36, 21, v36
	v_min_i32_e32 v37, 31, v5
	v_cmp_gt_i32_e32 vcc_lo, 32, v5
	v_and_b32_sdwa v18, v18, v101 dst_sel:DWORD dst_unused:UNUSED_PAD src0_sel:BYTE_3 src1_sel:DWORD
	v_lshlrev_b32_e32 v37, 2, v37
	v_cndmask_b32_e32 v36, 3, v36, vcc_lo
	v_and_b32_e32 v37, 0xfc, v37
	v_and_b32_e32 v50, 3, v36
	v_or_b32_e32 v5, v5, v36
	v_or3_b32 v18, v37, v18, v50
	v_cmp_ne_u32_e32 vcc_lo, 0, v5
	v_cndmask_b32_e32 v5, 0, v18, vcc_lo
.LBB4_3724:                             ;   in Loop: Header=BB4_3233 Depth=4
	s_or_b32 exec_lo, exec_lo, s75
.LBB4_3725:                             ;   in Loop: Header=BB4_3233 Depth=4
	s_or_b32 exec_lo, exec_lo, s74
	v_cmp_gt_i16_sdwa s74, v10, v100 src0_sel:BYTE_1 src1_sel:DWORD
	s_mov_b32 s17, 0
	s_and_saveexec_b32 s75, s74
	s_xor_b32 s74, exec_lo, s75
	s_cbranch_execz .LBB4_3867
; %bb.3726:                             ;   in Loop: Header=BB4_3233 Depth=4
	v_cmp_eq_u16_sdwa s76, v10, v101 src0_sel:BYTE_1 src1_sel:DWORD
	s_mov_b32 s17, -1
	s_and_saveexec_b32 s75, s76
; %bb.3727:                             ;   in Loop: Header=BB4_3233 Depth=4
	s_xor_b32 s17, exec_lo, -1
; %bb.3728:                             ;   in Loop: Header=BB4_3233 Depth=4
	s_or_b32 exec_lo, exec_lo, s75
	s_and_b32 s17, s17, exec_lo
	s_or_saveexec_b32 s74, s74
	v_mov_b32_e32 v18, 0x7f800001
	s_xor_b32 exec_lo, exec_lo, s74
	s_cbranch_execnz .LBB4_3868
.LBB4_3729:                             ;   in Loop: Header=BB4_3233 Depth=4
	s_or_b32 exec_lo, exec_lo, s74
	s_and_saveexec_b32 s74, s17
	s_cbranch_execz .LBB4_3731
.LBB4_3730:                             ;   in Loop: Header=BB4_3233 Depth=4
	v_and_b32_sdwa v18, v102, v10 dst_sel:DWORD dst_unused:UNUSED_PAD src0_sel:DWORD src1_sel:BYTE_1
	v_and_b32_e32 v36, 3, v18
	v_bfe_u32 v51, v18, 2, 5
	v_ffbh_u32_e32 v37, v36
	v_cmp_eq_u32_e32 vcc_lo, 0, v51
	v_min_u32_e32 v37, 32, v37
	v_subrev_nc_u32_e32 v50, 29, v37
	v_sub_nc_u32_e32 v37, 30, v37
	v_lshlrev_b32_e32 v18, v50, v18
	v_lshlrev_b32_sdwa v50, v103, v10 dst_sel:DWORD dst_unused:UNUSED_PAD src0_sel:DWORD src1_sel:BYTE_1
	v_cndmask_b32_e32 v37, v51, v37, vcc_lo
	v_and_b32_e32 v18, 3, v18
	v_lshl_add_u32 v37, v37, 23, 0x37800000
	v_cndmask_b32_e32 v18, v36, v18, vcc_lo
	v_and_b32_e32 v36, 0x80000000, v50
	v_lshlrev_b32_e32 v18, 21, v18
	v_or3_b32 v18, v36, v37, v18
.LBB4_3731:                             ;   in Loop: Header=BB4_3233 Depth=4
	s_or_b32 exec_lo, exec_lo, s74
	v_cmp_gt_i16_sdwa s74, v11, v100 src0_sel:BYTE_1 src1_sel:DWORD
	s_mov_b32 s17, 0
	s_and_saveexec_b32 s75, s74
	s_xor_b32 s74, exec_lo, s75
	s_cbranch_execz .LBB4_3869
; %bb.3732:                             ;   in Loop: Header=BB4_3233 Depth=4
	v_cmp_eq_u16_sdwa s76, v11, v101 src0_sel:BYTE_1 src1_sel:DWORD
	s_mov_b32 s17, -1
	s_and_saveexec_b32 s75, s76
; %bb.3733:                             ;   in Loop: Header=BB4_3233 Depth=4
	s_xor_b32 s17, exec_lo, -1
; %bb.3734:                             ;   in Loop: Header=BB4_3233 Depth=4
	s_or_b32 exec_lo, exec_lo, s75
	s_and_b32 s17, s17, exec_lo
	s_or_saveexec_b32 s74, s74
	v_mov_b32_e32 v36, 0x7f800001
	s_xor_b32 exec_lo, exec_lo, s74
	s_cbranch_execnz .LBB4_3870
.LBB4_3735:                             ;   in Loop: Header=BB4_3233 Depth=4
	s_or_b32 exec_lo, exec_lo, s74
	s_and_saveexec_b32 s74, s17
	s_cbranch_execz .LBB4_3737
.LBB4_3736:                             ;   in Loop: Header=BB4_3233 Depth=4
	v_and_b32_sdwa v36, v102, v11 dst_sel:DWORD dst_unused:UNUSED_PAD src0_sel:DWORD src1_sel:BYTE_1
	v_and_b32_e32 v37, 3, v36
	v_bfe_u32 v96, v36, 2, 5
	v_ffbh_u32_e32 v50, v37
	v_cmp_eq_u32_e32 vcc_lo, 0, v96
	v_min_u32_e32 v50, 32, v50
	v_subrev_nc_u32_e32 v51, 29, v50
	v_sub_nc_u32_e32 v50, 30, v50
	v_lshlrev_b32_e32 v36, v51, v36
	v_lshlrev_b32_sdwa v51, v103, v11 dst_sel:DWORD dst_unused:UNUSED_PAD src0_sel:DWORD src1_sel:BYTE_1
	v_cndmask_b32_e32 v50, v96, v50, vcc_lo
	v_and_b32_e32 v36, 3, v36
	v_lshl_add_u32 v50, v50, 23, 0x37800000
	v_cndmask_b32_e32 v36, v37, v36, vcc_lo
	v_and_b32_e32 v37, 0x80000000, v51
	v_lshlrev_b32_e32 v36, 21, v36
	v_or3_b32 v36, v37, v50, v36
.LBB4_3737:                             ;   in Loop: Header=BB4_3233 Depth=4
	s_or_b32 exec_lo, exec_lo, s74
	v_add_f32_e32 v36, v18, v36
	v_and_b32_e32 v18, 0x7f800000, v36
	v_cmp_ne_u32_e32 vcc_lo, 0x7f800000, v18
	v_mov_b32_e32 v18, 0x8000
	s_and_saveexec_b32 s74, vcc_lo
	s_cbranch_execz .LBB4_3745
; %bb.3738:                             ;   in Loop: Header=BB4_3233 Depth=4
	v_mov_b32_e32 v18, 0
	s_mov_b32 s75, exec_lo
	v_cmpx_ne_u32_e32 0, v36
	s_cbranch_execz .LBB4_3744
; %bb.3739:                             ;   in Loop: Header=BB4_3233 Depth=4
	v_bfe_u32 v18, v36, 23, 8
	v_and_b32_e32 v37, 0x7fffff, v36
	v_sub_nc_u32_e32 v50, 0x70, v18
	v_cmp_gt_u32_e32 vcc_lo, 0x71, v18
	v_or_b32_e32 v51, 0x800000, v37
	v_cndmask_b32_e32 v50, 0, v50, vcc_lo
	v_cmp_eq_u32_e32 vcc_lo, 0, v18
	v_add_nc_u32_e32 v18, 0xffffff91, v18
	v_cndmask_b32_e64 v50, v50, 0x6f, vcc_lo
	v_cndmask_b32_e32 v37, v51, v37, vcc_lo
	v_cndmask_b32_e64 v18, v18, 0xffffff92, vcc_lo
	v_lshl_add_u32 v51, 0x200000, v50, -1
	v_lshrrev_b32_e32 v96, v50, v37
	v_lshlrev_b32_e64 v115, v50, 0x100000
	v_add_nc_u32_e32 v50, v50, v18
	v_and_b32_e32 v37, v51, v37
	v_bfe_u32 v97, v96, 21, 1
	v_cmp_eq_u32_e64 s17, v37, v115
	v_add_nc_u32_e32 v51, -1, v97
	v_cndmask_b32_e64 v37, 0, v51, s17
	v_lshrrev_b32_e32 v51, 23, v96
	s_mov_b32 s17, exec_lo
	v_add_nc_u32_e32 v37, v37, v96
	v_xor_b32_e32 v51, 1, v51
	v_and_b32_e32 v18, 0x1fffff, v37
	v_add_nc_u32_e32 v37, v18, v96
                                        ; implicit-def: $vgpr18
	v_cmpx_ne_u32_e64 v50, v51
	s_xor_b32 s17, exec_lo, s17
; %bb.3740:                             ;   in Loop: Header=BB4_3233 Depth=4
	v_cmp_lt_u32_e32 vcc_lo, 0xffffff, v37
	v_sub_nc_u32_e32 v18, v50, v51
	v_cndmask_b32_e64 v50, 0, 1, vcc_lo
	v_add_co_ci_u32_e64 v18, null, 0, v18, vcc_lo
	v_lshrrev_b32_e32 v37, v50, v37
; %bb.3741:                             ;   in Loop: Header=BB4_3233 Depth=4
	s_andn2_saveexec_b32 s17, s17
; %bb.3742:                             ;   in Loop: Header=BB4_3233 Depth=4
	v_bfe_u32 v18, v37, 23, 1
; %bb.3743:                             ;   in Loop: Header=BB4_3233 Depth=4
	s_or_b32 exec_lo, exec_lo, s17
	v_lshrrev_b32_e32 v37, 21, v37
	v_min_i32_e32 v50, 31, v18
	v_cmp_gt_i32_e32 vcc_lo, 32, v18
	v_and_b32_sdwa v36, v36, v101 dst_sel:DWORD dst_unused:UNUSED_PAD src0_sel:BYTE_3 src1_sel:DWORD
	v_lshlrev_b32_e32 v50, 2, v50
	v_cndmask_b32_e32 v37, 3, v37, vcc_lo
	v_and_b32_e32 v50, 0xfc, v50
	v_and_b32_e32 v51, 3, v37
	v_or_b32_e32 v18, v18, v37
	v_or3_b32 v36, v36, v50, v51
	v_cmp_ne_u32_e32 vcc_lo, 0, v18
	v_lshlrev_b32_e32 v36, 8, v36
	v_cndmask_b32_e32 v18, 0, v36, vcc_lo
.LBB4_3744:                             ;   in Loop: Header=BB4_3233 Depth=4
	s_or_b32 exec_lo, exec_lo, s75
.LBB4_3745:                             ;   in Loop: Header=BB4_3233 Depth=4
	s_or_b32 exec_lo, exec_lo, s74
	v_or_b32_e32 v17, v20, v17
	s_mov_b32 s17, 0
	v_cmp_gt_i16_sdwa s74, v17, v100 src0_sel:BYTE_0 src1_sel:DWORD
	s_and_saveexec_b32 s75, s74
	s_xor_b32 s74, exec_lo, s75
	s_cbranch_execz .LBB4_3871
; %bb.3746:                             ;   in Loop: Header=BB4_3233 Depth=4
	v_cmp_eq_u16_sdwa s76, v17, v101 src0_sel:BYTE_0 src1_sel:DWORD
	s_mov_b32 s17, -1
	s_and_saveexec_b32 s75, s76
; %bb.3747:                             ;   in Loop: Header=BB4_3233 Depth=4
	s_xor_b32 s17, exec_lo, -1
; %bb.3748:                             ;   in Loop: Header=BB4_3233 Depth=4
	s_or_b32 exec_lo, exec_lo, s75
	s_and_b32 s17, s17, exec_lo
	s_or_saveexec_b32 s74, s74
	v_mov_b32_e32 v20, 0x7f800001
	s_xor_b32 exec_lo, exec_lo, s74
	s_cbranch_execnz .LBB4_3872
.LBB4_3749:                             ;   in Loop: Header=BB4_3233 Depth=4
	s_or_b32 exec_lo, exec_lo, s74
	v_lshl_or_b32 v17, v17, 16, v10
	s_and_saveexec_b32 s74, s17
	s_cbranch_execz .LBB4_3751
.LBB4_3750:                             ;   in Loop: Header=BB4_3233 Depth=4
	v_bfe_u32 v10, v17, 16, 2
	v_bfe_u32 v37, v17, 18, 5
	v_lshlrev_b32_e32 v50, 8, v17
	v_ffbh_u32_e32 v20, v10
	v_cmp_eq_u32_e32 vcc_lo, 0, v37
	v_min_u32_e32 v20, 32, v20
	v_subrev_nc_u32_e32 v36, 29, v20
	v_sub_nc_u32_e32 v20, 30, v20
	v_lshlrev_b32_sdwa v36, v36, v17 dst_sel:DWORD dst_unused:UNUSED_PAD src0_sel:DWORD src1_sel:WORD_1
	v_cndmask_b32_e32 v20, v37, v20, vcc_lo
	v_and_b32_e32 v36, 3, v36
	v_lshl_add_u32 v20, v20, 23, 0x37800000
	v_cndmask_b32_e32 v10, v10, v36, vcc_lo
	v_and_b32_e32 v36, 0x80000000, v50
	v_lshlrev_b32_e32 v10, 21, v10
	v_or3_b32 v20, v36, v20, v10
.LBB4_3751:                             ;   in Loop: Header=BB4_3233 Depth=4
	s_or_b32 exec_lo, exec_lo, s74
	v_and_b32_sdwa v36, v11, v112 dst_sel:DWORD dst_unused:UNUSED_PAD src0_sel:WORD_1 src1_sel:DWORD
	s_mov_b32 s17, 0
	s_mov_b32 s74, exec_lo
	v_cmpx_lt_i16_e32 0x7f, v36
	s_xor_b32 s74, exec_lo, s74
	s_cbranch_execz .LBB4_3873
; %bb.3752:                             ;   in Loop: Header=BB4_3233 Depth=4
	s_mov_b32 s17, -1
	s_mov_b32 s75, exec_lo
	v_cmpx_eq_u16_e32 0x80, v36
; %bb.3753:                             ;   in Loop: Header=BB4_3233 Depth=4
	s_xor_b32 s17, exec_lo, -1
; %bb.3754:                             ;   in Loop: Header=BB4_3233 Depth=4
	s_or_b32 exec_lo, exec_lo, s75
	s_and_b32 s17, s17, exec_lo
                                        ; implicit-def: $vgpr36
	s_or_saveexec_b32 s74, s74
	v_mov_b32_e32 v10, 0x7f800001
	s_xor_b32 exec_lo, exec_lo, s74
	s_cbranch_execnz .LBB4_3874
.LBB4_3755:                             ;   in Loop: Header=BB4_3233 Depth=4
	s_or_b32 exec_lo, exec_lo, s74
	s_and_saveexec_b32 s74, s17
	s_cbranch_execz .LBB4_3757
.LBB4_3756:                             ;   in Loop: Header=BB4_3233 Depth=4
	v_and_b32_sdwa v10, v11, v114 dst_sel:DWORD dst_unused:UNUSED_PAD src0_sel:WORD_1 src1_sel:DWORD
	v_bfe_u32 v50, v11, 18, 5
	v_lshlrev_b32_sdwa v51, v103, v11 dst_sel:DWORD dst_unused:UNUSED_PAD src0_sel:DWORD src1_sel:WORD_1
	v_ffbh_u32_e32 v36, v10
	v_cmp_eq_u32_e32 vcc_lo, 0, v50
	v_min_u32_e32 v36, 32, v36
	v_subrev_nc_u32_e32 v37, 29, v36
	v_sub_nc_u32_e32 v36, 30, v36
	v_lshlrev_b32_sdwa v37, v37, v11 dst_sel:DWORD dst_unused:UNUSED_PAD src0_sel:DWORD src1_sel:WORD_1
	v_cndmask_b32_e32 v36, v50, v36, vcc_lo
	v_and_b32_e32 v37, 3, v37
	v_lshl_add_u32 v36, v36, 23, 0x37800000
	v_cndmask_b32_e32 v10, v10, v37, vcc_lo
	v_and_b32_e32 v37, 0x80000000, v51
	v_lshlrev_b32_e32 v10, 21, v10
	v_or3_b32 v10, v37, v36, v10
.LBB4_3757:                             ;   in Loop: Header=BB4_3233 Depth=4
	s_or_b32 exec_lo, exec_lo, s74
	v_add_f32_e32 v20, v20, v10
	v_and_b32_e32 v10, 0x7f800000, v20
	v_cmp_ne_u32_e32 vcc_lo, 0x7f800000, v10
	v_mov_b32_e32 v10, 0x80
	s_and_saveexec_b32 s74, vcc_lo
	s_cbranch_execz .LBB4_3765
; %bb.3758:                             ;   in Loop: Header=BB4_3233 Depth=4
	v_mov_b32_e32 v10, 0
	s_mov_b32 s75, exec_lo
	v_cmpx_ne_u32_e32 0, v20
	s_cbranch_execz .LBB4_3764
; %bb.3759:                             ;   in Loop: Header=BB4_3233 Depth=4
	v_bfe_u32 v10, v20, 23, 8
	v_and_b32_e32 v36, 0x7fffff, v20
	v_sub_nc_u32_e32 v37, 0x70, v10
	v_cmp_gt_u32_e32 vcc_lo, 0x71, v10
	v_or_b32_e32 v50, 0x800000, v36
	v_cndmask_b32_e32 v37, 0, v37, vcc_lo
	v_cmp_eq_u32_e32 vcc_lo, 0, v10
	v_add_nc_u32_e32 v10, 0xffffff91, v10
	v_cndmask_b32_e64 v37, v37, 0x6f, vcc_lo
	v_cndmask_b32_e32 v36, v50, v36, vcc_lo
	v_cndmask_b32_e64 v10, v10, 0xffffff92, vcc_lo
	v_lshl_add_u32 v50, 0x200000, v37, -1
	v_lshrrev_b32_e32 v51, v37, v36
	v_lshlrev_b32_e64 v97, v37, 0x100000
	v_add_nc_u32_e32 v37, v37, v10
	v_and_b32_e32 v36, v50, v36
	v_bfe_u32 v96, v51, 21, 1
	v_cmp_eq_u32_e64 s17, v36, v97
	v_add_nc_u32_e32 v50, -1, v96
	v_cndmask_b32_e64 v36, 0, v50, s17
	v_lshrrev_b32_e32 v50, 23, v51
	s_mov_b32 s17, exec_lo
	v_add_nc_u32_e32 v36, v36, v51
	v_xor_b32_e32 v50, 1, v50
	v_and_b32_e32 v10, 0x1fffff, v36
	v_add_nc_u32_e32 v36, v10, v51
                                        ; implicit-def: $vgpr10
	v_cmpx_ne_u32_e64 v37, v50
	s_xor_b32 s17, exec_lo, s17
; %bb.3760:                             ;   in Loop: Header=BB4_3233 Depth=4
	v_cmp_lt_u32_e32 vcc_lo, 0xffffff, v36
	v_sub_nc_u32_e32 v10, v37, v50
	v_cndmask_b32_e64 v37, 0, 1, vcc_lo
	v_add_co_ci_u32_e64 v10, null, 0, v10, vcc_lo
	v_lshrrev_b32_e32 v36, v37, v36
; %bb.3761:                             ;   in Loop: Header=BB4_3233 Depth=4
	s_andn2_saveexec_b32 s17, s17
; %bb.3762:                             ;   in Loop: Header=BB4_3233 Depth=4
	v_bfe_u32 v10, v36, 23, 1
; %bb.3763:                             ;   in Loop: Header=BB4_3233 Depth=4
	s_or_b32 exec_lo, exec_lo, s17
	v_lshrrev_b32_e32 v36, 21, v36
	v_min_i32_e32 v37, 31, v10
	v_cmp_gt_i32_e32 vcc_lo, 32, v10
	v_and_b32_sdwa v20, v20, v101 dst_sel:DWORD dst_unused:UNUSED_PAD src0_sel:BYTE_3 src1_sel:DWORD
	v_lshlrev_b32_e32 v37, 2, v37
	v_cndmask_b32_e32 v36, 3, v36, vcc_lo
	v_and_b32_e32 v37, 0xfc, v37
	v_and_b32_e32 v50, 3, v36
	v_or_b32_e32 v10, v10, v36
	v_or3_b32 v20, v37, v20, v50
	v_cmp_ne_u32_e32 vcc_lo, 0, v10
	v_cndmask_b32_e32 v10, 0, v20, vcc_lo
.LBB4_3764:                             ;   in Loop: Header=BB4_3233 Depth=4
	s_or_b32 exec_lo, exec_lo, s75
.LBB4_3765:                             ;   in Loop: Header=BB4_3233 Depth=4
	s_or_b32 exec_lo, exec_lo, s74
	v_cmp_gt_i16_sdwa s74, v17, v100 src0_sel:BYTE_3 src1_sel:DWORD
	s_mov_b32 s17, 0
	s_and_saveexec_b32 s75, s74
	s_xor_b32 s74, exec_lo, s75
	s_cbranch_execz .LBB4_3875
; %bb.3766:                             ;   in Loop: Header=BB4_3233 Depth=4
	v_cmp_eq_u16_sdwa s76, v17, v101 src0_sel:BYTE_3 src1_sel:DWORD
	s_mov_b32 s17, -1
	s_and_saveexec_b32 s75, s76
; %bb.3767:                             ;   in Loop: Header=BB4_3233 Depth=4
	s_xor_b32 s17, exec_lo, -1
; %bb.3768:                             ;   in Loop: Header=BB4_3233 Depth=4
	s_or_b32 exec_lo, exec_lo, s75
	s_and_b32 s17, s17, exec_lo
	s_or_saveexec_b32 s74, s74
	v_mov_b32_e32 v20, 0x7f800001
	s_xor_b32 exec_lo, exec_lo, s74
	s_cbranch_execnz .LBB4_3876
.LBB4_3769:                             ;   in Loop: Header=BB4_3233 Depth=4
	s_or_b32 exec_lo, exec_lo, s74
	s_and_saveexec_b32 s74, s17
	s_cbranch_execz .LBB4_3771
.LBB4_3770:                             ;   in Loop: Header=BB4_3233 Depth=4
	v_bfe_u32 v20, v17, 24, 2
	v_bfe_u32 v50, v17, 26, 5
	v_ffbh_u32_e32 v36, v20
	v_cmp_eq_u32_e32 vcc_lo, 0, v50
	v_min_u32_e32 v36, 32, v36
	v_subrev_nc_u32_e32 v37, 29, v36
	v_sub_nc_u32_e32 v36, 30, v36
	v_lshlrev_b32_sdwa v37, v37, v17 dst_sel:DWORD dst_unused:UNUSED_PAD src0_sel:DWORD src1_sel:BYTE_3
	v_cndmask_b32_e32 v36, v50, v36, vcc_lo
	v_and_b32_e32 v17, 0x80000000, v17
	v_and_b32_e32 v37, 3, v37
	v_lshl_add_u32 v36, v36, 23, 0x37800000
	v_cndmask_b32_e32 v20, v20, v37, vcc_lo
	v_lshlrev_b32_e32 v20, 21, v20
	v_or3_b32 v20, v17, v36, v20
.LBB4_3771:                             ;   in Loop: Header=BB4_3233 Depth=4
	s_or_b32 exec_lo, exec_lo, s74
	v_cmp_gt_i16_sdwa s74, v11, v100 src0_sel:BYTE_3 src1_sel:DWORD
	s_mov_b32 s17, 0
	s_and_saveexec_b32 s75, s74
	s_xor_b32 s74, exec_lo, s75
	s_cbranch_execz .LBB4_3877
; %bb.3772:                             ;   in Loop: Header=BB4_3233 Depth=4
	v_cmp_eq_u16_sdwa s76, v11, v101 src0_sel:BYTE_3 src1_sel:DWORD
	s_mov_b32 s17, -1
	s_and_saveexec_b32 s75, s76
; %bb.3773:                             ;   in Loop: Header=BB4_3233 Depth=4
	s_xor_b32 s17, exec_lo, -1
; %bb.3774:                             ;   in Loop: Header=BB4_3233 Depth=4
	s_or_b32 exec_lo, exec_lo, s75
	s_and_b32 s17, s17, exec_lo
	s_or_saveexec_b32 s74, s74
	v_mov_b32_e32 v17, 0x7f800001
	s_xor_b32 exec_lo, exec_lo, s74
	s_cbranch_execnz .LBB4_3878
.LBB4_3775:                             ;   in Loop: Header=BB4_3233 Depth=4
	s_or_b32 exec_lo, exec_lo, s74
	s_and_saveexec_b32 s74, s17
	s_cbranch_execz .LBB4_3777
.LBB4_3776:                             ;   in Loop: Header=BB4_3233 Depth=4
	v_and_b32_sdwa v17, v11, v114 dst_sel:DWORD dst_unused:UNUSED_PAD src0_sel:BYTE_3 src1_sel:DWORD
	v_bfe_u32 v50, v11, 26, 5
	v_ffbh_u32_e32 v36, v17
	v_cmp_eq_u32_e32 vcc_lo, 0, v50
	v_min_u32_e32 v36, 32, v36
	v_subrev_nc_u32_e32 v37, 29, v36
	v_sub_nc_u32_e32 v36, 30, v36
	v_lshlrev_b32_sdwa v37, v37, v11 dst_sel:DWORD dst_unused:UNUSED_PAD src0_sel:DWORD src1_sel:BYTE_3
	v_cndmask_b32_e32 v36, v50, v36, vcc_lo
	v_and_b32_e32 v11, 0x80000000, v11
	v_and_b32_e32 v37, 3, v37
	v_lshl_add_u32 v36, v36, 23, 0x37800000
	v_cndmask_b32_e32 v17, v17, v37, vcc_lo
	v_lshlrev_b32_e32 v17, 21, v17
	v_or3_b32 v17, v11, v36, v17
.LBB4_3777:                             ;   in Loop: Header=BB4_3233 Depth=4
	s_or_b32 exec_lo, exec_lo, s74
	v_add_f32_e32 v11, v20, v17
	v_and_b32_e32 v17, 0x7f800000, v11
	v_cmp_ne_u32_e32 vcc_lo, 0x7f800000, v17
	v_mov_b32_e32 v17, 0x8000
	s_and_saveexec_b32 s74, vcc_lo
	s_cbranch_execz .LBB4_3232
; %bb.3778:                             ;   in Loop: Header=BB4_3233 Depth=4
	v_mov_b32_e32 v17, 0
	s_mov_b32 s75, exec_lo
	v_cmpx_ne_u32_e32 0, v11
	s_cbranch_execz .LBB4_3231
; %bb.3779:                             ;   in Loop: Header=BB4_3233 Depth=4
	v_bfe_u32 v17, v11, 23, 8
	v_and_b32_e32 v20, 0x7fffff, v11
	v_sub_nc_u32_e32 v36, 0x70, v17
	v_cmp_gt_u32_e32 vcc_lo, 0x71, v17
	v_or_b32_e32 v37, 0x800000, v20
	v_cndmask_b32_e32 v36, 0, v36, vcc_lo
	v_cmp_eq_u32_e32 vcc_lo, 0, v17
	v_add_nc_u32_e32 v17, 0xffffff91, v17
	v_cndmask_b32_e64 v36, v36, 0x6f, vcc_lo
	v_cndmask_b32_e32 v20, v37, v20, vcc_lo
	v_cndmask_b32_e64 v17, v17, 0xffffff92, vcc_lo
	v_lshl_add_u32 v37, 0x200000, v36, -1
	v_lshrrev_b32_e32 v50, v36, v20
	v_lshlrev_b32_e64 v96, v36, 0x100000
	v_add_nc_u32_e32 v36, v36, v17
	v_and_b32_e32 v20, v37, v20
	v_bfe_u32 v51, v50, 21, 1
	v_cmp_eq_u32_e64 s17, v20, v96
	v_add_nc_u32_e32 v37, -1, v51
	v_cndmask_b32_e64 v20, 0, v37, s17
	v_lshrrev_b32_e32 v37, 23, v50
	s_mov_b32 s17, exec_lo
	v_add_nc_u32_e32 v20, v20, v50
	v_xor_b32_e32 v37, 1, v37
	v_and_b32_e32 v17, 0x1fffff, v20
	v_add_nc_u32_e32 v20, v17, v50
                                        ; implicit-def: $vgpr17
	v_cmpx_ne_u32_e64 v36, v37
	s_xor_b32 s17, exec_lo, s17
; %bb.3780:                             ;   in Loop: Header=BB4_3233 Depth=4
	v_cmp_lt_u32_e32 vcc_lo, 0xffffff, v20
	v_sub_nc_u32_e32 v17, v36, v37
	v_cndmask_b32_e64 v36, 0, 1, vcc_lo
	v_add_co_ci_u32_e64 v17, null, 0, v17, vcc_lo
	v_lshrrev_b32_e32 v20, v36, v20
; %bb.3781:                             ;   in Loop: Header=BB4_3233 Depth=4
	s_andn2_saveexec_b32 s17, s17
	s_cbranch_execz .LBB4_3230
; %bb.3782:                             ;   in Loop: Header=BB4_3233 Depth=4
	v_bfe_u32 v17, v20, 23, 1
	s_branch .LBB4_3230
.LBB4_3783:                             ;   in Loop: Header=BB4_3233 Depth=4
	s_or_saveexec_b32 s75, s75
	v_mov_b32_e32 v1, 0x7f800001
	s_xor_b32 exec_lo, exec_lo, s75
	s_cbranch_execz .LBB4_3245
.LBB4_3784:                             ;   in Loop: Header=BB4_3233 Depth=4
	v_cmp_ne_u16_sdwa s76, v8, v2 src0_sel:BYTE_0 src1_sel:DWORD
	v_mov_b32_e32 v1, 0
	s_andn2_b32 s17, s17, exec_lo
	s_and_b32 s76, s76, exec_lo
	s_or_b32 s17, s17, s76
	s_or_b32 exec_lo, exec_lo, s75
	s_and_saveexec_b32 s75, s17
	s_cbranch_execnz .LBB4_3246
	s_branch .LBB4_3247
.LBB4_3785:                             ;   in Loop: Header=BB4_3233 Depth=4
	s_or_saveexec_b32 s75, s75
	v_mov_b32_e32 v1, 0x7f800001
	s_xor_b32 exec_lo, exec_lo, s75
	s_cbranch_execz .LBB4_3259
.LBB4_3786:                             ;   in Loop: Header=BB4_3233 Depth=4
	v_cmp_ne_u16_sdwa s76, v8, v2 src0_sel:BYTE_1 src1_sel:DWORD
	v_mov_b32_e32 v1, 0
	s_andn2_b32 s17, s17, exec_lo
	s_and_b32 s76, s76, exec_lo
	s_or_b32 s17, s17, s76
	s_or_b32 exec_lo, exec_lo, s75
	s_and_saveexec_b32 s75, s17
	s_cbranch_execnz .LBB4_3260
	s_branch .LBB4_3261
.LBB4_3787:                             ;   in Loop: Header=BB4_3233 Depth=4
	s_or_saveexec_b32 s75, s75
	v_mov_b32_e32 v1, 0x7f800001
	s_xor_b32 exec_lo, exec_lo, s75
	s_cbranch_execz .LBB4_3273
.LBB4_3788:                             ;   in Loop: Header=BB4_3233 Depth=4
	v_cmp_ne_u16_e32 vcc_lo, 0, v4
	v_mov_b32_e32 v1, 0
	s_andn2_b32 s17, s17, exec_lo
	s_and_b32 s76, vcc_lo, exec_lo
	s_or_b32 s17, s17, s76
	s_or_b32 exec_lo, exec_lo, s75
	s_and_saveexec_b32 s75, s17
	s_cbranch_execnz .LBB4_3274
	s_branch .LBB4_3275
.LBB4_3789:                             ;   in Loop: Header=BB4_3233 Depth=4
	s_or_saveexec_b32 s75, s75
	v_mov_b32_e32 v1, 0x7f800001
	s_xor_b32 exec_lo, exec_lo, s75
	s_cbranch_execz .LBB4_3287
.LBB4_3790:                             ;   in Loop: Header=BB4_3233 Depth=4
	v_cmp_ne_u16_sdwa s76, v8, v2 src0_sel:BYTE_3 src1_sel:DWORD
	v_mov_b32_e32 v1, 0
	s_andn2_b32 s17, s17, exec_lo
	s_and_b32 s76, s76, exec_lo
	s_or_b32 s17, s17, s76
	s_or_b32 exec_lo, exec_lo, s75
	s_and_saveexec_b32 s75, s17
	s_cbranch_execnz .LBB4_3288
	s_branch .LBB4_3289
.LBB4_3791:                             ;   in Loop: Header=BB4_3233 Depth=4
	s_or_saveexec_b32 s75, s75
	v_mov_b32_e32 v1, 0x7f800001
	s_xor_b32 exec_lo, exec_lo, s75
	s_cbranch_execz .LBB4_3301
.LBB4_3792:                             ;   in Loop: Header=BB4_3233 Depth=4
	v_cmp_ne_u16_sdwa s76, v9, v2 src0_sel:BYTE_0 src1_sel:DWORD
	v_mov_b32_e32 v1, 0
	s_andn2_b32 s17, s17, exec_lo
	s_and_b32 s76, s76, exec_lo
	s_or_b32 s17, s17, s76
	s_or_b32 exec_lo, exec_lo, s75
	s_and_saveexec_b32 s75, s17
	s_cbranch_execnz .LBB4_3302
	s_branch .LBB4_3303
.LBB4_3793:                             ;   in Loop: Header=BB4_3233 Depth=4
	s_or_saveexec_b32 s75, s75
	v_mov_b32_e32 v1, 0x7f800001
	s_xor_b32 exec_lo, exec_lo, s75
	s_cbranch_execz .LBB4_3315
.LBB4_3794:                             ;   in Loop: Header=BB4_3233 Depth=4
	v_cmp_ne_u16_sdwa s76, v9, v2 src0_sel:BYTE_1 src1_sel:DWORD
	v_mov_b32_e32 v1, 0
	s_andn2_b32 s17, s17, exec_lo
	s_and_b32 s76, s76, exec_lo
	s_or_b32 s17, s17, s76
	s_or_b32 exec_lo, exec_lo, s75
	s_and_saveexec_b32 s75, s17
	s_cbranch_execnz .LBB4_3316
	s_branch .LBB4_3317
.LBB4_3795:                             ;   in Loop: Header=BB4_3233 Depth=4
	s_or_saveexec_b32 s75, s75
	v_mov_b32_e32 v1, 0x7f800001
	s_xor_b32 exec_lo, exec_lo, s75
	s_cbranch_execz .LBB4_3329
.LBB4_3796:                             ;   in Loop: Header=BB4_3233 Depth=4
	v_cmp_ne_u16_e32 vcc_lo, 0, v4
	v_mov_b32_e32 v1, 0
	s_andn2_b32 s17, s17, exec_lo
	s_and_b32 s76, vcc_lo, exec_lo
	s_or_b32 s17, s17, s76
	s_or_b32 exec_lo, exec_lo, s75
	s_and_saveexec_b32 s75, s17
	s_cbranch_execnz .LBB4_3330
	s_branch .LBB4_3331
.LBB4_3797:                             ;   in Loop: Header=BB4_3233 Depth=4
	s_or_saveexec_b32 s75, s75
	v_mov_b32_e32 v1, 0x7f800001
	s_xor_b32 exec_lo, exec_lo, s75
	s_cbranch_execz .LBB4_3343
.LBB4_3798:                             ;   in Loop: Header=BB4_3233 Depth=4
	v_cmp_ne_u16_sdwa s76, v9, v2 src0_sel:BYTE_3 src1_sel:DWORD
	v_mov_b32_e32 v1, 0
	s_andn2_b32 s17, s17, exec_lo
	s_and_b32 s76, s76, exec_lo
	s_or_b32 s17, s17, s76
	s_or_b32 exec_lo, exec_lo, s75
	s_and_saveexec_b32 s75, s17
	s_cbranch_execnz .LBB4_3344
	s_branch .LBB4_3345
.LBB4_3799:                             ;   in Loop: Header=BB4_3233 Depth=4
	s_or_saveexec_b32 s75, s75
	v_mov_b32_e32 v1, 0x7f800001
	s_xor_b32 exec_lo, exec_lo, s75
	s_cbranch_execz .LBB4_3357
.LBB4_3800:                             ;   in Loop: Header=BB4_3233 Depth=4
	v_cmp_ne_u16_sdwa s76, v10, v2 src0_sel:BYTE_0 src1_sel:DWORD
	v_mov_b32_e32 v1, 0
	s_andn2_b32 s17, s17, exec_lo
	s_and_b32 s76, s76, exec_lo
	s_or_b32 s17, s17, s76
	s_or_b32 exec_lo, exec_lo, s75
	s_and_saveexec_b32 s75, s17
	s_cbranch_execnz .LBB4_3358
	s_branch .LBB4_3359
.LBB4_3801:                             ;   in Loop: Header=BB4_3233 Depth=4
	s_or_saveexec_b32 s75, s75
	v_mov_b32_e32 v1, 0x7f800001
	s_xor_b32 exec_lo, exec_lo, s75
	s_cbranch_execz .LBB4_3371
.LBB4_3802:                             ;   in Loop: Header=BB4_3233 Depth=4
	v_cmp_ne_u16_sdwa s76, v10, v2 src0_sel:BYTE_1 src1_sel:DWORD
	v_mov_b32_e32 v1, 0
	s_andn2_b32 s17, s17, exec_lo
	s_and_b32 s76, s76, exec_lo
	s_or_b32 s17, s17, s76
	s_or_b32 exec_lo, exec_lo, s75
	s_and_saveexec_b32 s75, s17
	s_cbranch_execnz .LBB4_3372
	s_branch .LBB4_3373
.LBB4_3803:                             ;   in Loop: Header=BB4_3233 Depth=4
	s_or_saveexec_b32 s75, s75
	v_mov_b32_e32 v1, 0x7f800001
	s_xor_b32 exec_lo, exec_lo, s75
	s_cbranch_execz .LBB4_3385
.LBB4_3804:                             ;   in Loop: Header=BB4_3233 Depth=4
	v_cmp_ne_u16_e32 vcc_lo, 0, v4
	v_mov_b32_e32 v1, 0
	s_andn2_b32 s17, s17, exec_lo
	s_and_b32 s76, vcc_lo, exec_lo
	s_or_b32 s17, s17, s76
	s_or_b32 exec_lo, exec_lo, s75
	s_and_saveexec_b32 s75, s17
	s_cbranch_execnz .LBB4_3386
	s_branch .LBB4_3387
.LBB4_3805:                             ;   in Loop: Header=BB4_3233 Depth=4
	s_or_saveexec_b32 s75, s75
	v_mov_b32_e32 v1, 0x7f800001
	s_xor_b32 exec_lo, exec_lo, s75
	s_cbranch_execz .LBB4_3399
.LBB4_3806:                             ;   in Loop: Header=BB4_3233 Depth=4
	v_cmp_ne_u16_sdwa s76, v10, v2 src0_sel:BYTE_3 src1_sel:DWORD
	v_mov_b32_e32 v1, 0
	s_andn2_b32 s17, s17, exec_lo
	s_and_b32 s76, s76, exec_lo
	s_or_b32 s17, s17, s76
	s_or_b32 exec_lo, exec_lo, s75
	s_and_saveexec_b32 s75, s17
	s_cbranch_execnz .LBB4_3400
	s_branch .LBB4_3401
.LBB4_3807:                             ;   in Loop: Header=BB4_3233 Depth=4
	s_or_saveexec_b32 s75, s75
	v_mov_b32_e32 v1, 0x7f800001
	s_xor_b32 exec_lo, exec_lo, s75
	s_cbranch_execz .LBB4_3413
.LBB4_3808:                             ;   in Loop: Header=BB4_3233 Depth=4
	v_cmp_ne_u16_sdwa s76, v11, v2 src0_sel:BYTE_0 src1_sel:DWORD
	v_mov_b32_e32 v1, 0
	s_andn2_b32 s17, s17, exec_lo
	s_and_b32 s76, s76, exec_lo
	s_or_b32 s17, s17, s76
	s_or_b32 exec_lo, exec_lo, s75
	s_and_saveexec_b32 s75, s17
	s_cbranch_execnz .LBB4_3414
	s_branch .LBB4_3415
.LBB4_3809:                             ;   in Loop: Header=BB4_3233 Depth=4
	s_or_saveexec_b32 s75, s75
	v_mov_b32_e32 v1, 0x7f800001
	s_xor_b32 exec_lo, exec_lo, s75
	s_cbranch_execz .LBB4_3427
.LBB4_3810:                             ;   in Loop: Header=BB4_3233 Depth=4
	v_cmp_ne_u16_sdwa s76, v11, v2 src0_sel:BYTE_1 src1_sel:DWORD
	v_mov_b32_e32 v1, 0
	s_andn2_b32 s17, s17, exec_lo
	s_and_b32 s76, s76, exec_lo
	s_or_b32 s17, s17, s76
	s_or_b32 exec_lo, exec_lo, s75
	s_and_saveexec_b32 s75, s17
	s_cbranch_execnz .LBB4_3428
	s_branch .LBB4_3429
.LBB4_3811:                             ;   in Loop: Header=BB4_3233 Depth=4
	s_or_saveexec_b32 s75, s75
	v_mov_b32_e32 v1, 0x7f800001
	s_xor_b32 exec_lo, exec_lo, s75
	s_cbranch_execz .LBB4_3441
.LBB4_3812:                             ;   in Loop: Header=BB4_3233 Depth=4
	v_cmp_ne_u16_e32 vcc_lo, 0, v8
	v_mov_b32_e32 v1, 0
	s_andn2_b32 s17, s17, exec_lo
	s_and_b32 s76, vcc_lo, exec_lo
	s_or_b32 s17, s17, s76
	s_or_b32 exec_lo, exec_lo, s75
	s_and_saveexec_b32 s75, s17
	s_cbranch_execnz .LBB4_3442
	s_branch .LBB4_3443
.LBB4_3813:                             ;   in Loop: Header=BB4_3233 Depth=4
	s_or_saveexec_b32 s75, s75
	v_mov_b32_e32 v1, 0x7f800001
	s_xor_b32 exec_lo, exec_lo, s75
	s_cbranch_execz .LBB4_3455
.LBB4_3814:                             ;   in Loop: Header=BB4_3233 Depth=4
	v_cmp_ne_u16_sdwa s76, v11, v2 src0_sel:BYTE_3 src1_sel:DWORD
	v_mov_b32_e32 v1, 0
	s_andn2_b32 s17, s17, exec_lo
	s_and_b32 s76, s76, exec_lo
	s_or_b32 s17, s17, s76
	s_or_b32 exec_lo, exec_lo, s75
	s_and_saveexec_b32 s75, s17
	s_cbranch_execnz .LBB4_3456
	s_branch .LBB4_3457
.LBB4_3815:                             ;   in Loop: Header=BB4_3233 Depth=4
	s_or_saveexec_b32 s74, s74
	v_mov_b32_e32 v16, 0x7f800001
	s_xor_b32 exec_lo, exec_lo, s74
	s_cbranch_execz .LBB4_3469
.LBB4_3816:                             ;   in Loop: Header=BB4_3233 Depth=4
	v_cmp_ne_u16_sdwa s75, v1, v2 src0_sel:BYTE_0 src1_sel:DWORD
	v_mov_b32_e32 v16, 0
	s_andn2_b32 s17, s17, exec_lo
	s_and_b32 s75, s75, exec_lo
	s_or_b32 s17, s17, s75
	s_or_b32 exec_lo, exec_lo, s74
	s_and_saveexec_b32 s74, s17
	s_cbranch_execnz .LBB4_3470
	s_branch .LBB4_3471
.LBB4_3817:                             ;   in Loop: Header=BB4_3233 Depth=4
	s_or_saveexec_b32 s74, s74
	v_mov_b32_e32 v19, 0x7f800001
	s_xor_b32 exec_lo, exec_lo, s74
	s_cbranch_execz .LBB4_3475
.LBB4_3818:                             ;   in Loop: Header=BB4_3233 Depth=4
	v_cmp_ne_u16_sdwa s75, v8, v2 src0_sel:BYTE_0 src1_sel:DWORD
	v_mov_b32_e32 v19, 0
	s_andn2_b32 s17, s17, exec_lo
	s_and_b32 s75, s75, exec_lo
	s_or_b32 s17, s17, s75
	s_or_b32 exec_lo, exec_lo, s74
	s_and_saveexec_b32 s74, s17
	s_cbranch_execnz .LBB4_3476
	s_branch .LBB4_3477
.LBB4_3819:                             ;   in Loop: Header=BB4_3233 Depth=4
	s_or_saveexec_b32 s74, s74
	v_mov_b32_e32 v19, 0x7f800001
	s_xor_b32 exec_lo, exec_lo, s74
	s_cbranch_execz .LBB4_3489
.LBB4_3820:                             ;   in Loop: Header=BB4_3233 Depth=4
	v_cmp_ne_u16_sdwa s75, v1, v2 src0_sel:BYTE_1 src1_sel:DWORD
	v_mov_b32_e32 v19, 0
	s_andn2_b32 s17, s17, exec_lo
	s_and_b32 s75, s75, exec_lo
	s_or_b32 s17, s17, s75
	s_or_b32 exec_lo, exec_lo, s74
	s_and_saveexec_b32 s74, s17
	s_cbranch_execnz .LBB4_3490
	s_branch .LBB4_3491
.LBB4_3821:                             ;   in Loop: Header=BB4_3233 Depth=4
	s_or_saveexec_b32 s74, s74
	v_mov_b32_e32 v31, 0x7f800001
	s_xor_b32 exec_lo, exec_lo, s74
	s_cbranch_execz .LBB4_3495
.LBB4_3822:                             ;   in Loop: Header=BB4_3233 Depth=4
	v_cmp_ne_u16_sdwa s75, v8, v2 src0_sel:BYTE_1 src1_sel:DWORD
	v_mov_b32_e32 v31, 0
	s_andn2_b32 s17, s17, exec_lo
	s_and_b32 s75, s75, exec_lo
	s_or_b32 s17, s17, s75
	s_or_b32 exec_lo, exec_lo, s74
	s_and_saveexec_b32 s74, s17
	s_cbranch_execnz .LBB4_3496
	s_branch .LBB4_3497
.LBB4_3823:                             ;   in Loop: Header=BB4_3233 Depth=4
	s_or_saveexec_b32 s74, s74
	v_mov_b32_e32 v30, 0x7f800001
	s_xor_b32 exec_lo, exec_lo, s74
	s_cbranch_execz .LBB4_3509
.LBB4_3824:                             ;   in Loop: Header=BB4_3233 Depth=4
	v_cmp_ne_u16_sdwa s75, v31, v2 src0_sel:BYTE_0 src1_sel:DWORD
	v_mov_b32_e32 v30, 0
	s_andn2_b32 s17, s17, exec_lo
	s_and_b32 s75, s75, exec_lo
	s_or_b32 s17, s17, s75
	s_or_b32 exec_lo, exec_lo, s74
	v_lshl_or_b32 v1, v31, 16, v1
	s_and_saveexec_b32 s74, s17
	s_cbranch_execnz .LBB4_3510
	s_branch .LBB4_3511
.LBB4_3825:                             ;   in Loop: Header=BB4_3233 Depth=4
	s_or_saveexec_b32 s74, s74
	v_mov_b32_e32 v31, 0x7f800001
	s_xor_b32 exec_lo, exec_lo, s74
	s_cbranch_execz .LBB4_3515
.LBB4_3826:                             ;   in Loop: Header=BB4_3233 Depth=4
	v_cmp_ne_u16_e32 vcc_lo, 0, v34
	v_mov_b32_e32 v31, 0
	s_andn2_b32 s17, s17, exec_lo
	s_and_b32 s75, vcc_lo, exec_lo
	s_or_b32 s17, s17, s75
	s_or_b32 exec_lo, exec_lo, s74
	s_and_saveexec_b32 s74, s17
	s_cbranch_execnz .LBB4_3516
	s_branch .LBB4_3517
.LBB4_3827:                             ;   in Loop: Header=BB4_3233 Depth=4
	s_or_saveexec_b32 s74, s74
	v_mov_b32_e32 v31, 0x7f800001
	s_xor_b32 exec_lo, exec_lo, s74
	s_cbranch_execz .LBB4_3529
.LBB4_3828:                             ;   in Loop: Header=BB4_3233 Depth=4
	v_cmp_ne_u16_sdwa s75, v1, v2 src0_sel:BYTE_3 src1_sel:DWORD
	v_mov_b32_e32 v31, 0
	s_andn2_b32 s17, s17, exec_lo
	s_and_b32 s75, s75, exec_lo
	s_or_b32 s17, s17, s75
	s_or_b32 exec_lo, exec_lo, s74
	s_and_saveexec_b32 s74, s17
	s_cbranch_execnz .LBB4_3530
	s_branch .LBB4_3531
.LBB4_3829:                             ;   in Loop: Header=BB4_3233 Depth=4
	s_or_saveexec_b32 s74, s74
	v_mov_b32_e32 v1, 0x7f800001
	s_xor_b32 exec_lo, exec_lo, s74
	s_cbranch_execz .LBB4_3535
.LBB4_3830:                             ;   in Loop: Header=BB4_3233 Depth=4
	v_cmp_ne_u16_sdwa s75, v8, v2 src0_sel:BYTE_3 src1_sel:DWORD
	v_mov_b32_e32 v1, 0
	s_andn2_b32 s17, s17, exec_lo
	s_and_b32 s75, s75, exec_lo
	s_or_b32 s17, s17, s75
	s_or_b32 exec_lo, exec_lo, s74
	s_and_saveexec_b32 s74, s17
	s_cbranch_execnz .LBB4_3536
	s_branch .LBB4_3537
.LBB4_3831:                             ;   in Loop: Header=BB4_3233 Depth=4
	s_or_saveexec_b32 s74, s74
	v_mov_b32_e32 v31, 0x7f800001
	s_xor_b32 exec_lo, exec_lo, s74
	s_cbranch_execz .LBB4_3549
.LBB4_3832:                             ;   in Loop: Header=BB4_3233 Depth=4
	v_cmp_ne_u16_sdwa s75, v1, v2 src0_sel:BYTE_0 src1_sel:DWORD
	v_mov_b32_e32 v31, 0
	s_andn2_b32 s17, s17, exec_lo
	s_and_b32 s75, s75, exec_lo
	s_or_b32 s17, s17, s75
	s_or_b32 exec_lo, exec_lo, s74
	s_and_saveexec_b32 s74, s17
	s_cbranch_execnz .LBB4_3550
	s_branch .LBB4_3551
.LBB4_3833:                             ;   in Loop: Header=BB4_3233 Depth=4
	s_or_saveexec_b32 s74, s74
	v_mov_b32_e32 v34, 0x7f800001
	s_xor_b32 exec_lo, exec_lo, s74
	s_cbranch_execz .LBB4_3555
.LBB4_3834:                             ;   in Loop: Header=BB4_3233 Depth=4
	v_cmp_ne_u16_sdwa s75, v9, v2 src0_sel:BYTE_0 src1_sel:DWORD
	v_mov_b32_e32 v34, 0
	s_andn2_b32 s17, s17, exec_lo
	s_and_b32 s75, s75, exec_lo
	s_or_b32 s17, s17, s75
	s_or_b32 exec_lo, exec_lo, s74
	s_and_saveexec_b32 s74, s17
	s_cbranch_execnz .LBB4_3556
	s_branch .LBB4_3557
.LBB4_3835:                             ;   in Loop: Header=BB4_3233 Depth=4
	s_or_saveexec_b32 s74, s74
	v_mov_b32_e32 v31, 0x7f800001
	s_xor_b32 exec_lo, exec_lo, s74
	s_cbranch_execz .LBB4_3569
.LBB4_3836:                             ;   in Loop: Header=BB4_3233 Depth=4
	v_cmp_ne_u16_sdwa s75, v1, v2 src0_sel:BYTE_1 src1_sel:DWORD
	v_mov_b32_e32 v31, 0
	s_andn2_b32 s17, s17, exec_lo
	s_and_b32 s75, s75, exec_lo
	s_or_b32 s17, s17, s75
	s_or_b32 exec_lo, exec_lo, s74
	s_and_saveexec_b32 s74, s17
	s_cbranch_execnz .LBB4_3570
	s_branch .LBB4_3571
.LBB4_3837:                             ;   in Loop: Header=BB4_3233 Depth=4
	s_or_saveexec_b32 s74, s74
	v_mov_b32_e32 v34, 0x7f800001
	s_xor_b32 exec_lo, exec_lo, s74
	s_cbranch_execz .LBB4_3575
.LBB4_3838:                             ;   in Loop: Header=BB4_3233 Depth=4
	v_cmp_ne_u16_sdwa s75, v9, v2 src0_sel:BYTE_1 src1_sel:DWORD
	v_mov_b32_e32 v34, 0
	s_andn2_b32 s17, s17, exec_lo
	s_and_b32 s75, s75, exec_lo
	s_or_b32 s17, s17, s75
	s_or_b32 exec_lo, exec_lo, s74
	s_and_saveexec_b32 s74, s17
	s_cbranch_execnz .LBB4_3576
	s_branch .LBB4_3577
.LBB4_3839:                             ;   in Loop: Header=BB4_3233 Depth=4
	s_or_saveexec_b32 s74, s74
	v_mov_b32_e32 v31, 0x7f800001
	s_xor_b32 exec_lo, exec_lo, s74
	s_cbranch_execz .LBB4_3589
.LBB4_3840:                             ;   in Loop: Header=BB4_3233 Depth=4
	v_cmp_ne_u16_sdwa s75, v35, v2 src0_sel:BYTE_0 src1_sel:DWORD
	v_mov_b32_e32 v31, 0
	s_andn2_b32 s17, s17, exec_lo
	s_and_b32 s75, s75, exec_lo
	s_or_b32 s17, s17, s75
	s_or_b32 exec_lo, exec_lo, s74
	v_lshl_or_b32 v1, v35, 16, v1
	s_and_saveexec_b32 s74, s17
	s_cbranch_execnz .LBB4_3590
	s_branch .LBB4_3591
.LBB4_3841:                             ;   in Loop: Header=BB4_3233 Depth=4
	s_or_saveexec_b32 s74, s74
	v_mov_b32_e32 v35, 0x7f800001
	s_xor_b32 exec_lo, exec_lo, s74
	s_cbranch_execz .LBB4_3595
.LBB4_3842:                             ;   in Loop: Header=BB4_3233 Depth=4
	v_cmp_ne_u16_e32 vcc_lo, 0, v37
	v_mov_b32_e32 v35, 0
	s_andn2_b32 s17, s17, exec_lo
	s_and_b32 s75, vcc_lo, exec_lo
	s_or_b32 s17, s17, s75
	s_or_b32 exec_lo, exec_lo, s74
	s_and_saveexec_b32 s74, s17
	s_cbranch_execnz .LBB4_3596
	s_branch .LBB4_3597
.LBB4_3843:                             ;   in Loop: Header=BB4_3233 Depth=4
	s_or_saveexec_b32 s74, s74
	v_mov_b32_e32 v31, 0x7f800001
	s_xor_b32 exec_lo, exec_lo, s74
	s_cbranch_execz .LBB4_3609
.LBB4_3844:                             ;   in Loop: Header=BB4_3233 Depth=4
	v_cmp_ne_u16_sdwa s75, v1, v2 src0_sel:BYTE_3 src1_sel:DWORD
	v_mov_b32_e32 v31, 0
	s_andn2_b32 s17, s17, exec_lo
	s_and_b32 s75, s75, exec_lo
	s_or_b32 s17, s17, s75
	s_or_b32 exec_lo, exec_lo, s74
	s_and_saveexec_b32 s74, s17
	s_cbranch_execnz .LBB4_3610
	s_branch .LBB4_3611
.LBB4_3845:                             ;   in Loop: Header=BB4_3233 Depth=4
	s_or_saveexec_b32 s74, s74
	v_mov_b32_e32 v1, 0x7f800001
	s_xor_b32 exec_lo, exec_lo, s74
	s_cbranch_execz .LBB4_3615
.LBB4_3846:                             ;   in Loop: Header=BB4_3233 Depth=4
	v_cmp_ne_u16_sdwa s75, v9, v2 src0_sel:BYTE_3 src1_sel:DWORD
	v_mov_b32_e32 v1, 0
	s_andn2_b32 s17, s17, exec_lo
	s_and_b32 s75, s75, exec_lo
	s_or_b32 s17, s17, s75
	s_or_b32 exec_lo, exec_lo, s74
	s_and_saveexec_b32 s74, s17
	s_cbranch_execnz .LBB4_3616
	s_branch .LBB4_3617
.LBB4_3847:                             ;   in Loop: Header=BB4_3233 Depth=4
	s_or_saveexec_b32 s74, s74
	v_mov_b32_e32 v21, 0x7f800001
	s_xor_b32 exec_lo, exec_lo, s74
	s_cbranch_execz .LBB4_3629
.LBB4_3848:                             ;   in Loop: Header=BB4_3233 Depth=4
	v_cmp_ne_u16_sdwa s75, v1, v2 src0_sel:BYTE_0 src1_sel:DWORD
	v_mov_b32_e32 v21, 0
	s_andn2_b32 s17, s17, exec_lo
	s_and_b32 s75, s75, exec_lo
	s_or_b32 s17, s17, s75
	s_or_b32 exec_lo, exec_lo, s74
	s_and_saveexec_b32 s74, s17
	s_cbranch_execnz .LBB4_3630
	s_branch .LBB4_3631
.LBB4_3849:                             ;   in Loop: Header=BB4_3233 Depth=4
	s_or_saveexec_b32 s74, s74
	v_mov_b32_e32 v31, 0x7f800001
	s_xor_b32 exec_lo, exec_lo, s74
	s_cbranch_execz .LBB4_3635
.LBB4_3850:                             ;   in Loop: Header=BB4_3233 Depth=4
	v_cmp_ne_u16_sdwa s75, v10, v2 src0_sel:BYTE_0 src1_sel:DWORD
	v_mov_b32_e32 v31, 0
	s_andn2_b32 s17, s17, exec_lo
	s_and_b32 s75, s75, exec_lo
	s_or_b32 s17, s17, s75
	s_or_b32 exec_lo, exec_lo, s74
	s_and_saveexec_b32 s74, s17
	s_cbranch_execnz .LBB4_3636
	s_branch .LBB4_3637
.LBB4_3851:                             ;   in Loop: Header=BB4_3233 Depth=4
	s_or_saveexec_b32 s74, s74
	v_mov_b32_e32 v31, 0x7f800001
	s_xor_b32 exec_lo, exec_lo, s74
	s_cbranch_execz .LBB4_3649
.LBB4_3852:                             ;   in Loop: Header=BB4_3233 Depth=4
	v_cmp_ne_u16_sdwa s75, v1, v2 src0_sel:BYTE_1 src1_sel:DWORD
	v_mov_b32_e32 v31, 0
	s_andn2_b32 s17, s17, exec_lo
	s_and_b32 s75, s75, exec_lo
	s_or_b32 s17, s17, s75
	s_or_b32 exec_lo, exec_lo, s74
	s_and_saveexec_b32 s74, s17
	s_cbranch_execnz .LBB4_3650
	s_branch .LBB4_3651
.LBB4_3853:                             ;   in Loop: Header=BB4_3233 Depth=4
	s_or_saveexec_b32 s74, s74
	v_mov_b32_e32 v37, 0x7f800001
	s_xor_b32 exec_lo, exec_lo, s74
	s_cbranch_execz .LBB4_3655
.LBB4_3854:                             ;   in Loop: Header=BB4_3233 Depth=4
	v_cmp_ne_u16_sdwa s75, v10, v2 src0_sel:BYTE_1 src1_sel:DWORD
	v_mov_b32_e32 v37, 0
	s_andn2_b32 s17, s17, exec_lo
	s_and_b32 s75, s75, exec_lo
	s_or_b32 s17, s17, s75
	s_or_b32 exec_lo, exec_lo, s74
	s_and_saveexec_b32 s74, s17
	s_cbranch_execnz .LBB4_3656
	s_branch .LBB4_3657
.LBB4_3855:                             ;   in Loop: Header=BB4_3233 Depth=4
	s_or_saveexec_b32 s74, s74
	v_mov_b32_e32 v36, 0x7f800001
	s_xor_b32 exec_lo, exec_lo, s74
	s_cbranch_execz .LBB4_3669
.LBB4_3856:                             ;   in Loop: Header=BB4_3233 Depth=4
	v_cmp_ne_u16_sdwa s75, v4, v2 src0_sel:BYTE_0 src1_sel:DWORD
	v_mov_b32_e32 v36, 0
	s_andn2_b32 s17, s17, exec_lo
	s_and_b32 s75, s75, exec_lo
	s_or_b32 s17, s17, s75
	s_or_b32 exec_lo, exec_lo, s74
	v_lshl_or_b32 v4, v4, 16, v1
	s_and_saveexec_b32 s74, s17
	s_cbranch_execnz .LBB4_3670
	s_branch .LBB4_3671
.LBB4_3857:                             ;   in Loop: Header=BB4_3233 Depth=4
	s_or_saveexec_b32 s74, s74
	v_mov_b32_e32 v1, 0x7f800001
	s_xor_b32 exec_lo, exec_lo, s74
	s_cbranch_execz .LBB4_3675
.LBB4_3858:                             ;   in Loop: Header=BB4_3233 Depth=4
	v_cmp_ne_u16_e32 vcc_lo, 0, v37
	v_mov_b32_e32 v1, 0
	s_andn2_b32 s17, s17, exec_lo
	s_and_b32 s75, vcc_lo, exec_lo
	s_or_b32 s17, s17, s75
	s_or_b32 exec_lo, exec_lo, s74
	s_and_saveexec_b32 s74, s17
	s_cbranch_execnz .LBB4_3676
	s_branch .LBB4_3677
.LBB4_3859:                             ;   in Loop: Header=BB4_3233 Depth=4
	s_or_saveexec_b32 s74, s74
	v_mov_b32_e32 v36, 0x7f800001
	s_xor_b32 exec_lo, exec_lo, s74
	s_cbranch_execz .LBB4_3689
.LBB4_3860:                             ;   in Loop: Header=BB4_3233 Depth=4
	v_cmp_ne_u16_sdwa s75, v4, v2 src0_sel:BYTE_3 src1_sel:DWORD
	v_mov_b32_e32 v36, 0
	s_andn2_b32 s17, s17, exec_lo
	s_and_b32 s75, s75, exec_lo
	s_or_b32 s17, s17, s75
	s_or_b32 exec_lo, exec_lo, s74
	s_and_saveexec_b32 s74, s17
	s_cbranch_execnz .LBB4_3690
	s_branch .LBB4_3691
.LBB4_3861:                             ;   in Loop: Header=BB4_3233 Depth=4
	s_or_saveexec_b32 s74, s74
	v_mov_b32_e32 v4, 0x7f800001
	s_xor_b32 exec_lo, exec_lo, s74
	s_cbranch_execz .LBB4_3695
.LBB4_3862:                             ;   in Loop: Header=BB4_3233 Depth=4
	v_cmp_ne_u16_sdwa s75, v10, v2 src0_sel:BYTE_3 src1_sel:DWORD
	v_mov_b32_e32 v4, 0
	s_andn2_b32 s17, s17, exec_lo
	s_and_b32 s75, s75, exec_lo
	s_or_b32 s17, s17, s75
	s_or_b32 exec_lo, exec_lo, s74
	s_and_saveexec_b32 s74, s17
	s_cbranch_execnz .LBB4_3696
	s_branch .LBB4_3697
.LBB4_3863:                             ;   in Loop: Header=BB4_3233 Depth=4
	s_or_saveexec_b32 s74, s74
	v_mov_b32_e32 v5, 0x7f800001
	s_xor_b32 exec_lo, exec_lo, s74
	s_cbranch_execz .LBB4_3709
.LBB4_3864:                             ;   in Loop: Header=BB4_3233 Depth=4
	v_cmp_ne_u16_sdwa s75, v10, v2 src0_sel:BYTE_0 src1_sel:DWORD
	v_mov_b32_e32 v5, 0
	s_andn2_b32 s17, s17, exec_lo
	s_and_b32 s75, s75, exec_lo
	s_or_b32 s17, s17, s75
	s_or_b32 exec_lo, exec_lo, s74
	s_and_saveexec_b32 s74, s17
	s_cbranch_execnz .LBB4_3710
	s_branch .LBB4_3711
.LBB4_3865:                             ;   in Loop: Header=BB4_3233 Depth=4
	s_or_saveexec_b32 s74, s74
	v_mov_b32_e32 v18, 0x7f800001
	s_xor_b32 exec_lo, exec_lo, s74
	s_cbranch_execz .LBB4_3715
.LBB4_3866:                             ;   in Loop: Header=BB4_3233 Depth=4
	v_cmp_ne_u16_sdwa s75, v11, v2 src0_sel:BYTE_0 src1_sel:DWORD
	v_mov_b32_e32 v18, 0
	s_andn2_b32 s17, s17, exec_lo
	s_and_b32 s75, s75, exec_lo
	s_or_b32 s17, s17, s75
	s_or_b32 exec_lo, exec_lo, s74
	s_and_saveexec_b32 s74, s17
	s_cbranch_execnz .LBB4_3716
	s_branch .LBB4_3717
.LBB4_3867:                             ;   in Loop: Header=BB4_3233 Depth=4
	s_or_saveexec_b32 s74, s74
	v_mov_b32_e32 v18, 0x7f800001
	s_xor_b32 exec_lo, exec_lo, s74
	s_cbranch_execz .LBB4_3729
.LBB4_3868:                             ;   in Loop: Header=BB4_3233 Depth=4
	v_cmp_ne_u16_sdwa s75, v10, v2 src0_sel:BYTE_1 src1_sel:DWORD
	v_mov_b32_e32 v18, 0
	s_andn2_b32 s17, s17, exec_lo
	s_and_b32 s75, s75, exec_lo
	s_or_b32 s17, s17, s75
	s_or_b32 exec_lo, exec_lo, s74
	s_and_saveexec_b32 s74, s17
	s_cbranch_execnz .LBB4_3730
	s_branch .LBB4_3731
.LBB4_3869:                             ;   in Loop: Header=BB4_3233 Depth=4
	s_or_saveexec_b32 s74, s74
	v_mov_b32_e32 v36, 0x7f800001
	s_xor_b32 exec_lo, exec_lo, s74
	s_cbranch_execz .LBB4_3735
.LBB4_3870:                             ;   in Loop: Header=BB4_3233 Depth=4
	v_cmp_ne_u16_sdwa s75, v11, v2 src0_sel:BYTE_1 src1_sel:DWORD
	v_mov_b32_e32 v36, 0
	s_andn2_b32 s17, s17, exec_lo
	s_and_b32 s75, s75, exec_lo
	s_or_b32 s17, s17, s75
	s_or_b32 exec_lo, exec_lo, s74
	s_and_saveexec_b32 s74, s17
	s_cbranch_execnz .LBB4_3736
	s_branch .LBB4_3737
.LBB4_3871:                             ;   in Loop: Header=BB4_3233 Depth=4
	s_or_saveexec_b32 s74, s74
	v_mov_b32_e32 v20, 0x7f800001
	s_xor_b32 exec_lo, exec_lo, s74
	s_cbranch_execz .LBB4_3749
.LBB4_3872:                             ;   in Loop: Header=BB4_3233 Depth=4
	v_cmp_ne_u16_sdwa s75, v17, v2 src0_sel:BYTE_0 src1_sel:DWORD
	v_mov_b32_e32 v20, 0
	s_andn2_b32 s17, s17, exec_lo
	s_and_b32 s75, s75, exec_lo
	s_or_b32 s17, s17, s75
	s_or_b32 exec_lo, exec_lo, s74
	v_lshl_or_b32 v17, v17, 16, v10
	s_and_saveexec_b32 s74, s17
	s_cbranch_execnz .LBB4_3750
	s_branch .LBB4_3751
.LBB4_3873:                             ;   in Loop: Header=BB4_3233 Depth=4
	s_or_saveexec_b32 s74, s74
	v_mov_b32_e32 v10, 0x7f800001
	s_xor_b32 exec_lo, exec_lo, s74
	s_cbranch_execz .LBB4_3755
.LBB4_3874:                             ;   in Loop: Header=BB4_3233 Depth=4
	v_cmp_ne_u16_e32 vcc_lo, 0, v36
	v_mov_b32_e32 v10, 0
	s_andn2_b32 s17, s17, exec_lo
	s_and_b32 s75, vcc_lo, exec_lo
	s_or_b32 s17, s17, s75
	s_or_b32 exec_lo, exec_lo, s74
	s_and_saveexec_b32 s74, s17
	s_cbranch_execnz .LBB4_3756
	s_branch .LBB4_3757
.LBB4_3875:                             ;   in Loop: Header=BB4_3233 Depth=4
	s_or_saveexec_b32 s74, s74
	v_mov_b32_e32 v20, 0x7f800001
	s_xor_b32 exec_lo, exec_lo, s74
	s_cbranch_execz .LBB4_3769
.LBB4_3876:                             ;   in Loop: Header=BB4_3233 Depth=4
	v_cmp_ne_u16_sdwa s75, v17, v2 src0_sel:BYTE_3 src1_sel:DWORD
	v_mov_b32_e32 v20, 0
	s_andn2_b32 s17, s17, exec_lo
	s_and_b32 s75, s75, exec_lo
	s_or_b32 s17, s17, s75
	s_or_b32 exec_lo, exec_lo, s74
	s_and_saveexec_b32 s74, s17
	s_cbranch_execnz .LBB4_3770
	s_branch .LBB4_3771
.LBB4_3877:                             ;   in Loop: Header=BB4_3233 Depth=4
	s_or_saveexec_b32 s74, s74
	v_mov_b32_e32 v17, 0x7f800001
	s_xor_b32 exec_lo, exec_lo, s74
	s_cbranch_execz .LBB4_3775
.LBB4_3878:                             ;   in Loop: Header=BB4_3233 Depth=4
	v_cmp_ne_u16_sdwa s75, v11, v2 src0_sel:BYTE_3 src1_sel:DWORD
	v_mov_b32_e32 v17, 0
	s_andn2_b32 s17, s17, exec_lo
	s_and_b32 s75, s75, exec_lo
	s_or_b32 s17, s17, s75
	s_or_b32 exec_lo, exec_lo, s74
	s_and_saveexec_b32 s74, s17
	s_cbranch_execnz .LBB4_3776
	s_branch .LBB4_3777
.LBB4_3879:                             ;   in Loop: Header=BB4_1856 Depth=3
	s_or_b32 exec_lo, exec_lo, s63
.LBB4_3880:                             ;   in Loop: Header=BB4_1856 Depth=3
	s_or_b32 exec_lo, exec_lo, s62
	v_and_b32_e32 v1, 15, v3
	v_cmp_lt_i32_e32 vcc_lo, 0, v81
	v_sub_nc_u32_e32 v4, v80, v1
	v_cndmask_b32_e32 v5, 0, v87, vcc_lo
	v_cndmask_b32_e64 v69, v80, v1, s16
	v_cndmask_b32_e64 v1, 0, v4, s16
	v_sub_nc_u32_e32 v4, v5, v81
	v_cmp_ne_u32_e32 vcc_lo, 0, v69
	v_add3_u32 v68, v70, v71, v1
	v_lshl_add_u32 v70, v4, 5, v53
	s_and_b32 s16, vcc_lo, exec_lo
.LBB4_3881:                             ;   in Loop: Header=BB4_1856 Depth=3
	s_or_b32 exec_lo, exec_lo, s61
	s_and_saveexec_b32 s17, s16
	s_cbranch_execz .LBB4_4586
.LBB4_3882:                             ;   in Loop: Header=BB4_1856 Depth=3
	v_ashrrev_i32_e32 v1, 31, v70
	v_ashrrev_i32_e32 v4, 31, v69
	s_mov_b32 s61, exec_lo
	v_lshrrev_b32_e32 v1, 27, v1
	v_lshrrev_b32_e32 v4, 23, v4
	v_add_nc_u32_e32 v1, v70, v1
	v_add_nc_u32_e32 v4, v69, v4
	v_ashrrev_i32_e32 v53, 5, v1
	v_ashrrev_i32_e32 v80, 9, v4
	v_sub_nc_u32_e32 v71, v80, v53
	v_cmpx_lt_i32_e32 0, v71
	s_cbranch_execz .LBB4_4534
; %bb.3883:                             ;   in Loop: Header=BB4_1856 Depth=3
	v_and_b32_e32 v1, 0xffffffe0, v1
	s_trap 2
	ds_read_b64 v[4:5], v0
	v_lshlrev_b32_e32 v8, 9, v53
	v_add_co_u32 v12, vcc_lo, 0x1e0, v66
	v_sub_nc_u32_e32 v1, v70, v1
	v_add_co_ci_u32_e64 v14, null, 0, v67, vcc_lo
	s_mov_b32 s62, 0
	v_add3_u32 v1, v68, v1, v8
	v_ashrrev_i32_e32 v13, 31, v1
	v_add_co_u32 v8, vcc_lo, v1, v64
	v_add_co_ci_u32_e64 v9, null, v13, v65, vcc_lo
	s_waitcnt lgkmcnt(0)
	v_add_co_u32 v10, vcc_lo, v4, v1
	v_add_co_ci_u32_e64 v11, null, v5, v13, vcc_lo
	v_add_co_u32 v12, vcc_lo, v12, v1
	v_add_co_ci_u32_e64 v13, null, v14, v13, vcc_lo
	s_branch .LBB4_3887
.LBB4_3884:                             ;   in Loop: Header=BB4_3887 Depth=4
	s_or_b32 exec_lo, exec_lo, s16
	v_lshrrev_b32_e32 v18, 21, v18
	v_cmp_gt_i32_e32 vcc_lo, 32, v14
	v_min_i32_e32 v19, 31, v14
	v_and_b32_sdwa v15, v15, v101 dst_sel:DWORD dst_unused:UNUSED_PAD src0_sel:BYTE_3 src1_sel:DWORD
	v_cndmask_b32_e32 v18, 3, v18, vcc_lo
	v_lshlrev_b32_e32 v19, 2, v19
	v_and_b32_e32 v31, 3, v18
	v_or_b32_e32 v14, v14, v18
	v_or3_b32 v15, v19, v15, v31
	v_cmp_ne_u32_e32 vcc_lo, 0, v14
	v_cndmask_b32_e32 v14, 0, v15, vcc_lo
.LBB4_3885:                             ;   in Loop: Header=BB4_3887 Depth=4
	s_or_b32 exec_lo, exec_lo, s72
.LBB4_3886:                             ;   in Loop: Header=BB4_3887 Depth=4
	s_or_b32 exec_lo, exec_lo, s63
	v_add_co_u32 v18, vcc_lo, 0xfffffe20, v12
	v_add_co_ci_u32_e64 v19, null, -1, v13, vcc_lo
	v_add_co_u32 v50, vcc_lo, 0xfffffe40, v12
	v_add_co_ci_u32_e64 v51, null, -1, v13, vcc_lo
	;; [unrolled: 2-line block ×5, first 2 shown]
	v_add_co_u32 v15, vcc_lo, 0xfffffec0, v12
	flat_store_byte v[18:19], v16 glc slc
	flat_store_byte v[50:51], v30 glc slc
	;; [unrolled: 1-line block ×5, first 2 shown]
	v_add_co_ci_u32_e64 v16, null, -1, v13, vcc_lo
	v_add_co_u32 v18, vcc_lo, 0xfffffee0, v12
	v_add_co_ci_u32_e64 v19, null, -1, v13, vcc_lo
	v_add_co_u32 v30, vcc_lo, 0xffffff00, v12
	;; [unrolled: 2-line block ×4, first 2 shown]
	v_add_co_ci_u32_e64 v97, null, -1, v13, vcc_lo
	flat_store_byte v[15:16], v35 glc slc
	flat_store_byte v[18:19], v66 glc slc
	;; [unrolled: 1-line block ×5, first 2 shown]
	v_add_co_u32 v15, vcc_lo, 0xffffff60, v12
	v_add_co_ci_u32_e64 v16, null, -1, v13, vcc_lo
	v_add_co_u32 v18, vcc_lo, 0xffffff80, v12
	v_add_co_ci_u32_e64 v19, null, -1, v13, vcc_lo
	;; [unrolled: 2-line block ×4, first 2 shown]
	v_add_co_u32 v36, vcc_lo, 0xffffffe0, v12
	v_sub_nc_u32_e32 v71, v71, v87
	v_add_co_ci_u32_e64 v37, null, -1, v13, vcc_lo
	v_add_co_u32 v8, vcc_lo, v8, v117
	v_add_co_ci_u32_e64 v9, null, 0, v9, vcc_lo
	v_add_co_u32 v10, vcc_lo, v10, v117
	flat_store_byte v[15:16], v1 glc slc
	flat_store_byte v[18:19], v21 glc slc
	;; [unrolled: 1-line block ×6, first 2 shown]
	v_add_co_ci_u32_e64 v11, null, 0, v11, vcc_lo
	v_cmp_gt_i32_e32 vcc_lo, 1, v71
	v_add_co_u32 v12, s16, v12, v117
	v_add_co_ci_u32_e64 v13, null, 0, v13, s16
	s_or_b32 s62, vcc_lo, s62
	s_andn2_b32 exec_lo, exec_lo, s62
	s_cbranch_execz .LBB4_4533
.LBB4_3887:                             ;   Parent Loop BB4_47 Depth=1
                                        ;     Parent Loop BB4_1853 Depth=2
                                        ;       Parent Loop BB4_1856 Depth=3
                                        ; =>      This Inner Loop Header: Depth=4
	s_trap 2
	ds_read_b64 v[14:15], v0
	s_waitcnt lgkmcnt(0)
	v_readfirstlane_b32 s16, v14
	s_and_b32 s63, s16, 0xff
	s_cmpk_lt_i32 s63, 0x80
	s_cbranch_scc1 .LBB4_3891
; %bb.3888:                             ;   in Loop: Header=BB4_3887 Depth=4
	s_and_b32 s72, 0xffff, s63
	s_cmpk_eq_i32 s72, 0x80
	s_mov_b32 s72, -1
	s_cbranch_scc0 .LBB4_3890
; %bb.3889:                             ;   in Loop: Header=BB4_3887 Depth=4
	s_mov_b32 s72, 0
.LBB4_3890:                             ;   in Loop: Header=BB4_3887 Depth=4
	s_mov_b32 s73, 0x7f800001
	s_branch .LBB4_3893
.LBB4_3891:                             ;   in Loop: Header=BB4_3887 Depth=4
	s_mov_b32 s72, 0
	s_mov_b32 s73, 0x7f800001
	s_cbranch_execz .LBB4_3893
; %bb.3892:                             ;   in Loop: Header=BB4_3887 Depth=4
	s_and_b32 s63, 0xffff, s63
	s_mov_b32 s73, 0
	s_cmp_lg_u32 s63, 0
	s_cselect_b32 s72, -1, 0
.LBB4_3893:                             ;   in Loop: Header=BB4_3887 Depth=4
	v_mov_b32_e32 v5, s73
	s_andn2_b32 vcc_lo, exec_lo, s72
	s_cbranch_vccnz .LBB4_3895
; %bb.3894:                             ;   in Loop: Header=BB4_3887 Depth=4
	s_and_b32 s63, s16, 3
	s_bfe_u32 s73, s16, 0x50002
	s_flbit_i32_b32 s72, s63
	v_lshlrev_b32_e32 v1, 24, v14
	s_min_u32 s72, s72, 32
	s_sub_i32 s74, s72, 29
	s_sub_i32 s72, 30, s72
	s_lshl_b32 s16, s16, s74
	v_and_b32_e32 v1, 0x80000000, v1
	s_and_b32 s16, s16, 3
	s_cmp_eq_u32 s73, 0
	s_cselect_b32 s72, s72, s73
	s_cselect_b32 s16, s16, s63
	s_lshl_b32 s63, s72, 23
	s_lshl_b32 s16, s16, 21
	s_add_i32 s63, s63, 0x37800000
	v_or_b32_e32 v1, s63, v1
	v_or_b32_e32 v5, s16, v1
.LBB4_3895:                             ;   in Loop: Header=BB4_3887 Depth=4
	flat_load_ubyte v1, v[8:9] slc
	s_mov_b32 s16, 0
	s_mov_b32 s63, exec_lo
	s_waitcnt vmcnt(0) lgkmcnt(0)
	v_cmpx_lt_i16_e32 0x7f, v1
	s_xor_b32 s63, exec_lo, s63
	s_cbranch_execz .LBB4_4437
; %bb.3896:                             ;   in Loop: Header=BB4_3887 Depth=4
	s_mov_b32 s16, -1
	s_mov_b32 s72, exec_lo
	v_cmpx_eq_u16_e32 0x80, v1
; %bb.3897:                             ;   in Loop: Header=BB4_3887 Depth=4
	s_xor_b32 s16, exec_lo, -1
; %bb.3898:                             ;   in Loop: Header=BB4_3887 Depth=4
	s_or_b32 exec_lo, exec_lo, s72
	s_and_b32 s16, s16, exec_lo
	s_or_saveexec_b32 s63, s63
	v_mov_b32_e32 v4, 0x7f800001
	s_xor_b32 exec_lo, exec_lo, s63
	s_cbranch_execnz .LBB4_4438
.LBB4_3899:                             ;   in Loop: Header=BB4_3887 Depth=4
	s_or_b32 exec_lo, exec_lo, s63
	s_and_saveexec_b32 s63, s16
	s_cbranch_execz .LBB4_3901
.LBB4_3900:                             ;   in Loop: Header=BB4_3887 Depth=4
	v_and_b32_e32 v4, 0xffff, v1
	v_lshlrev_b32_e32 v1, 24, v1
	v_and_b32_e32 v14, 3, v4
	v_bfe_u32 v17, v4, 2, 5
	v_and_b32_e32 v1, 0x80000000, v1
	v_ffbh_u32_e32 v15, v14
	v_cmp_eq_u32_e32 vcc_lo, 0, v17
	v_min_u32_e32 v15, 32, v15
	v_subrev_nc_u32_e32 v16, 29, v15
	v_sub_nc_u32_e32 v15, 30, v15
	v_lshlrev_b32_e32 v4, v16, v4
	v_cndmask_b32_e32 v15, v17, v15, vcc_lo
	v_and_b32_e32 v4, 3, v4
	v_cndmask_b32_e32 v4, v14, v4, vcc_lo
	v_lshl_add_u32 v14, v15, 23, 0x37800000
	v_lshlrev_b32_e32 v4, 21, v4
	v_or3_b32 v4, v1, v14, v4
.LBB4_3901:                             ;   in Loop: Header=BB4_3887 Depth=4
	s_or_b32 exec_lo, exec_lo, s63
	v_mul_f32_e32 v1, v5, v4
	v_mov_b32_e32 v16, 0x80
	s_mov_b32 s63, exec_lo
	v_and_b32_e32 v4, 0x7f800000, v1
	v_cmpx_ne_u32_e32 0x7f800000, v4
	s_cbranch_execz .LBB4_3909
; %bb.3902:                             ;   in Loop: Header=BB4_3887 Depth=4
	v_mov_b32_e32 v16, 0
	s_mov_b32 s72, exec_lo
	v_cmpx_ne_u32_e32 0, v1
	s_cbranch_execz .LBB4_3908
; %bb.3903:                             ;   in Loop: Header=BB4_3887 Depth=4
	v_bfe_u32 v4, v1, 23, 8
	v_and_b32_e32 v14, 0x7fffff, v1
	v_sub_nc_u32_e32 v15, 0x70, v4
	v_cmp_gt_u32_e32 vcc_lo, 0x71, v4
	v_or_b32_e32 v16, 0x800000, v14
	v_cndmask_b32_e32 v15, 0, v15, vcc_lo
	v_cmp_eq_u32_e32 vcc_lo, 0, v4
	v_add_nc_u32_e32 v4, 0xffffff91, v4
	v_cndmask_b32_e64 v15, v15, 0x6f, vcc_lo
	v_cndmask_b32_e32 v14, v16, v14, vcc_lo
	v_cndmask_b32_e64 v4, v4, 0xffffff92, vcc_lo
	v_lshl_add_u32 v16, 0x200000, v15, -1
	v_lshrrev_b32_e32 v17, v15, v14
	v_lshlrev_b32_e64 v19, v15, 0x100000
	v_add_nc_u32_e32 v15, v15, v4
	v_and_b32_e32 v14, v16, v14
	v_bfe_u32 v18, v17, 21, 1
	v_cmp_eq_u32_e64 s16, v14, v19
	v_add_nc_u32_e32 v16, -1, v18
	v_cndmask_b32_e64 v14, 0, v16, s16
	v_lshrrev_b32_e32 v16, 23, v17
	s_mov_b32 s16, exec_lo
	v_add_nc_u32_e32 v14, v14, v17
	v_xor_b32_e32 v16, 1, v16
	v_and_b32_e32 v4, 0x1fffff, v14
	v_add_nc_u32_e32 v14, v4, v17
                                        ; implicit-def: $vgpr4
	v_cmpx_ne_u32_e64 v15, v16
	s_xor_b32 s16, exec_lo, s16
; %bb.3904:                             ;   in Loop: Header=BB4_3887 Depth=4
	v_cmp_lt_u32_e32 vcc_lo, 0xffffff, v14
	v_sub_nc_u32_e32 v4, v15, v16
	v_cndmask_b32_e64 v15, 0, 1, vcc_lo
	v_add_co_ci_u32_e64 v4, null, 0, v4, vcc_lo
	v_lshrrev_b32_e32 v14, v15, v14
; %bb.3905:                             ;   in Loop: Header=BB4_3887 Depth=4
	s_andn2_saveexec_b32 s16, s16
; %bb.3906:                             ;   in Loop: Header=BB4_3887 Depth=4
	v_bfe_u32 v4, v14, 23, 1
; %bb.3907:                             ;   in Loop: Header=BB4_3887 Depth=4
	s_or_b32 exec_lo, exec_lo, s16
	v_lshrrev_b32_e32 v14, 21, v14
	v_cmp_gt_i32_e32 vcc_lo, 32, v4
	v_min_i32_e32 v15, 31, v4
	v_and_b32_sdwa v1, v1, v101 dst_sel:DWORD dst_unused:UNUSED_PAD src0_sel:BYTE_3 src1_sel:DWORD
	v_cndmask_b32_e32 v14, 3, v14, vcc_lo
	v_lshlrev_b32_e32 v15, 2, v15
	v_and_b32_e32 v16, 3, v14
	v_or_b32_e32 v4, v4, v14
	v_or3_b32 v1, v15, v1, v16
	v_cmp_ne_u32_e32 vcc_lo, 0, v4
	v_cndmask_b32_e32 v16, 0, v1, vcc_lo
.LBB4_3908:                             ;   in Loop: Header=BB4_3887 Depth=4
	s_or_b32 exec_lo, exec_lo, s72
.LBB4_3909:                             ;   in Loop: Header=BB4_3887 Depth=4
	s_or_b32 exec_lo, exec_lo, s63
	flat_load_ubyte v1, v[8:9] offset:32 slc
	s_mov_b32 s16, 0
	s_mov_b32 s63, exec_lo
	s_waitcnt vmcnt(0) lgkmcnt(0)
	v_cmpx_lt_i16_e32 0x7f, v1
	s_xor_b32 s63, exec_lo, s63
	s_cbranch_execz .LBB4_4439
; %bb.3910:                             ;   in Loop: Header=BB4_3887 Depth=4
	s_mov_b32 s16, -1
	s_mov_b32 s72, exec_lo
	v_cmpx_eq_u16_e32 0x80, v1
; %bb.3911:                             ;   in Loop: Header=BB4_3887 Depth=4
	s_xor_b32 s16, exec_lo, -1
; %bb.3912:                             ;   in Loop: Header=BB4_3887 Depth=4
	s_or_b32 exec_lo, exec_lo, s72
	s_and_b32 s16, s16, exec_lo
	s_or_saveexec_b32 s63, s63
	v_mov_b32_e32 v4, 0x7f800001
	s_xor_b32 exec_lo, exec_lo, s63
	s_cbranch_execnz .LBB4_4440
.LBB4_3913:                             ;   in Loop: Header=BB4_3887 Depth=4
	s_or_b32 exec_lo, exec_lo, s63
	s_and_saveexec_b32 s63, s16
	s_cbranch_execz .LBB4_3915
.LBB4_3914:                             ;   in Loop: Header=BB4_3887 Depth=4
	v_and_b32_e32 v4, 0xffff, v1
	v_lshlrev_b32_e32 v1, 24, v1
	v_and_b32_e32 v14, 3, v4
	v_bfe_u32 v18, v4, 2, 5
	v_and_b32_e32 v1, 0x80000000, v1
	v_ffbh_u32_e32 v15, v14
	v_cmp_eq_u32_e32 vcc_lo, 0, v18
	v_min_u32_e32 v15, 32, v15
	v_subrev_nc_u32_e32 v17, 29, v15
	v_sub_nc_u32_e32 v15, 30, v15
	v_lshlrev_b32_e32 v4, v17, v4
	v_cndmask_b32_e32 v15, v18, v15, vcc_lo
	v_and_b32_e32 v4, 3, v4
	v_cndmask_b32_e32 v4, v14, v4, vcc_lo
	v_lshl_add_u32 v14, v15, 23, 0x37800000
	v_lshlrev_b32_e32 v4, 21, v4
	v_or3_b32 v4, v1, v14, v4
.LBB4_3915:                             ;   in Loop: Header=BB4_3887 Depth=4
	s_or_b32 exec_lo, exec_lo, s63
	v_mul_f32_e32 v1, v5, v4
	v_mov_b32_e32 v30, 0x80
	s_mov_b32 s63, exec_lo
	v_and_b32_e32 v4, 0x7f800000, v1
	v_cmpx_ne_u32_e32 0x7f800000, v4
	s_cbranch_execz .LBB4_3923
; %bb.3916:                             ;   in Loop: Header=BB4_3887 Depth=4
	v_mov_b32_e32 v30, 0
	s_mov_b32 s72, exec_lo
	v_cmpx_ne_u32_e32 0, v1
	s_cbranch_execz .LBB4_3922
; %bb.3917:                             ;   in Loop: Header=BB4_3887 Depth=4
	v_bfe_u32 v4, v1, 23, 8
	v_and_b32_e32 v14, 0x7fffff, v1
	v_sub_nc_u32_e32 v15, 0x70, v4
	v_cmp_gt_u32_e32 vcc_lo, 0x71, v4
	v_or_b32_e32 v17, 0x800000, v14
	v_cndmask_b32_e32 v15, 0, v15, vcc_lo
	v_cmp_eq_u32_e32 vcc_lo, 0, v4
	v_add_nc_u32_e32 v4, 0xffffff91, v4
	v_cndmask_b32_e64 v15, v15, 0x6f, vcc_lo
	v_cndmask_b32_e32 v14, v17, v14, vcc_lo
	v_cndmask_b32_e64 v4, v4, 0xffffff92, vcc_lo
	v_lshl_add_u32 v17, 0x200000, v15, -1
	v_lshrrev_b32_e32 v18, v15, v14
	v_lshlrev_b32_e64 v20, v15, 0x100000
	v_add_nc_u32_e32 v15, v15, v4
	v_and_b32_e32 v14, v17, v14
	v_bfe_u32 v19, v18, 21, 1
	v_cmp_eq_u32_e64 s16, v14, v20
	v_add_nc_u32_e32 v17, -1, v19
	v_cndmask_b32_e64 v14, 0, v17, s16
	v_lshrrev_b32_e32 v17, 23, v18
	s_mov_b32 s16, exec_lo
	v_add_nc_u32_e32 v14, v14, v18
	v_xor_b32_e32 v17, 1, v17
	v_and_b32_e32 v4, 0x1fffff, v14
	v_add_nc_u32_e32 v14, v4, v18
                                        ; implicit-def: $vgpr4
	v_cmpx_ne_u32_e64 v15, v17
	s_xor_b32 s16, exec_lo, s16
; %bb.3918:                             ;   in Loop: Header=BB4_3887 Depth=4
	v_cmp_lt_u32_e32 vcc_lo, 0xffffff, v14
	v_sub_nc_u32_e32 v4, v15, v17
	v_cndmask_b32_e64 v15, 0, 1, vcc_lo
	v_add_co_ci_u32_e64 v4, null, 0, v4, vcc_lo
	v_lshrrev_b32_e32 v14, v15, v14
; %bb.3919:                             ;   in Loop: Header=BB4_3887 Depth=4
	s_andn2_saveexec_b32 s16, s16
; %bb.3920:                             ;   in Loop: Header=BB4_3887 Depth=4
	v_bfe_u32 v4, v14, 23, 1
; %bb.3921:                             ;   in Loop: Header=BB4_3887 Depth=4
	s_or_b32 exec_lo, exec_lo, s16
	v_lshrrev_b32_e32 v14, 21, v14
	v_cmp_gt_i32_e32 vcc_lo, 32, v4
	v_min_i32_e32 v15, 31, v4
	v_and_b32_sdwa v1, v1, v101 dst_sel:DWORD dst_unused:UNUSED_PAD src0_sel:BYTE_3 src1_sel:DWORD
	v_cndmask_b32_e32 v14, 3, v14, vcc_lo
	v_lshlrev_b32_e32 v15, 2, v15
	v_and_b32_e32 v17, 3, v14
	v_or_b32_e32 v4, v4, v14
	v_or3_b32 v1, v15, v1, v17
	v_cmp_ne_u32_e32 vcc_lo, 0, v4
	v_cndmask_b32_e32 v30, 0, v1, vcc_lo
.LBB4_3922:                             ;   in Loop: Header=BB4_3887 Depth=4
	s_or_b32 exec_lo, exec_lo, s72
.LBB4_3923:                             ;   in Loop: Header=BB4_3887 Depth=4
	s_or_b32 exec_lo, exec_lo, s63
	flat_load_ubyte v1, v[8:9] offset:64 slc
	s_mov_b32 s16, 0
	s_mov_b32 s63, exec_lo
	s_waitcnt vmcnt(0) lgkmcnt(0)
	v_cmpx_lt_i16_e32 0x7f, v1
	s_xor_b32 s63, exec_lo, s63
	s_cbranch_execz .LBB4_4441
; %bb.3924:                             ;   in Loop: Header=BB4_3887 Depth=4
	s_mov_b32 s16, -1
	s_mov_b32 s72, exec_lo
	v_cmpx_eq_u16_e32 0x80, v1
; %bb.3925:                             ;   in Loop: Header=BB4_3887 Depth=4
	s_xor_b32 s16, exec_lo, -1
; %bb.3926:                             ;   in Loop: Header=BB4_3887 Depth=4
	s_or_b32 exec_lo, exec_lo, s72
	s_and_b32 s16, s16, exec_lo
	s_or_saveexec_b32 s63, s63
	v_mov_b32_e32 v4, 0x7f800001
	s_xor_b32 exec_lo, exec_lo, s63
	s_cbranch_execnz .LBB4_4442
.LBB4_3927:                             ;   in Loop: Header=BB4_3887 Depth=4
	s_or_b32 exec_lo, exec_lo, s63
	s_and_saveexec_b32 s63, s16
	s_cbranch_execz .LBB4_3929
.LBB4_3928:                             ;   in Loop: Header=BB4_3887 Depth=4
	v_and_b32_e32 v4, 0xffff, v1
	v_lshlrev_b32_e32 v1, 24, v1
	v_and_b32_e32 v14, 3, v4
	v_bfe_u32 v18, v4, 2, 5
	v_and_b32_e32 v1, 0x80000000, v1
	v_ffbh_u32_e32 v15, v14
	v_cmp_eq_u32_e32 vcc_lo, 0, v18
	v_min_u32_e32 v15, 32, v15
	v_subrev_nc_u32_e32 v17, 29, v15
	v_sub_nc_u32_e32 v15, 30, v15
	v_lshlrev_b32_e32 v4, v17, v4
	v_cndmask_b32_e32 v15, v18, v15, vcc_lo
	v_and_b32_e32 v4, 3, v4
	v_cndmask_b32_e32 v4, v14, v4, vcc_lo
	v_lshl_add_u32 v14, v15, 23, 0x37800000
	v_lshlrev_b32_e32 v4, 21, v4
	v_or3_b32 v4, v1, v14, v4
.LBB4_3929:                             ;   in Loop: Header=BB4_3887 Depth=4
	s_or_b32 exec_lo, exec_lo, s63
	v_mul_f32_e32 v1, v5, v4
	v_mov_b32_e32 v64, 0x80
	s_mov_b32 s63, exec_lo
	v_and_b32_e32 v4, 0x7f800000, v1
	v_cmpx_ne_u32_e32 0x7f800000, v4
	s_cbranch_execz .LBB4_3937
; %bb.3930:                             ;   in Loop: Header=BB4_3887 Depth=4
	v_mov_b32_e32 v64, 0
	s_mov_b32 s72, exec_lo
	v_cmpx_ne_u32_e32 0, v1
	s_cbranch_execz .LBB4_3936
; %bb.3931:                             ;   in Loop: Header=BB4_3887 Depth=4
	v_bfe_u32 v4, v1, 23, 8
	v_and_b32_e32 v14, 0x7fffff, v1
	v_sub_nc_u32_e32 v15, 0x70, v4
	v_cmp_gt_u32_e32 vcc_lo, 0x71, v4
	v_or_b32_e32 v17, 0x800000, v14
	v_cndmask_b32_e32 v15, 0, v15, vcc_lo
	v_cmp_eq_u32_e32 vcc_lo, 0, v4
	v_add_nc_u32_e32 v4, 0xffffff91, v4
	v_cndmask_b32_e64 v15, v15, 0x6f, vcc_lo
	v_cndmask_b32_e32 v14, v17, v14, vcc_lo
	v_cndmask_b32_e64 v4, v4, 0xffffff92, vcc_lo
	v_lshl_add_u32 v17, 0x200000, v15, -1
	v_lshrrev_b32_e32 v18, v15, v14
	v_lshlrev_b32_e64 v20, v15, 0x100000
	v_add_nc_u32_e32 v15, v15, v4
	v_and_b32_e32 v14, v17, v14
	v_bfe_u32 v19, v18, 21, 1
	v_cmp_eq_u32_e64 s16, v14, v20
	v_add_nc_u32_e32 v17, -1, v19
	v_cndmask_b32_e64 v14, 0, v17, s16
	v_lshrrev_b32_e32 v17, 23, v18
	s_mov_b32 s16, exec_lo
	v_add_nc_u32_e32 v14, v14, v18
	v_xor_b32_e32 v17, 1, v17
	v_and_b32_e32 v4, 0x1fffff, v14
	v_add_nc_u32_e32 v14, v4, v18
                                        ; implicit-def: $vgpr4
	v_cmpx_ne_u32_e64 v15, v17
	s_xor_b32 s16, exec_lo, s16
; %bb.3932:                             ;   in Loop: Header=BB4_3887 Depth=4
	v_cmp_lt_u32_e32 vcc_lo, 0xffffff, v14
	v_sub_nc_u32_e32 v4, v15, v17
	v_cndmask_b32_e64 v15, 0, 1, vcc_lo
	v_add_co_ci_u32_e64 v4, null, 0, v4, vcc_lo
	v_lshrrev_b32_e32 v14, v15, v14
; %bb.3933:                             ;   in Loop: Header=BB4_3887 Depth=4
	s_andn2_saveexec_b32 s16, s16
; %bb.3934:                             ;   in Loop: Header=BB4_3887 Depth=4
	v_bfe_u32 v4, v14, 23, 1
; %bb.3935:                             ;   in Loop: Header=BB4_3887 Depth=4
	s_or_b32 exec_lo, exec_lo, s16
	v_lshrrev_b32_e32 v14, 21, v14
	v_cmp_gt_i32_e32 vcc_lo, 32, v4
	v_min_i32_e32 v15, 31, v4
	v_and_b32_sdwa v1, v1, v101 dst_sel:DWORD dst_unused:UNUSED_PAD src0_sel:BYTE_3 src1_sel:DWORD
	v_cndmask_b32_e32 v14, 3, v14, vcc_lo
	v_lshlrev_b32_e32 v15, 2, v15
	v_and_b32_e32 v17, 3, v14
	v_or_b32_e32 v4, v4, v14
	v_or3_b32 v1, v15, v1, v17
	v_cmp_ne_u32_e32 vcc_lo, 0, v4
	v_cndmask_b32_e32 v64, 0, v1, vcc_lo
.LBB4_3936:                             ;   in Loop: Header=BB4_3887 Depth=4
	s_or_b32 exec_lo, exec_lo, s72
.LBB4_3937:                             ;   in Loop: Header=BB4_3887 Depth=4
	s_or_b32 exec_lo, exec_lo, s63
	flat_load_ubyte v1, v[8:9] offset:96 slc
	s_mov_b32 s16, 0
	s_mov_b32 s63, exec_lo
	s_waitcnt vmcnt(0) lgkmcnt(0)
	v_cmpx_lt_i16_e32 0x7f, v1
	s_xor_b32 s63, exec_lo, s63
	s_cbranch_execz .LBB4_4443
; %bb.3938:                             ;   in Loop: Header=BB4_3887 Depth=4
	s_mov_b32 s16, -1
	s_mov_b32 s72, exec_lo
	v_cmpx_eq_u16_e32 0x80, v1
; %bb.3939:                             ;   in Loop: Header=BB4_3887 Depth=4
	s_xor_b32 s16, exec_lo, -1
; %bb.3940:                             ;   in Loop: Header=BB4_3887 Depth=4
	s_or_b32 exec_lo, exec_lo, s72
	s_and_b32 s16, s16, exec_lo
	s_or_saveexec_b32 s63, s63
	v_mov_b32_e32 v4, 0x7f800001
	s_xor_b32 exec_lo, exec_lo, s63
	s_cbranch_execnz .LBB4_4444
.LBB4_3941:                             ;   in Loop: Header=BB4_3887 Depth=4
	s_or_b32 exec_lo, exec_lo, s63
	s_and_saveexec_b32 s63, s16
	s_cbranch_execz .LBB4_3943
.LBB4_3942:                             ;   in Loop: Header=BB4_3887 Depth=4
	v_and_b32_e32 v4, 0xffff, v1
	v_lshlrev_b32_e32 v1, 24, v1
	v_and_b32_e32 v14, 3, v4
	v_bfe_u32 v18, v4, 2, 5
	v_and_b32_e32 v1, 0x80000000, v1
	v_ffbh_u32_e32 v15, v14
	v_cmp_eq_u32_e32 vcc_lo, 0, v18
	v_min_u32_e32 v15, 32, v15
	v_subrev_nc_u32_e32 v17, 29, v15
	v_sub_nc_u32_e32 v15, 30, v15
	v_lshlrev_b32_e32 v4, v17, v4
	v_cndmask_b32_e32 v15, v18, v15, vcc_lo
	v_and_b32_e32 v4, 3, v4
	v_cndmask_b32_e32 v4, v14, v4, vcc_lo
	v_lshl_add_u32 v14, v15, 23, 0x37800000
	v_lshlrev_b32_e32 v4, 21, v4
	v_or3_b32 v4, v1, v14, v4
.LBB4_3943:                             ;   in Loop: Header=BB4_3887 Depth=4
	s_or_b32 exec_lo, exec_lo, s63
	v_mul_f32_e32 v1, v5, v4
	v_mov_b32_e32 v59, 0x80
	s_mov_b32 s63, exec_lo
	v_and_b32_e32 v4, 0x7f800000, v1
	v_cmpx_ne_u32_e32 0x7f800000, v4
	s_cbranch_execz .LBB4_3951
; %bb.3944:                             ;   in Loop: Header=BB4_3887 Depth=4
	v_mov_b32_e32 v59, 0
	s_mov_b32 s72, exec_lo
	v_cmpx_ne_u32_e32 0, v1
	s_cbranch_execz .LBB4_3950
; %bb.3945:                             ;   in Loop: Header=BB4_3887 Depth=4
	v_bfe_u32 v4, v1, 23, 8
	v_and_b32_e32 v14, 0x7fffff, v1
	v_sub_nc_u32_e32 v15, 0x70, v4
	v_cmp_gt_u32_e32 vcc_lo, 0x71, v4
	v_or_b32_e32 v17, 0x800000, v14
	v_cndmask_b32_e32 v15, 0, v15, vcc_lo
	v_cmp_eq_u32_e32 vcc_lo, 0, v4
	v_add_nc_u32_e32 v4, 0xffffff91, v4
	v_cndmask_b32_e64 v15, v15, 0x6f, vcc_lo
	v_cndmask_b32_e32 v14, v17, v14, vcc_lo
	v_cndmask_b32_e64 v4, v4, 0xffffff92, vcc_lo
	v_lshl_add_u32 v17, 0x200000, v15, -1
	v_lshrrev_b32_e32 v18, v15, v14
	v_lshlrev_b32_e64 v20, v15, 0x100000
	v_add_nc_u32_e32 v15, v15, v4
	v_and_b32_e32 v14, v17, v14
	v_bfe_u32 v19, v18, 21, 1
	v_cmp_eq_u32_e64 s16, v14, v20
	v_add_nc_u32_e32 v17, -1, v19
	v_cndmask_b32_e64 v14, 0, v17, s16
	v_lshrrev_b32_e32 v17, 23, v18
	s_mov_b32 s16, exec_lo
	v_add_nc_u32_e32 v14, v14, v18
	v_xor_b32_e32 v17, 1, v17
	v_and_b32_e32 v4, 0x1fffff, v14
	v_add_nc_u32_e32 v14, v4, v18
                                        ; implicit-def: $vgpr4
	v_cmpx_ne_u32_e64 v15, v17
	s_xor_b32 s16, exec_lo, s16
; %bb.3946:                             ;   in Loop: Header=BB4_3887 Depth=4
	v_cmp_lt_u32_e32 vcc_lo, 0xffffff, v14
	v_sub_nc_u32_e32 v4, v15, v17
	v_cndmask_b32_e64 v15, 0, 1, vcc_lo
	v_add_co_ci_u32_e64 v4, null, 0, v4, vcc_lo
	v_lshrrev_b32_e32 v14, v15, v14
; %bb.3947:                             ;   in Loop: Header=BB4_3887 Depth=4
	s_andn2_saveexec_b32 s16, s16
; %bb.3948:                             ;   in Loop: Header=BB4_3887 Depth=4
	v_bfe_u32 v4, v14, 23, 1
; %bb.3949:                             ;   in Loop: Header=BB4_3887 Depth=4
	s_or_b32 exec_lo, exec_lo, s16
	v_lshrrev_b32_e32 v14, 21, v14
	v_cmp_gt_i32_e32 vcc_lo, 32, v4
	v_min_i32_e32 v15, 31, v4
	v_and_b32_sdwa v1, v1, v101 dst_sel:DWORD dst_unused:UNUSED_PAD src0_sel:BYTE_3 src1_sel:DWORD
	v_cndmask_b32_e32 v14, 3, v14, vcc_lo
	v_lshlrev_b32_e32 v15, 2, v15
	v_and_b32_e32 v17, 3, v14
	v_or_b32_e32 v4, v4, v14
	v_or3_b32 v1, v15, v1, v17
	v_cmp_ne_u32_e32 vcc_lo, 0, v4
	v_cndmask_b32_e32 v59, 0, v1, vcc_lo
.LBB4_3950:                             ;   in Loop: Header=BB4_3887 Depth=4
	s_or_b32 exec_lo, exec_lo, s72
.LBB4_3951:                             ;   in Loop: Header=BB4_3887 Depth=4
	s_or_b32 exec_lo, exec_lo, s63
	flat_load_ubyte v1, v[8:9] offset:128 slc
	s_mov_b32 s16, 0
	s_mov_b32 s63, exec_lo
	s_waitcnt vmcnt(0) lgkmcnt(0)
	v_cmpx_lt_i16_e32 0x7f, v1
	s_xor_b32 s63, exec_lo, s63
	s_cbranch_execz .LBB4_4445
; %bb.3952:                             ;   in Loop: Header=BB4_3887 Depth=4
	s_mov_b32 s16, -1
	s_mov_b32 s72, exec_lo
	v_cmpx_eq_u16_e32 0x80, v1
; %bb.3953:                             ;   in Loop: Header=BB4_3887 Depth=4
	s_xor_b32 s16, exec_lo, -1
; %bb.3954:                             ;   in Loop: Header=BB4_3887 Depth=4
	s_or_b32 exec_lo, exec_lo, s72
	s_and_b32 s16, s16, exec_lo
	s_or_saveexec_b32 s63, s63
	v_mov_b32_e32 v4, 0x7f800001
	s_xor_b32 exec_lo, exec_lo, s63
	s_cbranch_execnz .LBB4_4446
.LBB4_3955:                             ;   in Loop: Header=BB4_3887 Depth=4
	s_or_b32 exec_lo, exec_lo, s63
	s_and_saveexec_b32 s63, s16
	s_cbranch_execz .LBB4_3957
.LBB4_3956:                             ;   in Loop: Header=BB4_3887 Depth=4
	v_and_b32_e32 v4, 0xffff, v1
	v_lshlrev_b32_e32 v1, 24, v1
	v_and_b32_e32 v14, 3, v4
	v_bfe_u32 v18, v4, 2, 5
	v_and_b32_e32 v1, 0x80000000, v1
	v_ffbh_u32_e32 v15, v14
	v_cmp_eq_u32_e32 vcc_lo, 0, v18
	v_min_u32_e32 v15, 32, v15
	v_subrev_nc_u32_e32 v17, 29, v15
	v_sub_nc_u32_e32 v15, 30, v15
	v_lshlrev_b32_e32 v4, v17, v4
	v_cndmask_b32_e32 v15, v18, v15, vcc_lo
	v_and_b32_e32 v4, 3, v4
	v_cndmask_b32_e32 v4, v14, v4, vcc_lo
	v_lshl_add_u32 v14, v15, 23, 0x37800000
	v_lshlrev_b32_e32 v4, 21, v4
	v_or3_b32 v4, v1, v14, v4
.LBB4_3957:                             ;   in Loop: Header=BB4_3887 Depth=4
	s_or_b32 exec_lo, exec_lo, s63
	v_mul_f32_e32 v1, v5, v4
	v_mov_b32_e32 v60, 0x80
	s_mov_b32 s63, exec_lo
	v_and_b32_e32 v4, 0x7f800000, v1
	v_cmpx_ne_u32_e32 0x7f800000, v4
	s_cbranch_execz .LBB4_3965
; %bb.3958:                             ;   in Loop: Header=BB4_3887 Depth=4
	v_mov_b32_e32 v60, 0
	s_mov_b32 s72, exec_lo
	v_cmpx_ne_u32_e32 0, v1
	s_cbranch_execz .LBB4_3964
; %bb.3959:                             ;   in Loop: Header=BB4_3887 Depth=4
	v_bfe_u32 v4, v1, 23, 8
	v_and_b32_e32 v14, 0x7fffff, v1
	v_sub_nc_u32_e32 v15, 0x70, v4
	v_cmp_gt_u32_e32 vcc_lo, 0x71, v4
	v_or_b32_e32 v17, 0x800000, v14
	v_cndmask_b32_e32 v15, 0, v15, vcc_lo
	v_cmp_eq_u32_e32 vcc_lo, 0, v4
	v_add_nc_u32_e32 v4, 0xffffff91, v4
	v_cndmask_b32_e64 v15, v15, 0x6f, vcc_lo
	v_cndmask_b32_e32 v14, v17, v14, vcc_lo
	v_cndmask_b32_e64 v4, v4, 0xffffff92, vcc_lo
	v_lshl_add_u32 v17, 0x200000, v15, -1
	v_lshrrev_b32_e32 v18, v15, v14
	v_lshlrev_b32_e64 v20, v15, 0x100000
	v_add_nc_u32_e32 v15, v15, v4
	v_and_b32_e32 v14, v17, v14
	v_bfe_u32 v19, v18, 21, 1
	v_cmp_eq_u32_e64 s16, v14, v20
	v_add_nc_u32_e32 v17, -1, v19
	v_cndmask_b32_e64 v14, 0, v17, s16
	v_lshrrev_b32_e32 v17, 23, v18
	s_mov_b32 s16, exec_lo
	v_add_nc_u32_e32 v14, v14, v18
	v_xor_b32_e32 v17, 1, v17
	v_and_b32_e32 v4, 0x1fffff, v14
	v_add_nc_u32_e32 v14, v4, v18
                                        ; implicit-def: $vgpr4
	v_cmpx_ne_u32_e64 v15, v17
	s_xor_b32 s16, exec_lo, s16
; %bb.3960:                             ;   in Loop: Header=BB4_3887 Depth=4
	v_cmp_lt_u32_e32 vcc_lo, 0xffffff, v14
	v_sub_nc_u32_e32 v4, v15, v17
	v_cndmask_b32_e64 v15, 0, 1, vcc_lo
	v_add_co_ci_u32_e64 v4, null, 0, v4, vcc_lo
	v_lshrrev_b32_e32 v14, v15, v14
; %bb.3961:                             ;   in Loop: Header=BB4_3887 Depth=4
	s_andn2_saveexec_b32 s16, s16
; %bb.3962:                             ;   in Loop: Header=BB4_3887 Depth=4
	v_bfe_u32 v4, v14, 23, 1
; %bb.3963:                             ;   in Loop: Header=BB4_3887 Depth=4
	s_or_b32 exec_lo, exec_lo, s16
	v_lshrrev_b32_e32 v14, 21, v14
	v_cmp_gt_i32_e32 vcc_lo, 32, v4
	v_min_i32_e32 v15, 31, v4
	v_and_b32_sdwa v1, v1, v101 dst_sel:DWORD dst_unused:UNUSED_PAD src0_sel:BYTE_3 src1_sel:DWORD
	v_cndmask_b32_e32 v14, 3, v14, vcc_lo
	v_lshlrev_b32_e32 v15, 2, v15
	v_and_b32_e32 v17, 3, v14
	v_or_b32_e32 v4, v4, v14
	v_or3_b32 v1, v15, v1, v17
	v_cmp_ne_u32_e32 vcc_lo, 0, v4
	v_cndmask_b32_e32 v60, 0, v1, vcc_lo
.LBB4_3964:                             ;   in Loop: Header=BB4_3887 Depth=4
	s_or_b32 exec_lo, exec_lo, s72
.LBB4_3965:                             ;   in Loop: Header=BB4_3887 Depth=4
	s_or_b32 exec_lo, exec_lo, s63
	flat_load_ubyte v1, v[8:9] offset:160 slc
	s_mov_b32 s16, 0
	s_mov_b32 s63, exec_lo
	s_waitcnt vmcnt(0) lgkmcnt(0)
	v_cmpx_lt_i16_e32 0x7f, v1
	s_xor_b32 s63, exec_lo, s63
	s_cbranch_execz .LBB4_4447
; %bb.3966:                             ;   in Loop: Header=BB4_3887 Depth=4
	s_mov_b32 s16, -1
	s_mov_b32 s72, exec_lo
	v_cmpx_eq_u16_e32 0x80, v1
; %bb.3967:                             ;   in Loop: Header=BB4_3887 Depth=4
	s_xor_b32 s16, exec_lo, -1
; %bb.3968:                             ;   in Loop: Header=BB4_3887 Depth=4
	s_or_b32 exec_lo, exec_lo, s72
	s_and_b32 s16, s16, exec_lo
	s_or_saveexec_b32 s63, s63
	v_mov_b32_e32 v4, 0x7f800001
	s_xor_b32 exec_lo, exec_lo, s63
	s_cbranch_execnz .LBB4_4448
.LBB4_3969:                             ;   in Loop: Header=BB4_3887 Depth=4
	s_or_b32 exec_lo, exec_lo, s63
	s_and_saveexec_b32 s63, s16
	s_cbranch_execz .LBB4_3971
.LBB4_3970:                             ;   in Loop: Header=BB4_3887 Depth=4
	v_and_b32_e32 v4, 0xffff, v1
	v_lshlrev_b32_e32 v1, 24, v1
	v_and_b32_e32 v14, 3, v4
	v_bfe_u32 v18, v4, 2, 5
	v_and_b32_e32 v1, 0x80000000, v1
	v_ffbh_u32_e32 v15, v14
	v_cmp_eq_u32_e32 vcc_lo, 0, v18
	v_min_u32_e32 v15, 32, v15
	v_subrev_nc_u32_e32 v17, 29, v15
	v_sub_nc_u32_e32 v15, 30, v15
	v_lshlrev_b32_e32 v4, v17, v4
	v_cndmask_b32_e32 v15, v18, v15, vcc_lo
	v_and_b32_e32 v4, 3, v4
	v_cndmask_b32_e32 v4, v14, v4, vcc_lo
	v_lshl_add_u32 v14, v15, 23, 0x37800000
	v_lshlrev_b32_e32 v4, 21, v4
	v_or3_b32 v4, v1, v14, v4
.LBB4_3971:                             ;   in Loop: Header=BB4_3887 Depth=4
	s_or_b32 exec_lo, exec_lo, s63
	v_mul_f32_e32 v1, v5, v4
	v_mov_b32_e32 v81, 0x80
	s_mov_b32 s63, exec_lo
	v_and_b32_e32 v4, 0x7f800000, v1
	v_cmpx_ne_u32_e32 0x7f800000, v4
	s_cbranch_execz .LBB4_3979
; %bb.3972:                             ;   in Loop: Header=BB4_3887 Depth=4
	v_mov_b32_e32 v81, 0
	s_mov_b32 s72, exec_lo
	v_cmpx_ne_u32_e32 0, v1
	s_cbranch_execz .LBB4_3978
; %bb.3973:                             ;   in Loop: Header=BB4_3887 Depth=4
	v_bfe_u32 v4, v1, 23, 8
	v_and_b32_e32 v14, 0x7fffff, v1
	v_sub_nc_u32_e32 v15, 0x70, v4
	v_cmp_gt_u32_e32 vcc_lo, 0x71, v4
	v_or_b32_e32 v17, 0x800000, v14
	v_cndmask_b32_e32 v15, 0, v15, vcc_lo
	v_cmp_eq_u32_e32 vcc_lo, 0, v4
	v_add_nc_u32_e32 v4, 0xffffff91, v4
	v_cndmask_b32_e64 v15, v15, 0x6f, vcc_lo
	v_cndmask_b32_e32 v14, v17, v14, vcc_lo
	v_cndmask_b32_e64 v4, v4, 0xffffff92, vcc_lo
	v_lshl_add_u32 v17, 0x200000, v15, -1
	v_lshrrev_b32_e32 v18, v15, v14
	v_lshlrev_b32_e64 v20, v15, 0x100000
	v_add_nc_u32_e32 v15, v15, v4
	v_and_b32_e32 v14, v17, v14
	v_bfe_u32 v19, v18, 21, 1
	v_cmp_eq_u32_e64 s16, v14, v20
	v_add_nc_u32_e32 v17, -1, v19
	v_cndmask_b32_e64 v14, 0, v17, s16
	v_lshrrev_b32_e32 v17, 23, v18
	s_mov_b32 s16, exec_lo
	v_add_nc_u32_e32 v14, v14, v18
	v_xor_b32_e32 v17, 1, v17
	v_and_b32_e32 v4, 0x1fffff, v14
	v_add_nc_u32_e32 v14, v4, v18
                                        ; implicit-def: $vgpr4
	v_cmpx_ne_u32_e64 v15, v17
	s_xor_b32 s16, exec_lo, s16
; %bb.3974:                             ;   in Loop: Header=BB4_3887 Depth=4
	v_cmp_lt_u32_e32 vcc_lo, 0xffffff, v14
	v_sub_nc_u32_e32 v4, v15, v17
	v_cndmask_b32_e64 v15, 0, 1, vcc_lo
	v_add_co_ci_u32_e64 v4, null, 0, v4, vcc_lo
	v_lshrrev_b32_e32 v14, v15, v14
; %bb.3975:                             ;   in Loop: Header=BB4_3887 Depth=4
	s_andn2_saveexec_b32 s16, s16
; %bb.3976:                             ;   in Loop: Header=BB4_3887 Depth=4
	v_bfe_u32 v4, v14, 23, 1
; %bb.3977:                             ;   in Loop: Header=BB4_3887 Depth=4
	s_or_b32 exec_lo, exec_lo, s16
	v_lshrrev_b32_e32 v14, 21, v14
	v_cmp_gt_i32_e32 vcc_lo, 32, v4
	v_min_i32_e32 v15, 31, v4
	v_and_b32_sdwa v1, v1, v101 dst_sel:DWORD dst_unused:UNUSED_PAD src0_sel:BYTE_3 src1_sel:DWORD
	v_cndmask_b32_e32 v14, 3, v14, vcc_lo
	v_lshlrev_b32_e32 v15, 2, v15
	v_and_b32_e32 v17, 3, v14
	v_or_b32_e32 v4, v4, v14
	v_or3_b32 v1, v15, v1, v17
	v_cmp_ne_u32_e32 vcc_lo, 0, v4
	v_cndmask_b32_e32 v81, 0, v1, vcc_lo
.LBB4_3978:                             ;   in Loop: Header=BB4_3887 Depth=4
	s_or_b32 exec_lo, exec_lo, s72
.LBB4_3979:                             ;   in Loop: Header=BB4_3887 Depth=4
	s_or_b32 exec_lo, exec_lo, s63
	flat_load_ubyte v1, v[8:9] offset:192 slc
	s_mov_b32 s16, 0
	s_mov_b32 s63, exec_lo
	s_waitcnt vmcnt(0) lgkmcnt(0)
	v_cmpx_lt_i16_e32 0x7f, v1
	s_xor_b32 s63, exec_lo, s63
	s_cbranch_execz .LBB4_4449
; %bb.3980:                             ;   in Loop: Header=BB4_3887 Depth=4
	s_mov_b32 s16, -1
	s_mov_b32 s72, exec_lo
	v_cmpx_eq_u16_e32 0x80, v1
; %bb.3981:                             ;   in Loop: Header=BB4_3887 Depth=4
	s_xor_b32 s16, exec_lo, -1
; %bb.3982:                             ;   in Loop: Header=BB4_3887 Depth=4
	s_or_b32 exec_lo, exec_lo, s72
	s_and_b32 s16, s16, exec_lo
	s_or_saveexec_b32 s63, s63
	v_mov_b32_e32 v4, 0x7f800001
	s_xor_b32 exec_lo, exec_lo, s63
	s_cbranch_execnz .LBB4_4450
.LBB4_3983:                             ;   in Loop: Header=BB4_3887 Depth=4
	s_or_b32 exec_lo, exec_lo, s63
	s_and_saveexec_b32 s63, s16
	s_cbranch_execz .LBB4_3985
.LBB4_3984:                             ;   in Loop: Header=BB4_3887 Depth=4
	v_and_b32_e32 v4, 0xffff, v1
	v_lshlrev_b32_e32 v1, 24, v1
	v_and_b32_e32 v14, 3, v4
	v_bfe_u32 v18, v4, 2, 5
	v_and_b32_e32 v1, 0x80000000, v1
	v_ffbh_u32_e32 v15, v14
	v_cmp_eq_u32_e32 vcc_lo, 0, v18
	v_min_u32_e32 v15, 32, v15
	v_subrev_nc_u32_e32 v17, 29, v15
	v_sub_nc_u32_e32 v15, 30, v15
	v_lshlrev_b32_e32 v4, v17, v4
	v_cndmask_b32_e32 v15, v18, v15, vcc_lo
	v_and_b32_e32 v4, 3, v4
	v_cndmask_b32_e32 v4, v14, v4, vcc_lo
	v_lshl_add_u32 v14, v15, 23, 0x37800000
	v_lshlrev_b32_e32 v4, 21, v4
	v_or3_b32 v4, v1, v14, v4
.LBB4_3985:                             ;   in Loop: Header=BB4_3887 Depth=4
	s_or_b32 exec_lo, exec_lo, s63
	v_mul_f32_e32 v1, v5, v4
	v_mov_b32_e32 v66, 0x80
	s_mov_b32 s63, exec_lo
	v_and_b32_e32 v4, 0x7f800000, v1
	v_cmpx_ne_u32_e32 0x7f800000, v4
	s_cbranch_execz .LBB4_3993
; %bb.3986:                             ;   in Loop: Header=BB4_3887 Depth=4
	v_mov_b32_e32 v66, 0
	s_mov_b32 s72, exec_lo
	v_cmpx_ne_u32_e32 0, v1
	s_cbranch_execz .LBB4_3992
; %bb.3987:                             ;   in Loop: Header=BB4_3887 Depth=4
	v_bfe_u32 v4, v1, 23, 8
	v_and_b32_e32 v14, 0x7fffff, v1
	v_sub_nc_u32_e32 v15, 0x70, v4
	v_cmp_gt_u32_e32 vcc_lo, 0x71, v4
	v_or_b32_e32 v17, 0x800000, v14
	v_cndmask_b32_e32 v15, 0, v15, vcc_lo
	v_cmp_eq_u32_e32 vcc_lo, 0, v4
	v_add_nc_u32_e32 v4, 0xffffff91, v4
	v_cndmask_b32_e64 v15, v15, 0x6f, vcc_lo
	v_cndmask_b32_e32 v14, v17, v14, vcc_lo
	v_cndmask_b32_e64 v4, v4, 0xffffff92, vcc_lo
	v_lshl_add_u32 v17, 0x200000, v15, -1
	v_lshrrev_b32_e32 v18, v15, v14
	v_lshlrev_b32_e64 v20, v15, 0x100000
	v_add_nc_u32_e32 v15, v15, v4
	v_and_b32_e32 v14, v17, v14
	v_bfe_u32 v19, v18, 21, 1
	v_cmp_eq_u32_e64 s16, v14, v20
	v_add_nc_u32_e32 v17, -1, v19
	v_cndmask_b32_e64 v14, 0, v17, s16
	v_lshrrev_b32_e32 v17, 23, v18
	s_mov_b32 s16, exec_lo
	v_add_nc_u32_e32 v14, v14, v18
	v_xor_b32_e32 v17, 1, v17
	v_and_b32_e32 v4, 0x1fffff, v14
	v_add_nc_u32_e32 v14, v4, v18
                                        ; implicit-def: $vgpr4
	v_cmpx_ne_u32_e64 v15, v17
	s_xor_b32 s16, exec_lo, s16
; %bb.3988:                             ;   in Loop: Header=BB4_3887 Depth=4
	v_cmp_lt_u32_e32 vcc_lo, 0xffffff, v14
	v_sub_nc_u32_e32 v4, v15, v17
	v_cndmask_b32_e64 v15, 0, 1, vcc_lo
	v_add_co_ci_u32_e64 v4, null, 0, v4, vcc_lo
	v_lshrrev_b32_e32 v14, v15, v14
; %bb.3989:                             ;   in Loop: Header=BB4_3887 Depth=4
	s_andn2_saveexec_b32 s16, s16
; %bb.3990:                             ;   in Loop: Header=BB4_3887 Depth=4
	v_bfe_u32 v4, v14, 23, 1
; %bb.3991:                             ;   in Loop: Header=BB4_3887 Depth=4
	s_or_b32 exec_lo, exec_lo, s16
	v_lshrrev_b32_e32 v14, 21, v14
	v_cmp_gt_i32_e32 vcc_lo, 32, v4
	v_min_i32_e32 v15, 31, v4
	v_and_b32_sdwa v1, v1, v101 dst_sel:DWORD dst_unused:UNUSED_PAD src0_sel:BYTE_3 src1_sel:DWORD
	v_cndmask_b32_e32 v14, 3, v14, vcc_lo
	v_lshlrev_b32_e32 v15, 2, v15
	v_and_b32_e32 v17, 3, v14
	v_or_b32_e32 v4, v4, v14
	v_or3_b32 v1, v15, v1, v17
	v_cmp_ne_u32_e32 vcc_lo, 0, v4
	v_cndmask_b32_e32 v66, 0, v1, vcc_lo
.LBB4_3992:                             ;   in Loop: Header=BB4_3887 Depth=4
	s_or_b32 exec_lo, exec_lo, s72
.LBB4_3993:                             ;   in Loop: Header=BB4_3887 Depth=4
	s_or_b32 exec_lo, exec_lo, s63
	flat_load_ubyte v1, v[8:9] offset:224 slc
	s_mov_b32 s16, 0
	s_mov_b32 s63, exec_lo
	s_waitcnt vmcnt(0) lgkmcnt(0)
	v_cmpx_lt_i16_e32 0x7f, v1
	s_xor_b32 s63, exec_lo, s63
	s_cbranch_execz .LBB4_4451
; %bb.3994:                             ;   in Loop: Header=BB4_3887 Depth=4
	s_mov_b32 s16, -1
	s_mov_b32 s72, exec_lo
	v_cmpx_eq_u16_e32 0x80, v1
; %bb.3995:                             ;   in Loop: Header=BB4_3887 Depth=4
	s_xor_b32 s16, exec_lo, -1
; %bb.3996:                             ;   in Loop: Header=BB4_3887 Depth=4
	s_or_b32 exec_lo, exec_lo, s72
	s_and_b32 s16, s16, exec_lo
	s_or_saveexec_b32 s63, s63
	v_mov_b32_e32 v4, 0x7f800001
	s_xor_b32 exec_lo, exec_lo, s63
	s_cbranch_execnz .LBB4_4452
.LBB4_3997:                             ;   in Loop: Header=BB4_3887 Depth=4
	s_or_b32 exec_lo, exec_lo, s63
	s_and_saveexec_b32 s63, s16
	s_cbranch_execz .LBB4_3999
.LBB4_3998:                             ;   in Loop: Header=BB4_3887 Depth=4
	v_and_b32_e32 v4, 0xffff, v1
	v_lshlrev_b32_e32 v1, 24, v1
	v_and_b32_e32 v14, 3, v4
	v_bfe_u32 v18, v4, 2, 5
	v_and_b32_e32 v1, 0x80000000, v1
	v_ffbh_u32_e32 v15, v14
	v_cmp_eq_u32_e32 vcc_lo, 0, v18
	v_min_u32_e32 v15, 32, v15
	v_subrev_nc_u32_e32 v17, 29, v15
	v_sub_nc_u32_e32 v15, 30, v15
	v_lshlrev_b32_e32 v4, v17, v4
	v_cndmask_b32_e32 v15, v18, v15, vcc_lo
	v_and_b32_e32 v4, 3, v4
	v_cndmask_b32_e32 v4, v14, v4, vcc_lo
	v_lshl_add_u32 v14, v15, 23, 0x37800000
	v_lshlrev_b32_e32 v4, 21, v4
	v_or3_b32 v4, v1, v14, v4
.LBB4_3999:                             ;   in Loop: Header=BB4_3887 Depth=4
	s_or_b32 exec_lo, exec_lo, s63
	v_mul_f32_e32 v1, v5, v4
	v_mov_b32_e32 v65, 0x80
	s_mov_b32 s63, exec_lo
	v_and_b32_e32 v4, 0x7f800000, v1
	v_cmpx_ne_u32_e32 0x7f800000, v4
	s_cbranch_execz .LBB4_4007
; %bb.4000:                             ;   in Loop: Header=BB4_3887 Depth=4
	v_mov_b32_e32 v65, 0
	s_mov_b32 s72, exec_lo
	v_cmpx_ne_u32_e32 0, v1
	s_cbranch_execz .LBB4_4006
; %bb.4001:                             ;   in Loop: Header=BB4_3887 Depth=4
	v_bfe_u32 v4, v1, 23, 8
	v_and_b32_e32 v14, 0x7fffff, v1
	v_sub_nc_u32_e32 v15, 0x70, v4
	v_cmp_gt_u32_e32 vcc_lo, 0x71, v4
	v_or_b32_e32 v17, 0x800000, v14
	v_cndmask_b32_e32 v15, 0, v15, vcc_lo
	v_cmp_eq_u32_e32 vcc_lo, 0, v4
	v_add_nc_u32_e32 v4, 0xffffff91, v4
	v_cndmask_b32_e64 v15, v15, 0x6f, vcc_lo
	v_cndmask_b32_e32 v14, v17, v14, vcc_lo
	v_cndmask_b32_e64 v4, v4, 0xffffff92, vcc_lo
	v_lshl_add_u32 v17, 0x200000, v15, -1
	v_lshrrev_b32_e32 v18, v15, v14
	v_lshlrev_b32_e64 v20, v15, 0x100000
	v_add_nc_u32_e32 v15, v15, v4
	v_and_b32_e32 v14, v17, v14
	v_bfe_u32 v19, v18, 21, 1
	v_cmp_eq_u32_e64 s16, v14, v20
	v_add_nc_u32_e32 v17, -1, v19
	v_cndmask_b32_e64 v14, 0, v17, s16
	v_lshrrev_b32_e32 v17, 23, v18
	s_mov_b32 s16, exec_lo
	v_add_nc_u32_e32 v14, v14, v18
	v_xor_b32_e32 v17, 1, v17
	v_and_b32_e32 v4, 0x1fffff, v14
	v_add_nc_u32_e32 v14, v4, v18
                                        ; implicit-def: $vgpr4
	v_cmpx_ne_u32_e64 v15, v17
	s_xor_b32 s16, exec_lo, s16
; %bb.4002:                             ;   in Loop: Header=BB4_3887 Depth=4
	v_cmp_lt_u32_e32 vcc_lo, 0xffffff, v14
	v_sub_nc_u32_e32 v4, v15, v17
	v_cndmask_b32_e64 v15, 0, 1, vcc_lo
	v_add_co_ci_u32_e64 v4, null, 0, v4, vcc_lo
	v_lshrrev_b32_e32 v14, v15, v14
; %bb.4003:                             ;   in Loop: Header=BB4_3887 Depth=4
	s_andn2_saveexec_b32 s16, s16
; %bb.4004:                             ;   in Loop: Header=BB4_3887 Depth=4
	v_bfe_u32 v4, v14, 23, 1
; %bb.4005:                             ;   in Loop: Header=BB4_3887 Depth=4
	s_or_b32 exec_lo, exec_lo, s16
	v_lshrrev_b32_e32 v14, 21, v14
	v_cmp_gt_i32_e32 vcc_lo, 32, v4
	v_min_i32_e32 v15, 31, v4
	v_and_b32_sdwa v1, v1, v101 dst_sel:DWORD dst_unused:UNUSED_PAD src0_sel:BYTE_3 src1_sel:DWORD
	v_cndmask_b32_e32 v14, 3, v14, vcc_lo
	v_lshlrev_b32_e32 v15, 2, v15
	v_and_b32_e32 v17, 3, v14
	v_or_b32_e32 v4, v4, v14
	v_or3_b32 v1, v15, v1, v17
	v_cmp_ne_u32_e32 vcc_lo, 0, v4
	v_cndmask_b32_e32 v65, 0, v1, vcc_lo
.LBB4_4006:                             ;   in Loop: Header=BB4_3887 Depth=4
	s_or_b32 exec_lo, exec_lo, s72
.LBB4_4007:                             ;   in Loop: Header=BB4_3887 Depth=4
	s_or_b32 exec_lo, exec_lo, s63
	flat_load_ubyte v1, v[8:9] offset:256 slc
	s_mov_b32 s16, 0
	s_mov_b32 s63, exec_lo
	s_waitcnt vmcnt(0) lgkmcnt(0)
	v_cmpx_lt_i16_e32 0x7f, v1
	s_xor_b32 s63, exec_lo, s63
	s_cbranch_execz .LBB4_4453
; %bb.4008:                             ;   in Loop: Header=BB4_3887 Depth=4
	s_mov_b32 s16, -1
	s_mov_b32 s72, exec_lo
	v_cmpx_eq_u16_e32 0x80, v1
; %bb.4009:                             ;   in Loop: Header=BB4_3887 Depth=4
	s_xor_b32 s16, exec_lo, -1
; %bb.4010:                             ;   in Loop: Header=BB4_3887 Depth=4
	s_or_b32 exec_lo, exec_lo, s72
	s_and_b32 s16, s16, exec_lo
	s_or_saveexec_b32 s63, s63
	v_mov_b32_e32 v4, 0x7f800001
	s_xor_b32 exec_lo, exec_lo, s63
	s_cbranch_execnz .LBB4_4454
.LBB4_4011:                             ;   in Loop: Header=BB4_3887 Depth=4
	s_or_b32 exec_lo, exec_lo, s63
	s_and_saveexec_b32 s63, s16
	s_cbranch_execz .LBB4_4013
.LBB4_4012:                             ;   in Loop: Header=BB4_3887 Depth=4
	v_and_b32_e32 v4, 0xffff, v1
	v_lshlrev_b32_e32 v1, 24, v1
	v_and_b32_e32 v14, 3, v4
	v_bfe_u32 v18, v4, 2, 5
	v_and_b32_e32 v1, 0x80000000, v1
	v_ffbh_u32_e32 v15, v14
	v_cmp_eq_u32_e32 vcc_lo, 0, v18
	v_min_u32_e32 v15, 32, v15
	v_subrev_nc_u32_e32 v17, 29, v15
	v_sub_nc_u32_e32 v15, 30, v15
	v_lshlrev_b32_e32 v4, v17, v4
	v_cndmask_b32_e32 v15, v18, v15, vcc_lo
	v_and_b32_e32 v4, 3, v4
	v_cndmask_b32_e32 v4, v14, v4, vcc_lo
	v_lshl_add_u32 v14, v15, 23, 0x37800000
	v_lshlrev_b32_e32 v4, 21, v4
	v_or3_b32 v4, v1, v14, v4
.LBB4_4013:                             ;   in Loop: Header=BB4_3887 Depth=4
	s_or_b32 exec_lo, exec_lo, s63
	v_mul_f32_e32 v1, v5, v4
	v_mov_b32_e32 v37, 0x80
	s_mov_b32 s63, exec_lo
	v_and_b32_e32 v4, 0x7f800000, v1
	v_cmpx_ne_u32_e32 0x7f800000, v4
	s_cbranch_execz .LBB4_4021
; %bb.4014:                             ;   in Loop: Header=BB4_3887 Depth=4
	v_mov_b32_e32 v37, 0
	s_mov_b32 s72, exec_lo
	v_cmpx_ne_u32_e32 0, v1
	s_cbranch_execz .LBB4_4020
; %bb.4015:                             ;   in Loop: Header=BB4_3887 Depth=4
	v_bfe_u32 v4, v1, 23, 8
	v_and_b32_e32 v14, 0x7fffff, v1
	v_sub_nc_u32_e32 v15, 0x70, v4
	v_cmp_gt_u32_e32 vcc_lo, 0x71, v4
	v_or_b32_e32 v17, 0x800000, v14
	v_cndmask_b32_e32 v15, 0, v15, vcc_lo
	v_cmp_eq_u32_e32 vcc_lo, 0, v4
	v_add_nc_u32_e32 v4, 0xffffff91, v4
	v_cndmask_b32_e64 v15, v15, 0x6f, vcc_lo
	v_cndmask_b32_e32 v14, v17, v14, vcc_lo
	v_cndmask_b32_e64 v4, v4, 0xffffff92, vcc_lo
	v_lshl_add_u32 v17, 0x200000, v15, -1
	v_lshrrev_b32_e32 v18, v15, v14
	v_lshlrev_b32_e64 v20, v15, 0x100000
	v_add_nc_u32_e32 v15, v15, v4
	v_and_b32_e32 v14, v17, v14
	v_bfe_u32 v19, v18, 21, 1
	v_cmp_eq_u32_e64 s16, v14, v20
	v_add_nc_u32_e32 v17, -1, v19
	v_cndmask_b32_e64 v14, 0, v17, s16
	v_lshrrev_b32_e32 v17, 23, v18
	s_mov_b32 s16, exec_lo
	v_add_nc_u32_e32 v14, v14, v18
	v_xor_b32_e32 v17, 1, v17
	v_and_b32_e32 v4, 0x1fffff, v14
	v_add_nc_u32_e32 v14, v4, v18
                                        ; implicit-def: $vgpr4
	v_cmpx_ne_u32_e64 v15, v17
	s_xor_b32 s16, exec_lo, s16
; %bb.4016:                             ;   in Loop: Header=BB4_3887 Depth=4
	v_cmp_lt_u32_e32 vcc_lo, 0xffffff, v14
	v_sub_nc_u32_e32 v4, v15, v17
	v_cndmask_b32_e64 v15, 0, 1, vcc_lo
	v_add_co_ci_u32_e64 v4, null, 0, v4, vcc_lo
	v_lshrrev_b32_e32 v14, v15, v14
; %bb.4017:                             ;   in Loop: Header=BB4_3887 Depth=4
	s_andn2_saveexec_b32 s16, s16
; %bb.4018:                             ;   in Loop: Header=BB4_3887 Depth=4
	v_bfe_u32 v4, v14, 23, 1
; %bb.4019:                             ;   in Loop: Header=BB4_3887 Depth=4
	s_or_b32 exec_lo, exec_lo, s16
	v_lshrrev_b32_e32 v14, 21, v14
	v_cmp_gt_i32_e32 vcc_lo, 32, v4
	v_min_i32_e32 v15, 31, v4
	v_and_b32_sdwa v1, v1, v101 dst_sel:DWORD dst_unused:UNUSED_PAD src0_sel:BYTE_3 src1_sel:DWORD
	v_cndmask_b32_e32 v14, 3, v14, vcc_lo
	v_lshlrev_b32_e32 v15, 2, v15
	v_and_b32_e32 v17, 3, v14
	v_or_b32_e32 v4, v4, v14
	v_or3_b32 v1, v15, v1, v17
	v_cmp_ne_u32_e32 vcc_lo, 0, v4
	v_cndmask_b32_e32 v37, 0, v1, vcc_lo
.LBB4_4020:                             ;   in Loop: Header=BB4_3887 Depth=4
	s_or_b32 exec_lo, exec_lo, s72
.LBB4_4021:                             ;   in Loop: Header=BB4_3887 Depth=4
	s_or_b32 exec_lo, exec_lo, s63
	flat_load_ubyte v1, v[8:9] offset:288 slc
	s_mov_b32 s16, 0
	s_mov_b32 s63, exec_lo
	s_waitcnt vmcnt(0) lgkmcnt(0)
	v_cmpx_lt_i16_e32 0x7f, v1
	s_xor_b32 s63, exec_lo, s63
	s_cbranch_execz .LBB4_4455
; %bb.4022:                             ;   in Loop: Header=BB4_3887 Depth=4
	s_mov_b32 s16, -1
	s_mov_b32 s72, exec_lo
	v_cmpx_eq_u16_e32 0x80, v1
; %bb.4023:                             ;   in Loop: Header=BB4_3887 Depth=4
	s_xor_b32 s16, exec_lo, -1
; %bb.4024:                             ;   in Loop: Header=BB4_3887 Depth=4
	s_or_b32 exec_lo, exec_lo, s72
	s_and_b32 s16, s16, exec_lo
	s_or_saveexec_b32 s63, s63
	v_mov_b32_e32 v4, 0x7f800001
	s_xor_b32 exec_lo, exec_lo, s63
	s_cbranch_execnz .LBB4_4456
.LBB4_4025:                             ;   in Loop: Header=BB4_3887 Depth=4
	s_or_b32 exec_lo, exec_lo, s63
	s_and_saveexec_b32 s63, s16
	s_cbranch_execz .LBB4_4027
.LBB4_4026:                             ;   in Loop: Header=BB4_3887 Depth=4
	v_and_b32_e32 v4, 0xffff, v1
	v_lshlrev_b32_e32 v1, 24, v1
	v_and_b32_e32 v14, 3, v4
	v_bfe_u32 v18, v4, 2, 5
	v_and_b32_e32 v1, 0x80000000, v1
	v_ffbh_u32_e32 v15, v14
	v_cmp_eq_u32_e32 vcc_lo, 0, v18
	v_min_u32_e32 v15, 32, v15
	v_subrev_nc_u32_e32 v17, 29, v15
	v_sub_nc_u32_e32 v15, 30, v15
	v_lshlrev_b32_e32 v4, v17, v4
	v_cndmask_b32_e32 v15, v18, v15, vcc_lo
	v_and_b32_e32 v4, 3, v4
	v_cndmask_b32_e32 v4, v14, v4, vcc_lo
	v_lshl_add_u32 v14, v15, 23, 0x37800000
	v_lshlrev_b32_e32 v4, 21, v4
	v_or3_b32 v4, v1, v14, v4
.LBB4_4027:                             ;   in Loop: Header=BB4_3887 Depth=4
	s_or_b32 exec_lo, exec_lo, s63
	v_mul_f32_e32 v1, v5, v4
	v_and_b32_e32 v4, 0x7f800000, v1
	v_cmp_ne_u32_e32 vcc_lo, 0x7f800000, v4
	v_mov_b32_e32 v4, 0x80
	s_and_saveexec_b32 s63, vcc_lo
	s_cbranch_execz .LBB4_4035
; %bb.4028:                             ;   in Loop: Header=BB4_3887 Depth=4
	v_mov_b32_e32 v4, 0
	s_mov_b32 s72, exec_lo
	v_cmpx_ne_u32_e32 0, v1
	s_cbranch_execz .LBB4_4034
; %bb.4029:                             ;   in Loop: Header=BB4_3887 Depth=4
	v_bfe_u32 v4, v1, 23, 8
	v_and_b32_e32 v14, 0x7fffff, v1
	v_sub_nc_u32_e32 v15, 0x70, v4
	v_cmp_gt_u32_e32 vcc_lo, 0x71, v4
	v_or_b32_e32 v17, 0x800000, v14
	v_cndmask_b32_e32 v15, 0, v15, vcc_lo
	v_cmp_eq_u32_e32 vcc_lo, 0, v4
	v_add_nc_u32_e32 v4, 0xffffff91, v4
	v_cndmask_b32_e64 v15, v15, 0x6f, vcc_lo
	v_cndmask_b32_e32 v14, v17, v14, vcc_lo
	v_cndmask_b32_e64 v4, v4, 0xffffff92, vcc_lo
	v_lshl_add_u32 v17, 0x200000, v15, -1
	v_lshrrev_b32_e32 v18, v15, v14
	v_lshlrev_b32_e64 v20, v15, 0x100000
	v_add_nc_u32_e32 v15, v15, v4
	v_and_b32_e32 v14, v17, v14
	v_bfe_u32 v19, v18, 21, 1
	v_cmp_eq_u32_e64 s16, v14, v20
	v_add_nc_u32_e32 v17, -1, v19
	v_cndmask_b32_e64 v14, 0, v17, s16
	v_lshrrev_b32_e32 v17, 23, v18
	s_mov_b32 s16, exec_lo
	v_add_nc_u32_e32 v14, v14, v18
	v_xor_b32_e32 v17, 1, v17
	v_and_b32_e32 v4, 0x1fffff, v14
	v_add_nc_u32_e32 v14, v4, v18
                                        ; implicit-def: $vgpr4
	v_cmpx_ne_u32_e64 v15, v17
	s_xor_b32 s16, exec_lo, s16
; %bb.4030:                             ;   in Loop: Header=BB4_3887 Depth=4
	v_cmp_lt_u32_e32 vcc_lo, 0xffffff, v14
	v_sub_nc_u32_e32 v4, v15, v17
	v_cndmask_b32_e64 v15, 0, 1, vcc_lo
	v_add_co_ci_u32_e64 v4, null, 0, v4, vcc_lo
	v_lshrrev_b32_e32 v14, v15, v14
; %bb.4031:                             ;   in Loop: Header=BB4_3887 Depth=4
	s_andn2_saveexec_b32 s16, s16
; %bb.4032:                             ;   in Loop: Header=BB4_3887 Depth=4
	v_bfe_u32 v4, v14, 23, 1
; %bb.4033:                             ;   in Loop: Header=BB4_3887 Depth=4
	s_or_b32 exec_lo, exec_lo, s16
	v_lshrrev_b32_e32 v14, 21, v14
	v_cmp_gt_i32_e32 vcc_lo, 32, v4
	v_min_i32_e32 v15, 31, v4
	v_and_b32_sdwa v1, v1, v101 dst_sel:DWORD dst_unused:UNUSED_PAD src0_sel:BYTE_3 src1_sel:DWORD
	v_cndmask_b32_e32 v14, 3, v14, vcc_lo
	v_lshlrev_b32_e32 v15, 2, v15
	v_and_b32_e32 v17, 3, v14
	v_or_b32_e32 v4, v4, v14
	v_or3_b32 v1, v15, v1, v17
	v_cmp_ne_u32_e32 vcc_lo, 0, v4
	v_cndmask_b32_e32 v4, 0, v1, vcc_lo
.LBB4_4034:                             ;   in Loop: Header=BB4_3887 Depth=4
	s_or_b32 exec_lo, exec_lo, s72
.LBB4_4035:                             ;   in Loop: Header=BB4_3887 Depth=4
	s_or_b32 exec_lo, exec_lo, s63
	flat_load_ubyte v1, v[8:9] offset:320 slc
	s_mov_b32 s16, 0
	s_mov_b32 s63, exec_lo
	s_waitcnt vmcnt(0) lgkmcnt(0)
	v_cmpx_lt_i16_e32 0x7f, v1
	s_xor_b32 s63, exec_lo, s63
	s_cbranch_execz .LBB4_4457
; %bb.4036:                             ;   in Loop: Header=BB4_3887 Depth=4
	s_mov_b32 s16, -1
	s_mov_b32 s72, exec_lo
	v_cmpx_eq_u16_e32 0x80, v1
; %bb.4037:                             ;   in Loop: Header=BB4_3887 Depth=4
	s_xor_b32 s16, exec_lo, -1
; %bb.4038:                             ;   in Loop: Header=BB4_3887 Depth=4
	s_or_b32 exec_lo, exec_lo, s72
	s_and_b32 s16, s16, exec_lo
	s_or_saveexec_b32 s63, s63
	v_mov_b32_e32 v14, 0x7f800001
	s_xor_b32 exec_lo, exec_lo, s63
	s_cbranch_execnz .LBB4_4458
.LBB4_4039:                             ;   in Loop: Header=BB4_3887 Depth=4
	s_or_b32 exec_lo, exec_lo, s63
	s_and_saveexec_b32 s63, s16
	s_cbranch_execz .LBB4_4041
.LBB4_4040:                             ;   in Loop: Header=BB4_3887 Depth=4
	v_and_b32_e32 v14, 0xffff, v1
	v_lshlrev_b32_e32 v1, 24, v1
	v_and_b32_e32 v15, 3, v14
	v_bfe_u32 v19, v14, 2, 5
	v_and_b32_e32 v1, 0x80000000, v1
	v_ffbh_u32_e32 v17, v15
	v_cmp_eq_u32_e32 vcc_lo, 0, v19
	v_min_u32_e32 v17, 32, v17
	v_subrev_nc_u32_e32 v18, 29, v17
	v_sub_nc_u32_e32 v17, 30, v17
	v_lshlrev_b32_e32 v14, v18, v14
	v_cndmask_b32_e32 v17, v19, v17, vcc_lo
	v_and_b32_e32 v14, 3, v14
	v_cndmask_b32_e32 v14, v15, v14, vcc_lo
	v_lshl_add_u32 v15, v17, 23, 0x37800000
	v_lshlrev_b32_e32 v14, 21, v14
	v_or3_b32 v14, v1, v15, v14
.LBB4_4041:                             ;   in Loop: Header=BB4_3887 Depth=4
	s_or_b32 exec_lo, exec_lo, s63
	v_mul_f32_e32 v1, v5, v14
	v_mov_b32_e32 v36, 0x80
	s_mov_b32 s63, exec_lo
	v_and_b32_e32 v14, 0x7f800000, v1
	v_cmpx_ne_u32_e32 0x7f800000, v14
	s_cbranch_execz .LBB4_4049
; %bb.4042:                             ;   in Loop: Header=BB4_3887 Depth=4
	v_mov_b32_e32 v36, 0
	s_mov_b32 s72, exec_lo
	v_cmpx_ne_u32_e32 0, v1
	s_cbranch_execz .LBB4_4048
; %bb.4043:                             ;   in Loop: Header=BB4_3887 Depth=4
	v_bfe_u32 v14, v1, 23, 8
	v_and_b32_e32 v15, 0x7fffff, v1
	v_sub_nc_u32_e32 v17, 0x70, v14
	v_cmp_gt_u32_e32 vcc_lo, 0x71, v14
	v_or_b32_e32 v18, 0x800000, v15
	v_cndmask_b32_e32 v17, 0, v17, vcc_lo
	v_cmp_eq_u32_e32 vcc_lo, 0, v14
	v_add_nc_u32_e32 v14, 0xffffff91, v14
	v_cndmask_b32_e64 v17, v17, 0x6f, vcc_lo
	v_cndmask_b32_e32 v15, v18, v15, vcc_lo
	v_cndmask_b32_e64 v14, v14, 0xffffff92, vcc_lo
	v_lshl_add_u32 v18, 0x200000, v17, -1
	v_lshrrev_b32_e32 v19, v17, v15
	v_lshlrev_b32_e64 v21, v17, 0x100000
	v_add_nc_u32_e32 v17, v17, v14
	v_and_b32_e32 v15, v18, v15
	v_bfe_u32 v20, v19, 21, 1
	v_cmp_eq_u32_e64 s16, v15, v21
	v_add_nc_u32_e32 v18, -1, v20
	v_cndmask_b32_e64 v15, 0, v18, s16
	v_lshrrev_b32_e32 v18, 23, v19
	s_mov_b32 s16, exec_lo
	v_add_nc_u32_e32 v15, v15, v19
	v_xor_b32_e32 v18, 1, v18
	v_and_b32_e32 v14, 0x1fffff, v15
	v_add_nc_u32_e32 v15, v14, v19
                                        ; implicit-def: $vgpr14
	v_cmpx_ne_u32_e64 v17, v18
	s_xor_b32 s16, exec_lo, s16
; %bb.4044:                             ;   in Loop: Header=BB4_3887 Depth=4
	v_cmp_lt_u32_e32 vcc_lo, 0xffffff, v15
	v_sub_nc_u32_e32 v14, v17, v18
	v_cndmask_b32_e64 v17, 0, 1, vcc_lo
	v_add_co_ci_u32_e64 v14, null, 0, v14, vcc_lo
	v_lshrrev_b32_e32 v15, v17, v15
; %bb.4045:                             ;   in Loop: Header=BB4_3887 Depth=4
	s_andn2_saveexec_b32 s16, s16
; %bb.4046:                             ;   in Loop: Header=BB4_3887 Depth=4
	v_bfe_u32 v14, v15, 23, 1
; %bb.4047:                             ;   in Loop: Header=BB4_3887 Depth=4
	s_or_b32 exec_lo, exec_lo, s16
	v_lshrrev_b32_e32 v15, 21, v15
	v_cmp_gt_i32_e32 vcc_lo, 32, v14
	v_min_i32_e32 v17, 31, v14
	v_and_b32_sdwa v1, v1, v101 dst_sel:DWORD dst_unused:UNUSED_PAD src0_sel:BYTE_3 src1_sel:DWORD
	v_cndmask_b32_e32 v15, 3, v15, vcc_lo
	v_lshlrev_b32_e32 v17, 2, v17
	v_and_b32_e32 v18, 3, v15
	v_or_b32_e32 v14, v14, v15
	v_or3_b32 v1, v17, v1, v18
	v_cmp_ne_u32_e32 vcc_lo, 0, v14
	v_cndmask_b32_e32 v36, 0, v1, vcc_lo
.LBB4_4048:                             ;   in Loop: Header=BB4_3887 Depth=4
	s_or_b32 exec_lo, exec_lo, s72
.LBB4_4049:                             ;   in Loop: Header=BB4_3887 Depth=4
	s_or_b32 exec_lo, exec_lo, s63
	flat_load_ubyte v1, v[8:9] offset:352 slc
	s_mov_b32 s16, 0
	s_mov_b32 s63, exec_lo
	s_waitcnt vmcnt(0) lgkmcnt(0)
	v_cmpx_lt_i16_e32 0x7f, v1
	s_xor_b32 s63, exec_lo, s63
	s_cbranch_execz .LBB4_4459
; %bb.4050:                             ;   in Loop: Header=BB4_3887 Depth=4
	s_mov_b32 s16, -1
	s_mov_b32 s72, exec_lo
	v_cmpx_eq_u16_e32 0x80, v1
; %bb.4051:                             ;   in Loop: Header=BB4_3887 Depth=4
	s_xor_b32 s16, exec_lo, -1
; %bb.4052:                             ;   in Loop: Header=BB4_3887 Depth=4
	s_or_b32 exec_lo, exec_lo, s72
	s_and_b32 s16, s16, exec_lo
	s_or_saveexec_b32 s63, s63
	v_mov_b32_e32 v14, 0x7f800001
	s_xor_b32 exec_lo, exec_lo, s63
	s_cbranch_execnz .LBB4_4460
.LBB4_4053:                             ;   in Loop: Header=BB4_3887 Depth=4
	s_or_b32 exec_lo, exec_lo, s63
	s_and_saveexec_b32 s63, s16
	s_cbranch_execz .LBB4_4055
.LBB4_4054:                             ;   in Loop: Header=BB4_3887 Depth=4
	v_and_b32_e32 v14, 0xffff, v1
	v_lshlrev_b32_e32 v1, 24, v1
	v_and_b32_e32 v15, 3, v14
	v_bfe_u32 v19, v14, 2, 5
	v_and_b32_e32 v1, 0x80000000, v1
	v_ffbh_u32_e32 v17, v15
	v_cmp_eq_u32_e32 vcc_lo, 0, v19
	v_min_u32_e32 v17, 32, v17
	v_subrev_nc_u32_e32 v18, 29, v17
	v_sub_nc_u32_e32 v17, 30, v17
	v_lshlrev_b32_e32 v14, v18, v14
	v_cndmask_b32_e32 v17, v19, v17, vcc_lo
	v_and_b32_e32 v14, 3, v14
	v_cndmask_b32_e32 v14, v15, v14, vcc_lo
	v_lshl_add_u32 v15, v17, 23, 0x37800000
	v_lshlrev_b32_e32 v14, 21, v14
	v_or3_b32 v14, v1, v15, v14
.LBB4_4055:                             ;   in Loop: Header=BB4_3887 Depth=4
	s_or_b32 exec_lo, exec_lo, s63
	v_mul_f32_e32 v1, v5, v14
	v_mov_b32_e32 v21, 0x80
	s_mov_b32 s63, exec_lo
	v_and_b32_e32 v14, 0x7f800000, v1
	v_cmpx_ne_u32_e32 0x7f800000, v14
	s_cbranch_execz .LBB4_4063
; %bb.4056:                             ;   in Loop: Header=BB4_3887 Depth=4
	v_mov_b32_e32 v21, 0
	s_mov_b32 s72, exec_lo
	v_cmpx_ne_u32_e32 0, v1
	s_cbranch_execz .LBB4_4062
; %bb.4057:                             ;   in Loop: Header=BB4_3887 Depth=4
	v_bfe_u32 v14, v1, 23, 8
	v_and_b32_e32 v15, 0x7fffff, v1
	v_sub_nc_u32_e32 v17, 0x70, v14
	v_cmp_gt_u32_e32 vcc_lo, 0x71, v14
	v_or_b32_e32 v18, 0x800000, v15
	v_cndmask_b32_e32 v17, 0, v17, vcc_lo
	v_cmp_eq_u32_e32 vcc_lo, 0, v14
	v_add_nc_u32_e32 v14, 0xffffff91, v14
	v_cndmask_b32_e64 v17, v17, 0x6f, vcc_lo
	v_cndmask_b32_e32 v15, v18, v15, vcc_lo
	v_cndmask_b32_e64 v14, v14, 0xffffff92, vcc_lo
	v_lshl_add_u32 v18, 0x200000, v17, -1
	v_lshrrev_b32_e32 v19, v17, v15
	v_lshlrev_b32_e64 v21, v17, 0x100000
	v_add_nc_u32_e32 v17, v17, v14
	v_and_b32_e32 v15, v18, v15
	v_bfe_u32 v20, v19, 21, 1
	v_cmp_eq_u32_e64 s16, v15, v21
	v_add_nc_u32_e32 v18, -1, v20
	v_cndmask_b32_e64 v15, 0, v18, s16
	v_lshrrev_b32_e32 v18, 23, v19
	s_mov_b32 s16, exec_lo
	v_add_nc_u32_e32 v15, v15, v19
	v_xor_b32_e32 v18, 1, v18
	v_and_b32_e32 v14, 0x1fffff, v15
	v_add_nc_u32_e32 v15, v14, v19
                                        ; implicit-def: $vgpr14
	v_cmpx_ne_u32_e64 v17, v18
	s_xor_b32 s16, exec_lo, s16
; %bb.4058:                             ;   in Loop: Header=BB4_3887 Depth=4
	v_cmp_lt_u32_e32 vcc_lo, 0xffffff, v15
	v_sub_nc_u32_e32 v14, v17, v18
	v_cndmask_b32_e64 v17, 0, 1, vcc_lo
	v_add_co_ci_u32_e64 v14, null, 0, v14, vcc_lo
	v_lshrrev_b32_e32 v15, v17, v15
; %bb.4059:                             ;   in Loop: Header=BB4_3887 Depth=4
	s_andn2_saveexec_b32 s16, s16
; %bb.4060:                             ;   in Loop: Header=BB4_3887 Depth=4
	v_bfe_u32 v14, v15, 23, 1
; %bb.4061:                             ;   in Loop: Header=BB4_3887 Depth=4
	s_or_b32 exec_lo, exec_lo, s16
	v_lshrrev_b32_e32 v15, 21, v15
	v_cmp_gt_i32_e32 vcc_lo, 32, v14
	v_min_i32_e32 v17, 31, v14
	v_and_b32_sdwa v1, v1, v101 dst_sel:DWORD dst_unused:UNUSED_PAD src0_sel:BYTE_3 src1_sel:DWORD
	v_cndmask_b32_e32 v15, 3, v15, vcc_lo
	v_lshlrev_b32_e32 v17, 2, v17
	v_and_b32_e32 v18, 3, v15
	v_or_b32_e32 v14, v14, v15
	v_or3_b32 v1, v17, v1, v18
	v_cmp_ne_u32_e32 vcc_lo, 0, v14
	v_cndmask_b32_e32 v21, 0, v1, vcc_lo
.LBB4_4062:                             ;   in Loop: Header=BB4_3887 Depth=4
	s_or_b32 exec_lo, exec_lo, s72
.LBB4_4063:                             ;   in Loop: Header=BB4_3887 Depth=4
	s_or_b32 exec_lo, exec_lo, s63
	flat_load_ubyte v1, v[8:9] offset:384 slc
	s_mov_b32 s16, 0
	s_mov_b32 s63, exec_lo
	s_waitcnt vmcnt(0) lgkmcnt(0)
	v_cmpx_lt_i16_e32 0x7f, v1
	s_xor_b32 s63, exec_lo, s63
	s_cbranch_execz .LBB4_4461
; %bb.4064:                             ;   in Loop: Header=BB4_3887 Depth=4
	s_mov_b32 s16, -1
	s_mov_b32 s72, exec_lo
	v_cmpx_eq_u16_e32 0x80, v1
; %bb.4065:                             ;   in Loop: Header=BB4_3887 Depth=4
	s_xor_b32 s16, exec_lo, -1
; %bb.4066:                             ;   in Loop: Header=BB4_3887 Depth=4
	s_or_b32 exec_lo, exec_lo, s72
	s_and_b32 s16, s16, exec_lo
	s_or_saveexec_b32 s63, s63
	v_mov_b32_e32 v14, 0x7f800001
	s_xor_b32 exec_lo, exec_lo, s63
	s_cbranch_execnz .LBB4_4462
.LBB4_4067:                             ;   in Loop: Header=BB4_3887 Depth=4
	s_or_b32 exec_lo, exec_lo, s63
	s_and_saveexec_b32 s63, s16
	s_cbranch_execz .LBB4_4069
.LBB4_4068:                             ;   in Loop: Header=BB4_3887 Depth=4
	v_and_b32_e32 v14, 0xffff, v1
	v_lshlrev_b32_e32 v1, 24, v1
	v_and_b32_e32 v15, 3, v14
	v_bfe_u32 v19, v14, 2, 5
	v_and_b32_e32 v1, 0x80000000, v1
	v_ffbh_u32_e32 v17, v15
	v_cmp_eq_u32_e32 vcc_lo, 0, v19
	v_min_u32_e32 v17, 32, v17
	v_subrev_nc_u32_e32 v18, 29, v17
	v_sub_nc_u32_e32 v17, 30, v17
	v_lshlrev_b32_e32 v14, v18, v14
	v_cndmask_b32_e32 v17, v19, v17, vcc_lo
	v_and_b32_e32 v14, 3, v14
	v_cndmask_b32_e32 v14, v15, v14, vcc_lo
	v_lshl_add_u32 v15, v17, 23, 0x37800000
	v_lshlrev_b32_e32 v14, 21, v14
	v_or3_b32 v14, v1, v15, v14
.LBB4_4069:                             ;   in Loop: Header=BB4_3887 Depth=4
	s_or_b32 exec_lo, exec_lo, s63
	v_mul_f32_e32 v1, v5, v14
	v_mov_b32_e32 v20, 0x80
	s_mov_b32 s63, exec_lo
	v_and_b32_e32 v14, 0x7f800000, v1
	v_cmpx_ne_u32_e32 0x7f800000, v14
	s_cbranch_execz .LBB4_4077
; %bb.4070:                             ;   in Loop: Header=BB4_3887 Depth=4
	v_mov_b32_e32 v20, 0
	s_mov_b32 s72, exec_lo
	v_cmpx_ne_u32_e32 0, v1
	s_cbranch_execz .LBB4_4076
; %bb.4071:                             ;   in Loop: Header=BB4_3887 Depth=4
	v_bfe_u32 v14, v1, 23, 8
	v_and_b32_e32 v15, 0x7fffff, v1
	v_sub_nc_u32_e32 v17, 0x70, v14
	v_cmp_gt_u32_e32 vcc_lo, 0x71, v14
	v_or_b32_e32 v18, 0x800000, v15
	v_cndmask_b32_e32 v17, 0, v17, vcc_lo
	v_cmp_eq_u32_e32 vcc_lo, 0, v14
	v_add_nc_u32_e32 v14, 0xffffff91, v14
	v_cndmask_b32_e64 v17, v17, 0x6f, vcc_lo
	v_cndmask_b32_e32 v15, v18, v15, vcc_lo
	v_cndmask_b32_e64 v14, v14, 0xffffff92, vcc_lo
	v_lshl_add_u32 v18, 0x200000, v17, -1
	v_lshrrev_b32_e32 v19, v17, v15
	v_lshlrev_b32_e64 v31, v17, 0x100000
	v_add_nc_u32_e32 v17, v17, v14
	v_and_b32_e32 v15, v18, v15
	v_bfe_u32 v20, v19, 21, 1
	v_cmp_eq_u32_e64 s16, v15, v31
	v_add_nc_u32_e32 v18, -1, v20
	v_cndmask_b32_e64 v15, 0, v18, s16
	v_lshrrev_b32_e32 v18, 23, v19
	s_mov_b32 s16, exec_lo
	v_add_nc_u32_e32 v15, v15, v19
	v_xor_b32_e32 v18, 1, v18
	v_and_b32_e32 v14, 0x1fffff, v15
	v_add_nc_u32_e32 v15, v14, v19
                                        ; implicit-def: $vgpr14
	v_cmpx_ne_u32_e64 v17, v18
	s_xor_b32 s16, exec_lo, s16
; %bb.4072:                             ;   in Loop: Header=BB4_3887 Depth=4
	v_cmp_lt_u32_e32 vcc_lo, 0xffffff, v15
	v_sub_nc_u32_e32 v14, v17, v18
	v_cndmask_b32_e64 v17, 0, 1, vcc_lo
	v_add_co_ci_u32_e64 v14, null, 0, v14, vcc_lo
	v_lshrrev_b32_e32 v15, v17, v15
; %bb.4073:                             ;   in Loop: Header=BB4_3887 Depth=4
	s_andn2_saveexec_b32 s16, s16
; %bb.4074:                             ;   in Loop: Header=BB4_3887 Depth=4
	v_bfe_u32 v14, v15, 23, 1
; %bb.4075:                             ;   in Loop: Header=BB4_3887 Depth=4
	s_or_b32 exec_lo, exec_lo, s16
	v_lshrrev_b32_e32 v15, 21, v15
	v_cmp_gt_i32_e32 vcc_lo, 32, v14
	v_min_i32_e32 v17, 31, v14
	v_and_b32_sdwa v1, v1, v101 dst_sel:DWORD dst_unused:UNUSED_PAD src0_sel:BYTE_3 src1_sel:DWORD
	v_cndmask_b32_e32 v15, 3, v15, vcc_lo
	v_lshlrev_b32_e32 v17, 2, v17
	v_and_b32_e32 v18, 3, v15
	v_or_b32_e32 v14, v14, v15
	v_or3_b32 v1, v17, v1, v18
	v_cmp_ne_u32_e32 vcc_lo, 0, v14
	v_cndmask_b32_e32 v20, 0, v1, vcc_lo
.LBB4_4076:                             ;   in Loop: Header=BB4_3887 Depth=4
	s_or_b32 exec_lo, exec_lo, s72
.LBB4_4077:                             ;   in Loop: Header=BB4_3887 Depth=4
	s_or_b32 exec_lo, exec_lo, s63
	flat_load_ubyte v1, v[8:9] offset:416 slc
	s_mov_b32 s16, 0
	s_mov_b32 s63, exec_lo
	s_waitcnt vmcnt(0) lgkmcnt(0)
	v_cmpx_lt_i16_e32 0x7f, v1
	s_xor_b32 s63, exec_lo, s63
	s_cbranch_execz .LBB4_4463
; %bb.4078:                             ;   in Loop: Header=BB4_3887 Depth=4
	s_mov_b32 s16, -1
	s_mov_b32 s72, exec_lo
	v_cmpx_eq_u16_e32 0x80, v1
; %bb.4079:                             ;   in Loop: Header=BB4_3887 Depth=4
	s_xor_b32 s16, exec_lo, -1
; %bb.4080:                             ;   in Loop: Header=BB4_3887 Depth=4
	s_or_b32 exec_lo, exec_lo, s72
	s_and_b32 s16, s16, exec_lo
	s_or_saveexec_b32 s63, s63
	v_mov_b32_e32 v14, 0x7f800001
	s_xor_b32 exec_lo, exec_lo, s63
	s_cbranch_execnz .LBB4_4464
.LBB4_4081:                             ;   in Loop: Header=BB4_3887 Depth=4
	s_or_b32 exec_lo, exec_lo, s63
	s_and_saveexec_b32 s63, s16
	s_cbranch_execz .LBB4_4083
.LBB4_4082:                             ;   in Loop: Header=BB4_3887 Depth=4
	v_and_b32_e32 v14, 0xffff, v1
	v_lshlrev_b32_e32 v1, 24, v1
	v_and_b32_e32 v15, 3, v14
	v_bfe_u32 v19, v14, 2, 5
	v_and_b32_e32 v1, 0x80000000, v1
	v_ffbh_u32_e32 v17, v15
	v_cmp_eq_u32_e32 vcc_lo, 0, v19
	v_min_u32_e32 v17, 32, v17
	v_subrev_nc_u32_e32 v18, 29, v17
	v_sub_nc_u32_e32 v17, 30, v17
	v_lshlrev_b32_e32 v14, v18, v14
	v_cndmask_b32_e32 v17, v19, v17, vcc_lo
	v_and_b32_e32 v14, 3, v14
	v_cndmask_b32_e32 v14, v15, v14, vcc_lo
	v_lshl_add_u32 v15, v17, 23, 0x37800000
	v_lshlrev_b32_e32 v14, 21, v14
	v_or3_b32 v14, v1, v15, v14
.LBB4_4083:                             ;   in Loop: Header=BB4_3887 Depth=4
	s_or_b32 exec_lo, exec_lo, s63
	v_mul_f32_e32 v1, v5, v14
	v_mov_b32_e32 v18, 0x80
	s_mov_b32 s63, exec_lo
	v_and_b32_e32 v14, 0x7f800000, v1
	v_cmpx_ne_u32_e32 0x7f800000, v14
	s_cbranch_execz .LBB4_4091
; %bb.4084:                             ;   in Loop: Header=BB4_3887 Depth=4
	v_mov_b32_e32 v18, 0
	s_mov_b32 s72, exec_lo
	v_cmpx_ne_u32_e32 0, v1
	s_cbranch_execz .LBB4_4090
; %bb.4085:                             ;   in Loop: Header=BB4_3887 Depth=4
	v_bfe_u32 v14, v1, 23, 8
	v_and_b32_e32 v15, 0x7fffff, v1
	v_sub_nc_u32_e32 v17, 0x70, v14
	v_cmp_gt_u32_e32 vcc_lo, 0x71, v14
	v_or_b32_e32 v18, 0x800000, v15
	v_cndmask_b32_e32 v17, 0, v17, vcc_lo
	v_cmp_eq_u32_e32 vcc_lo, 0, v14
	v_add_nc_u32_e32 v14, 0xffffff91, v14
	v_cndmask_b32_e64 v17, v17, 0x6f, vcc_lo
	v_cndmask_b32_e32 v15, v18, v15, vcc_lo
	v_cndmask_b32_e64 v14, v14, 0xffffff92, vcc_lo
	v_lshl_add_u32 v18, 0x200000, v17, -1
	v_lshrrev_b32_e32 v19, v17, v15
	v_lshlrev_b32_e64 v34, v17, 0x100000
	v_add_nc_u32_e32 v17, v17, v14
	v_and_b32_e32 v15, v18, v15
	v_bfe_u32 v31, v19, 21, 1
	v_cmp_eq_u32_e64 s16, v15, v34
	v_add_nc_u32_e32 v18, -1, v31
	v_cndmask_b32_e64 v15, 0, v18, s16
	v_lshrrev_b32_e32 v18, 23, v19
	s_mov_b32 s16, exec_lo
	v_add_nc_u32_e32 v15, v15, v19
	v_xor_b32_e32 v18, 1, v18
	v_and_b32_e32 v14, 0x1fffff, v15
	v_add_nc_u32_e32 v15, v14, v19
                                        ; implicit-def: $vgpr14
	v_cmpx_ne_u32_e64 v17, v18
	s_xor_b32 s16, exec_lo, s16
; %bb.4086:                             ;   in Loop: Header=BB4_3887 Depth=4
	v_cmp_lt_u32_e32 vcc_lo, 0xffffff, v15
	v_sub_nc_u32_e32 v14, v17, v18
	v_cndmask_b32_e64 v17, 0, 1, vcc_lo
	v_add_co_ci_u32_e64 v14, null, 0, v14, vcc_lo
	v_lshrrev_b32_e32 v15, v17, v15
; %bb.4087:                             ;   in Loop: Header=BB4_3887 Depth=4
	s_andn2_saveexec_b32 s16, s16
; %bb.4088:                             ;   in Loop: Header=BB4_3887 Depth=4
	v_bfe_u32 v14, v15, 23, 1
; %bb.4089:                             ;   in Loop: Header=BB4_3887 Depth=4
	s_or_b32 exec_lo, exec_lo, s16
	v_lshrrev_b32_e32 v15, 21, v15
	v_cmp_gt_i32_e32 vcc_lo, 32, v14
	v_min_i32_e32 v17, 31, v14
	v_and_b32_sdwa v1, v1, v101 dst_sel:DWORD dst_unused:UNUSED_PAD src0_sel:BYTE_3 src1_sel:DWORD
	v_cndmask_b32_e32 v15, 3, v15, vcc_lo
	v_lshlrev_b32_e32 v17, 2, v17
	v_and_b32_e32 v18, 3, v15
	v_or_b32_e32 v14, v14, v15
	v_or3_b32 v1, v17, v1, v18
	v_cmp_ne_u32_e32 vcc_lo, 0, v14
	v_cndmask_b32_e32 v18, 0, v1, vcc_lo
.LBB4_4090:                             ;   in Loop: Header=BB4_3887 Depth=4
	s_or_b32 exec_lo, exec_lo, s72
.LBB4_4091:                             ;   in Loop: Header=BB4_3887 Depth=4
	s_or_b32 exec_lo, exec_lo, s63
	flat_load_ubyte v1, v[8:9] offset:448 slc
	s_mov_b32 s16, 0
	s_mov_b32 s63, exec_lo
	s_waitcnt vmcnt(0) lgkmcnt(0)
	v_cmpx_lt_i16_e32 0x7f, v1
	s_xor_b32 s63, exec_lo, s63
	s_cbranch_execz .LBB4_4465
; %bb.4092:                             ;   in Loop: Header=BB4_3887 Depth=4
	s_mov_b32 s16, -1
	s_mov_b32 s72, exec_lo
	v_cmpx_eq_u16_e32 0x80, v1
; %bb.4093:                             ;   in Loop: Header=BB4_3887 Depth=4
	s_xor_b32 s16, exec_lo, -1
; %bb.4094:                             ;   in Loop: Header=BB4_3887 Depth=4
	s_or_b32 exec_lo, exec_lo, s72
	s_and_b32 s16, s16, exec_lo
	s_or_saveexec_b32 s63, s63
	v_mov_b32_e32 v14, 0x7f800001
	s_xor_b32 exec_lo, exec_lo, s63
	s_cbranch_execnz .LBB4_4466
.LBB4_4095:                             ;   in Loop: Header=BB4_3887 Depth=4
	s_or_b32 exec_lo, exec_lo, s63
	s_and_saveexec_b32 s63, s16
	s_cbranch_execz .LBB4_4097
.LBB4_4096:                             ;   in Loop: Header=BB4_3887 Depth=4
	v_and_b32_e32 v14, 0xffff, v1
	v_lshlrev_b32_e32 v1, 24, v1
	v_and_b32_e32 v15, 3, v14
	v_bfe_u32 v31, v14, 2, 5
	v_and_b32_e32 v1, 0x80000000, v1
	v_ffbh_u32_e32 v17, v15
	v_cmp_eq_u32_e32 vcc_lo, 0, v31
	v_min_u32_e32 v17, 32, v17
	v_subrev_nc_u32_e32 v19, 29, v17
	v_sub_nc_u32_e32 v17, 30, v17
	v_lshlrev_b32_e32 v14, v19, v14
	v_cndmask_b32_e32 v17, v31, v17, vcc_lo
	v_and_b32_e32 v14, 3, v14
	v_cndmask_b32_e32 v14, v15, v14, vcc_lo
	v_lshl_add_u32 v15, v17, 23, 0x37800000
	v_lshlrev_b32_e32 v14, 21, v14
	v_or3_b32 v14, v1, v15, v14
.LBB4_4097:                             ;   in Loop: Header=BB4_3887 Depth=4
	s_or_b32 exec_lo, exec_lo, s63
	v_mul_f32_e32 v1, v5, v14
	v_mov_b32_e32 v17, 0x80
	s_mov_b32 s63, exec_lo
	v_and_b32_e32 v14, 0x7f800000, v1
	v_cmpx_ne_u32_e32 0x7f800000, v14
	s_cbranch_execz .LBB4_4105
; %bb.4098:                             ;   in Loop: Header=BB4_3887 Depth=4
	v_mov_b32_e32 v17, 0
	s_mov_b32 s72, exec_lo
	v_cmpx_ne_u32_e32 0, v1
	s_cbranch_execz .LBB4_4104
; %bb.4099:                             ;   in Loop: Header=BB4_3887 Depth=4
	v_bfe_u32 v14, v1, 23, 8
	v_and_b32_e32 v15, 0x7fffff, v1
	v_sub_nc_u32_e32 v17, 0x70, v14
	v_cmp_gt_u32_e32 vcc_lo, 0x71, v14
	v_or_b32_e32 v19, 0x800000, v15
	v_cndmask_b32_e32 v17, 0, v17, vcc_lo
	v_cmp_eq_u32_e32 vcc_lo, 0, v14
	v_add_nc_u32_e32 v14, 0xffffff91, v14
	v_cndmask_b32_e64 v17, v17, 0x6f, vcc_lo
	v_cndmask_b32_e32 v15, v19, v15, vcc_lo
	v_cndmask_b32_e64 v14, v14, 0xffffff92, vcc_lo
	v_lshl_add_u32 v19, 0x200000, v17, -1
	v_lshrrev_b32_e32 v31, v17, v15
	v_lshlrev_b32_e64 v35, v17, 0x100000
	v_add_nc_u32_e32 v17, v17, v14
	v_and_b32_e32 v15, v19, v15
	v_bfe_u32 v34, v31, 21, 1
	v_cmp_eq_u32_e64 s16, v15, v35
	v_add_nc_u32_e32 v19, -1, v34
	v_cndmask_b32_e64 v15, 0, v19, s16
	v_lshrrev_b32_e32 v19, 23, v31
	s_mov_b32 s16, exec_lo
	v_add_nc_u32_e32 v15, v15, v31
	v_xor_b32_e32 v19, 1, v19
	v_and_b32_e32 v14, 0x1fffff, v15
	v_add_nc_u32_e32 v15, v14, v31
                                        ; implicit-def: $vgpr14
	v_cmpx_ne_u32_e64 v17, v19
	s_xor_b32 s16, exec_lo, s16
; %bb.4100:                             ;   in Loop: Header=BB4_3887 Depth=4
	v_cmp_lt_u32_e32 vcc_lo, 0xffffff, v15
	v_sub_nc_u32_e32 v14, v17, v19
	v_cndmask_b32_e64 v17, 0, 1, vcc_lo
	v_add_co_ci_u32_e64 v14, null, 0, v14, vcc_lo
	v_lshrrev_b32_e32 v15, v17, v15
; %bb.4101:                             ;   in Loop: Header=BB4_3887 Depth=4
	s_andn2_saveexec_b32 s16, s16
; %bb.4102:                             ;   in Loop: Header=BB4_3887 Depth=4
	v_bfe_u32 v14, v15, 23, 1
; %bb.4103:                             ;   in Loop: Header=BB4_3887 Depth=4
	s_or_b32 exec_lo, exec_lo, s16
	v_lshrrev_b32_e32 v15, 21, v15
	v_cmp_gt_i32_e32 vcc_lo, 32, v14
	v_min_i32_e32 v17, 31, v14
	v_and_b32_sdwa v1, v1, v101 dst_sel:DWORD dst_unused:UNUSED_PAD src0_sel:BYTE_3 src1_sel:DWORD
	v_cndmask_b32_e32 v15, 3, v15, vcc_lo
	v_lshlrev_b32_e32 v17, 2, v17
	v_and_b32_e32 v19, 3, v15
	v_or_b32_e32 v14, v14, v15
	v_or3_b32 v1, v17, v1, v19
	v_cmp_ne_u32_e32 vcc_lo, 0, v14
	v_cndmask_b32_e32 v17, 0, v1, vcc_lo
.LBB4_4104:                             ;   in Loop: Header=BB4_3887 Depth=4
	s_or_b32 exec_lo, exec_lo, s72
.LBB4_4105:                             ;   in Loop: Header=BB4_3887 Depth=4
	s_or_b32 exec_lo, exec_lo, s63
	flat_load_ubyte v1, v[8:9] offset:480 slc
	s_mov_b32 s16, 0
	s_mov_b32 s63, exec_lo
	s_waitcnt vmcnt(0) lgkmcnt(0)
	v_cmpx_lt_i16_e32 0x7f, v1
	s_xor_b32 s63, exec_lo, s63
	s_cbranch_execz .LBB4_4467
; %bb.4106:                             ;   in Loop: Header=BB4_3887 Depth=4
	s_mov_b32 s16, -1
	s_mov_b32 s72, exec_lo
	v_cmpx_eq_u16_e32 0x80, v1
; %bb.4107:                             ;   in Loop: Header=BB4_3887 Depth=4
	s_xor_b32 s16, exec_lo, -1
; %bb.4108:                             ;   in Loop: Header=BB4_3887 Depth=4
	s_or_b32 exec_lo, exec_lo, s72
	s_and_b32 s16, s16, exec_lo
	s_or_saveexec_b32 s63, s63
	v_mov_b32_e32 v14, 0x7f800001
	s_xor_b32 exec_lo, exec_lo, s63
	s_cbranch_execnz .LBB4_4468
.LBB4_4109:                             ;   in Loop: Header=BB4_3887 Depth=4
	s_or_b32 exec_lo, exec_lo, s63
	s_and_saveexec_b32 s63, s16
	s_cbranch_execz .LBB4_4111
.LBB4_4110:                             ;   in Loop: Header=BB4_3887 Depth=4
	v_and_b32_e32 v14, 0xffff, v1
	v_lshlrev_b32_e32 v1, 24, v1
	v_and_b32_e32 v15, 3, v14
	v_bfe_u32 v34, v14, 2, 5
	v_and_b32_e32 v1, 0x80000000, v1
	v_ffbh_u32_e32 v19, v15
	v_cmp_eq_u32_e32 vcc_lo, 0, v34
	v_min_u32_e32 v19, 32, v19
	v_subrev_nc_u32_e32 v31, 29, v19
	v_sub_nc_u32_e32 v19, 30, v19
	v_lshlrev_b32_e32 v14, v31, v14
	v_cndmask_b32_e32 v19, v34, v19, vcc_lo
	v_and_b32_e32 v14, 3, v14
	v_cndmask_b32_e32 v14, v15, v14, vcc_lo
	v_lshl_add_u32 v15, v19, 23, 0x37800000
	v_lshlrev_b32_e32 v14, 21, v14
	v_or3_b32 v14, v1, v15, v14
.LBB4_4111:                             ;   in Loop: Header=BB4_3887 Depth=4
	s_or_b32 exec_lo, exec_lo, s63
	v_mul_f32_e32 v1, v5, v14
	v_mov_b32_e32 v15, 0x80
	s_mov_b32 s63, exec_lo
	v_and_b32_e32 v5, 0x7f800000, v1
	v_cmpx_ne_u32_e32 0x7f800000, v5
	s_cbranch_execz .LBB4_4119
; %bb.4112:                             ;   in Loop: Header=BB4_3887 Depth=4
	v_mov_b32_e32 v15, 0
	s_mov_b32 s72, exec_lo
	v_cmpx_ne_u32_e32 0, v1
	s_cbranch_execz .LBB4_4118
; %bb.4113:                             ;   in Loop: Header=BB4_3887 Depth=4
	v_bfe_u32 v5, v1, 23, 8
	v_and_b32_e32 v14, 0x7fffff, v1
	v_sub_nc_u32_e32 v15, 0x70, v5
	v_cmp_gt_u32_e32 vcc_lo, 0x71, v5
	v_or_b32_e32 v19, 0x800000, v14
	v_cndmask_b32_e32 v15, 0, v15, vcc_lo
	v_cmp_eq_u32_e32 vcc_lo, 0, v5
	v_add_nc_u32_e32 v5, 0xffffff91, v5
	v_cndmask_b32_e64 v15, v15, 0x6f, vcc_lo
	v_cndmask_b32_e32 v14, v19, v14, vcc_lo
	v_cndmask_b32_e64 v5, v5, 0xffffff92, vcc_lo
	v_lshl_add_u32 v19, 0x200000, v15, -1
	v_lshrrev_b32_e32 v31, v15, v14
	v_lshlrev_b32_e64 v35, v15, 0x100000
	v_add_nc_u32_e32 v15, v15, v5
	v_and_b32_e32 v14, v19, v14
	v_bfe_u32 v34, v31, 21, 1
	v_cmp_eq_u32_e64 s16, v14, v35
	v_add_nc_u32_e32 v19, -1, v34
	v_cndmask_b32_e64 v14, 0, v19, s16
	v_lshrrev_b32_e32 v19, 23, v31
	s_mov_b32 s16, exec_lo
	v_add_nc_u32_e32 v14, v14, v31
	v_xor_b32_e32 v19, 1, v19
	v_and_b32_e32 v5, 0x1fffff, v14
	v_add_nc_u32_e32 v14, v5, v31
                                        ; implicit-def: $vgpr5
	v_cmpx_ne_u32_e64 v15, v19
	s_xor_b32 s16, exec_lo, s16
; %bb.4114:                             ;   in Loop: Header=BB4_3887 Depth=4
	v_cmp_lt_u32_e32 vcc_lo, 0xffffff, v14
	v_sub_nc_u32_e32 v5, v15, v19
	v_cndmask_b32_e64 v15, 0, 1, vcc_lo
	v_add_co_ci_u32_e64 v5, null, 0, v5, vcc_lo
	v_lshrrev_b32_e32 v14, v15, v14
; %bb.4115:                             ;   in Loop: Header=BB4_3887 Depth=4
	s_andn2_saveexec_b32 s16, s16
; %bb.4116:                             ;   in Loop: Header=BB4_3887 Depth=4
	v_bfe_u32 v5, v14, 23, 1
; %bb.4117:                             ;   in Loop: Header=BB4_3887 Depth=4
	s_or_b32 exec_lo, exec_lo, s16
	v_lshrrev_b32_e32 v14, 21, v14
	v_cmp_gt_i32_e32 vcc_lo, 32, v5
	v_min_i32_e32 v15, 31, v5
	v_and_b32_sdwa v1, v1, v101 dst_sel:DWORD dst_unused:UNUSED_PAD src0_sel:BYTE_3 src1_sel:DWORD
	v_cndmask_b32_e32 v14, 3, v14, vcc_lo
	v_lshlrev_b32_e32 v15, 2, v15
	v_and_b32_e32 v19, 3, v14
	v_or_b32_e32 v5, v5, v14
	v_or3_b32 v1, v15, v1, v19
	v_cmp_ne_u32_e32 vcc_lo, 0, v5
	v_cndmask_b32_e32 v15, 0, v1, vcc_lo
.LBB4_4118:                             ;   in Loop: Header=BB4_3887 Depth=4
	s_or_b32 exec_lo, exec_lo, s72
.LBB4_4119:                             ;   in Loop: Header=BB4_3887 Depth=4
	s_or_b32 exec_lo, exec_lo, s63
	s_clause 0xf
	flat_load_ubyte v50, v[10:11] slc
	flat_load_ubyte v73, v[10:11] offset:32 slc
	flat_load_ubyte v97, v[10:11] offset:64 slc
	;; [unrolled: 1-line block ×15, first 2 shown]
	v_cmp_gt_i16_sdwa s63, v16, v100 src0_sel:BYTE_0 src1_sel:DWORD
	s_mov_b32 s16, 0
	s_and_saveexec_b32 s72, s63
	s_xor_b32 s63, exec_lo, s72
	s_cbranch_execz .LBB4_4469
; %bb.4120:                             ;   in Loop: Header=BB4_3887 Depth=4
	v_cmp_eq_u16_sdwa s73, v16, v101 src0_sel:BYTE_0 src1_sel:DWORD
	s_mov_b32 s16, -1
	s_and_saveexec_b32 s72, s73
; %bb.4121:                             ;   in Loop: Header=BB4_3887 Depth=4
	s_xor_b32 s16, exec_lo, -1
; %bb.4122:                             ;   in Loop: Header=BB4_3887 Depth=4
	s_or_b32 exec_lo, exec_lo, s72
	s_and_b32 s16, s16, exec_lo
	s_or_saveexec_b32 s63, s63
	v_mov_b32_e32 v51, 0x7f800001
	s_xor_b32 exec_lo, exec_lo, s63
	s_cbranch_execnz .LBB4_4470
.LBB4_4123:                             ;   in Loop: Header=BB4_3887 Depth=4
	s_or_b32 exec_lo, exec_lo, s63
	s_and_saveexec_b32 s63, s16
	s_cbranch_execz .LBB4_4125
.LBB4_4124:                             ;   in Loop: Header=BB4_3887 Depth=4
	v_and_b32_e32 v51, 3, v16
	v_lshrrev_b16 v40, 2, v16
	v_ffbh_u32_e32 v115, v51
	v_and_b32_e32 v40, 31, v40
	v_min_u32_e32 v115, 32, v115
	v_cmp_eq_u32_e32 vcc_lo, 0, v40
	v_subrev_nc_u32_e32 v74, 29, v115
	v_sub_nc_u32_e32 v115, 30, v115
	v_lshlrev_b32_e32 v74, v74, v16
	v_lshlrev_b32_e32 v16, 24, v16
	v_cndmask_b32_e32 v115, v40, v115, vcc_lo
	v_and_b32_e32 v74, 3, v74
	v_and_b32_e32 v16, 0x80000000, v16
	v_lshl_add_u32 v115, v115, 23, 0x37800000
	v_cndmask_b32_e32 v51, v51, v74, vcc_lo
	v_lshlrev_b32_e32 v51, 21, v51
	v_or3_b32 v51, v16, v115, v51
.LBB4_4125:                             ;   in Loop: Header=BB4_3887 Depth=4
	s_or_b32 exec_lo, exec_lo, s63
	s_waitcnt vmcnt(15) lgkmcnt(15)
	v_cmp_gt_i16_sdwa s63, v50, v100 src0_sel:BYTE_0 src1_sel:DWORD
	s_mov_b32 s16, 0
	s_and_saveexec_b32 s72, s63
	s_xor_b32 s63, exec_lo, s72
	s_cbranch_execz .LBB4_4471
; %bb.4126:                             ;   in Loop: Header=BB4_3887 Depth=4
	v_cmp_eq_u16_sdwa s73, v50, v101 src0_sel:BYTE_0 src1_sel:DWORD
	s_mov_b32 s16, -1
	s_and_saveexec_b32 s72, s73
; %bb.4127:                             ;   in Loop: Header=BB4_3887 Depth=4
	s_xor_b32 s16, exec_lo, -1
; %bb.4128:                             ;   in Loop: Header=BB4_3887 Depth=4
	s_or_b32 exec_lo, exec_lo, s72
	s_and_b32 s16, s16, exec_lo
	s_or_saveexec_b32 s63, s63
	v_mov_b32_e32 v16, 0x7f800001
	s_xor_b32 exec_lo, exec_lo, s63
	s_cbranch_execnz .LBB4_4472
.LBB4_4129:                             ;   in Loop: Header=BB4_3887 Depth=4
	s_or_b32 exec_lo, exec_lo, s63
	s_and_saveexec_b32 s63, s16
	s_cbranch_execz .LBB4_4131
.LBB4_4130:                             ;   in Loop: Header=BB4_3887 Depth=4
	v_and_b32_e32 v16, 3, v50
	v_lshrrev_b16 v40, 2, v50
	v_ffbh_u32_e32 v115, v16
	v_and_b32_e32 v40, 31, v40
	v_min_u32_e32 v115, 32, v115
	v_cmp_eq_u32_e32 vcc_lo, 0, v40
	v_subrev_nc_u32_e32 v74, 29, v115
	v_sub_nc_u32_e32 v115, 30, v115
	v_lshlrev_b32_e32 v74, v74, v50
	v_lshlrev_b32_e32 v50, 24, v50
	v_cndmask_b32_e32 v115, v40, v115, vcc_lo
	v_and_b32_e32 v74, 3, v74
	v_and_b32_e32 v50, 0x80000000, v50
	v_lshl_add_u32 v115, v115, 23, 0x37800000
	v_cndmask_b32_e32 v16, v16, v74, vcc_lo
	v_lshlrev_b32_e32 v16, 21, v16
	v_or3_b32 v16, v50, v115, v16
.LBB4_4131:                             ;   in Loop: Header=BB4_3887 Depth=4
	s_or_b32 exec_lo, exec_lo, s63
	v_add_f32_e32 v50, v51, v16
	v_and_b32_e32 v16, 0x7f800000, v50
	v_cmp_ne_u32_e32 vcc_lo, 0x7f800000, v16
	v_mov_b32_e32 v16, 0x80
	s_and_saveexec_b32 s63, vcc_lo
	s_cbranch_execz .LBB4_4139
; %bb.4132:                             ;   in Loop: Header=BB4_3887 Depth=4
	v_mov_b32_e32 v16, 0
	s_mov_b32 s72, exec_lo
	v_cmpx_ne_u32_e32 0, v50
	s_cbranch_execz .LBB4_4138
; %bb.4133:                             ;   in Loop: Header=BB4_3887 Depth=4
	v_bfe_u32 v16, v50, 23, 8
	v_and_b32_e32 v51, 0x7fffff, v50
	v_sub_nc_u32_e32 v115, 0x70, v16
	v_cmp_gt_u32_e32 vcc_lo, 0x71, v16
	v_or_b32_e32 v40, 0x800000, v51
	v_cndmask_b32_e32 v115, 0, v115, vcc_lo
	v_cmp_eq_u32_e32 vcc_lo, 0, v16
	v_add_nc_u32_e32 v16, 0xffffff91, v16
	v_cndmask_b32_e64 v115, v115, 0x6f, vcc_lo
	v_cndmask_b32_e32 v51, v40, v51, vcc_lo
	v_cndmask_b32_e64 v16, v16, 0xffffff92, vcc_lo
	v_lshl_add_u32 v40, 0x200000, v115, -1
	v_lshrrev_b32_e32 v75, v115, v51
	v_lshlrev_b32_e64 v76, v115, 0x100000
	v_and_b32_e32 v51, v40, v51
	v_bfe_u32 v74, v75, 21, 1
	v_cmp_eq_u32_e64 s16, v51, v76
	v_add_nc_u32_e32 v40, -1, v74
	v_lshrrev_b32_e32 v74, 23, v75
	v_cndmask_b32_e64 v51, 0, v40, s16
	v_add_nc_u32_e32 v40, v115, v16
	v_xor_b32_e32 v74, 1, v74
	s_mov_b32 s16, exec_lo
	v_add_nc_u32_e32 v51, v51, v75
	v_and_b32_e32 v16, 0x1fffff, v51
	v_add_nc_u32_e32 v51, v16, v75
                                        ; implicit-def: $vgpr16
	v_cmpx_ne_u32_e64 v40, v74
	s_xor_b32 s16, exec_lo, s16
; %bb.4134:                             ;   in Loop: Header=BB4_3887 Depth=4
	v_cmp_lt_u32_e32 vcc_lo, 0xffffff, v51
	v_sub_nc_u32_e32 v16, v40, v74
	v_cndmask_b32_e64 v115, 0, 1, vcc_lo
	v_add_co_ci_u32_e64 v16, null, 0, v16, vcc_lo
	v_lshrrev_b32_e32 v51, v115, v51
; %bb.4135:                             ;   in Loop: Header=BB4_3887 Depth=4
	s_andn2_saveexec_b32 s16, s16
; %bb.4136:                             ;   in Loop: Header=BB4_3887 Depth=4
	v_bfe_u32 v16, v51, 23, 1
; %bb.4137:                             ;   in Loop: Header=BB4_3887 Depth=4
	s_or_b32 exec_lo, exec_lo, s16
	v_lshrrev_b32_e32 v51, 21, v51
	v_cmp_gt_i32_e32 vcc_lo, 32, v16
	v_min_i32_e32 v115, 31, v16
	v_and_b32_sdwa v50, v50, v101 dst_sel:DWORD dst_unused:UNUSED_PAD src0_sel:BYTE_3 src1_sel:DWORD
	v_cndmask_b32_e32 v51, 3, v51, vcc_lo
	v_lshlrev_b32_e32 v115, 2, v115
	v_and_b32_e32 v40, 3, v51
	v_or_b32_e32 v16, v16, v51
	v_or3_b32 v50, v115, v50, v40
	v_cmp_ne_u32_e32 vcc_lo, 0, v16
	v_cndmask_b32_e32 v16, 0, v50, vcc_lo
.LBB4_4138:                             ;   in Loop: Header=BB4_3887 Depth=4
	s_or_b32 exec_lo, exec_lo, s72
.LBB4_4139:                             ;   in Loop: Header=BB4_3887 Depth=4
	s_or_b32 exec_lo, exec_lo, s63
	v_cmp_gt_i16_sdwa s63, v30, v100 src0_sel:BYTE_0 src1_sel:DWORD
	s_mov_b32 s16, 0
	s_and_saveexec_b32 s72, s63
	s_xor_b32 s63, exec_lo, s72
	s_cbranch_execz .LBB4_4473
; %bb.4140:                             ;   in Loop: Header=BB4_3887 Depth=4
	v_cmp_eq_u16_sdwa s73, v30, v101 src0_sel:BYTE_0 src1_sel:DWORD
	s_mov_b32 s16, -1
	s_and_saveexec_b32 s72, s73
; %bb.4141:                             ;   in Loop: Header=BB4_3887 Depth=4
	s_xor_b32 s16, exec_lo, -1
; %bb.4142:                             ;   in Loop: Header=BB4_3887 Depth=4
	s_or_b32 exec_lo, exec_lo, s72
	s_and_b32 s16, s16, exec_lo
	s_or_saveexec_b32 s63, s63
	v_mov_b32_e32 v50, 0x7f800001
	s_xor_b32 exec_lo, exec_lo, s63
	s_cbranch_execnz .LBB4_4474
.LBB4_4143:                             ;   in Loop: Header=BB4_3887 Depth=4
	s_or_b32 exec_lo, exec_lo, s63
	s_and_saveexec_b32 s63, s16
	s_cbranch_execz .LBB4_4145
.LBB4_4144:                             ;   in Loop: Header=BB4_3887 Depth=4
	v_and_b32_e32 v50, 3, v30
	v_lshrrev_b16 v115, 2, v30
	v_ffbh_u32_e32 v51, v50
	v_and_b32_e32 v115, 31, v115
	v_min_u32_e32 v51, 32, v51
	v_cmp_eq_u32_e32 vcc_lo, 0, v115
	v_subrev_nc_u32_e32 v40, 29, v51
	v_sub_nc_u32_e32 v51, 30, v51
	v_lshlrev_b32_e32 v40, v40, v30
	v_lshlrev_b32_e32 v30, 24, v30
	v_cndmask_b32_e32 v51, v115, v51, vcc_lo
	v_and_b32_e32 v40, 3, v40
	v_and_b32_e32 v30, 0x80000000, v30
	v_lshl_add_u32 v51, v51, 23, 0x37800000
	v_cndmask_b32_e32 v50, v50, v40, vcc_lo
	v_lshlrev_b32_e32 v50, 21, v50
	v_or3_b32 v50, v30, v51, v50
.LBB4_4145:                             ;   in Loop: Header=BB4_3887 Depth=4
	s_or_b32 exec_lo, exec_lo, s63
	s_waitcnt vmcnt(14) lgkmcnt(14)
	v_cmp_gt_i16_sdwa s63, v73, v100 src0_sel:BYTE_0 src1_sel:DWORD
	s_mov_b32 s16, 0
	s_and_saveexec_b32 s72, s63
	s_xor_b32 s63, exec_lo, s72
	s_cbranch_execz .LBB4_4475
; %bb.4146:                             ;   in Loop: Header=BB4_3887 Depth=4
	v_cmp_eq_u16_sdwa s73, v73, v101 src0_sel:BYTE_0 src1_sel:DWORD
	s_mov_b32 s16, -1
	s_and_saveexec_b32 s72, s73
; %bb.4147:                             ;   in Loop: Header=BB4_3887 Depth=4
	s_xor_b32 s16, exec_lo, -1
; %bb.4148:                             ;   in Loop: Header=BB4_3887 Depth=4
	s_or_b32 exec_lo, exec_lo, s72
	s_and_b32 s16, s16, exec_lo
	s_or_saveexec_b32 s63, s63
	v_mov_b32_e32 v30, 0x7f800001
	s_xor_b32 exec_lo, exec_lo, s63
	s_cbranch_execnz .LBB4_4476
.LBB4_4149:                             ;   in Loop: Header=BB4_3887 Depth=4
	s_or_b32 exec_lo, exec_lo, s63
	s_and_saveexec_b32 s63, s16
	s_cbranch_execz .LBB4_4151
.LBB4_4150:                             ;   in Loop: Header=BB4_3887 Depth=4
	v_and_b32_e32 v30, 3, v73
	v_lshrrev_b16 v115, 2, v73
	v_ffbh_u32_e32 v51, v30
	v_and_b32_e32 v115, 31, v115
	v_min_u32_e32 v51, 32, v51
	v_cmp_eq_u32_e32 vcc_lo, 0, v115
	v_subrev_nc_u32_e32 v40, 29, v51
	v_sub_nc_u32_e32 v51, 30, v51
	v_lshlrev_b32_e32 v40, v40, v73
	v_lshlrev_b32_e32 v73, 24, v73
	v_cndmask_b32_e32 v51, v115, v51, vcc_lo
	v_and_b32_e32 v40, 3, v40
	v_and_b32_e32 v115, 0x80000000, v73
	v_lshl_add_u32 v51, v51, 23, 0x37800000
	v_cndmask_b32_e32 v30, v30, v40, vcc_lo
	v_lshlrev_b32_e32 v30, 21, v30
	v_or3_b32 v30, v115, v51, v30
.LBB4_4151:                             ;   in Loop: Header=BB4_3887 Depth=4
	s_or_b32 exec_lo, exec_lo, s63
	v_add_f32_e32 v50, v50, v30
	v_and_b32_e32 v30, 0x7f800000, v50
	v_cmp_ne_u32_e32 vcc_lo, 0x7f800000, v30
	v_mov_b32_e32 v30, 0x80
	s_and_saveexec_b32 s63, vcc_lo
	s_cbranch_execz .LBB4_4159
; %bb.4152:                             ;   in Loop: Header=BB4_3887 Depth=4
	v_mov_b32_e32 v30, 0
	s_mov_b32 s72, exec_lo
	v_cmpx_ne_u32_e32 0, v50
	s_cbranch_execz .LBB4_4158
; %bb.4153:                             ;   in Loop: Header=BB4_3887 Depth=4
	v_bfe_u32 v30, v50, 23, 8
	v_and_b32_e32 v51, 0x7fffff, v50
	v_sub_nc_u32_e32 v115, 0x70, v30
	v_cmp_gt_u32_e32 vcc_lo, 0x71, v30
	v_or_b32_e32 v40, 0x800000, v51
	v_cndmask_b32_e32 v115, 0, v115, vcc_lo
	v_cmp_eq_u32_e32 vcc_lo, 0, v30
	v_add_nc_u32_e32 v30, 0xffffff91, v30
	v_cndmask_b32_e64 v115, v115, 0x6f, vcc_lo
	v_cndmask_b32_e32 v51, v40, v51, vcc_lo
	v_cndmask_b32_e64 v30, v30, 0xffffff92, vcc_lo
	v_lshl_add_u32 v40, 0x200000, v115, -1
	v_lshrrev_b32_e32 v74, v115, v51
	v_lshlrev_b32_e64 v75, v115, 0x100000
	v_and_b32_e32 v51, v40, v51
	v_bfe_u32 v73, v74, 21, 1
	v_cmp_eq_u32_e64 s16, v51, v75
	v_add_nc_u32_e32 v40, -1, v73
	v_lshrrev_b32_e32 v73, 23, v74
	v_cndmask_b32_e64 v51, 0, v40, s16
	v_add_nc_u32_e32 v40, v115, v30
	v_xor_b32_e32 v73, 1, v73
	s_mov_b32 s16, exec_lo
	v_add_nc_u32_e32 v51, v51, v74
	v_and_b32_e32 v30, 0x1fffff, v51
	v_add_nc_u32_e32 v51, v30, v74
                                        ; implicit-def: $vgpr30
	v_cmpx_ne_u32_e64 v40, v73
	s_xor_b32 s16, exec_lo, s16
; %bb.4154:                             ;   in Loop: Header=BB4_3887 Depth=4
	v_cmp_lt_u32_e32 vcc_lo, 0xffffff, v51
	v_sub_nc_u32_e32 v30, v40, v73
	v_cndmask_b32_e64 v115, 0, 1, vcc_lo
	v_add_co_ci_u32_e64 v30, null, 0, v30, vcc_lo
	v_lshrrev_b32_e32 v51, v115, v51
; %bb.4155:                             ;   in Loop: Header=BB4_3887 Depth=4
	s_andn2_saveexec_b32 s16, s16
; %bb.4156:                             ;   in Loop: Header=BB4_3887 Depth=4
	v_bfe_u32 v30, v51, 23, 1
; %bb.4157:                             ;   in Loop: Header=BB4_3887 Depth=4
	s_or_b32 exec_lo, exec_lo, s16
	v_lshrrev_b32_e32 v51, 21, v51
	v_cmp_gt_i32_e32 vcc_lo, 32, v30
	v_min_i32_e32 v115, 31, v30
	v_and_b32_sdwa v50, v50, v101 dst_sel:DWORD dst_unused:UNUSED_PAD src0_sel:BYTE_3 src1_sel:DWORD
	v_cndmask_b32_e32 v51, 3, v51, vcc_lo
	v_lshlrev_b32_e32 v115, 2, v115
	v_and_b32_e32 v40, 3, v51
	v_or_b32_e32 v30, v30, v51
	v_or3_b32 v50, v115, v50, v40
	v_cmp_ne_u32_e32 vcc_lo, 0, v30
	v_cndmask_b32_e32 v30, 0, v50, vcc_lo
.LBB4_4158:                             ;   in Loop: Header=BB4_3887 Depth=4
	s_or_b32 exec_lo, exec_lo, s72
.LBB4_4159:                             ;   in Loop: Header=BB4_3887 Depth=4
	s_or_b32 exec_lo, exec_lo, s63
	v_cmp_gt_i16_sdwa s63, v64, v100 src0_sel:BYTE_0 src1_sel:DWORD
	s_mov_b32 s16, 0
	s_and_saveexec_b32 s72, s63
	s_xor_b32 s63, exec_lo, s72
	s_cbranch_execz .LBB4_4477
; %bb.4160:                             ;   in Loop: Header=BB4_3887 Depth=4
	v_cmp_eq_u16_sdwa s73, v64, v101 src0_sel:BYTE_0 src1_sel:DWORD
	s_mov_b32 s16, -1
	s_and_saveexec_b32 s72, s73
; %bb.4161:                             ;   in Loop: Header=BB4_3887 Depth=4
	s_xor_b32 s16, exec_lo, -1
; %bb.4162:                             ;   in Loop: Header=BB4_3887 Depth=4
	s_or_b32 exec_lo, exec_lo, s72
	s_and_b32 s16, s16, exec_lo
	s_or_saveexec_b32 s63, s63
	v_mov_b32_e32 v50, 0x7f800001
	s_xor_b32 exec_lo, exec_lo, s63
	s_cbranch_execnz .LBB4_4478
.LBB4_4163:                             ;   in Loop: Header=BB4_3887 Depth=4
	s_or_b32 exec_lo, exec_lo, s63
	s_and_saveexec_b32 s63, s16
	s_cbranch_execz .LBB4_4165
.LBB4_4164:                             ;   in Loop: Header=BB4_3887 Depth=4
	v_and_b32_e32 v50, 3, v64
	v_lshrrev_b16 v115, 2, v64
	v_ffbh_u32_e32 v51, v50
	v_and_b32_e32 v115, 31, v115
	v_min_u32_e32 v51, 32, v51
	v_cmp_eq_u32_e32 vcc_lo, 0, v115
	v_subrev_nc_u32_e32 v40, 29, v51
	v_sub_nc_u32_e32 v51, 30, v51
	v_lshlrev_b32_e32 v40, v40, v64
	v_lshlrev_b32_e32 v64, 24, v64
	v_cndmask_b32_e32 v51, v115, v51, vcc_lo
	v_and_b32_e32 v40, 3, v40
	v_and_b32_e32 v64, 0x80000000, v64
	v_lshl_add_u32 v51, v51, 23, 0x37800000
	v_cndmask_b32_e32 v50, v50, v40, vcc_lo
	v_lshlrev_b32_e32 v50, 21, v50
	v_or3_b32 v50, v64, v51, v50
.LBB4_4165:                             ;   in Loop: Header=BB4_3887 Depth=4
	s_or_b32 exec_lo, exec_lo, s63
	s_waitcnt vmcnt(13) lgkmcnt(13)
	v_cmp_gt_i16_sdwa s63, v97, v100 src0_sel:BYTE_0 src1_sel:DWORD
	s_mov_b32 s16, 0
	s_and_saveexec_b32 s72, s63
	s_xor_b32 s63, exec_lo, s72
	s_cbranch_execz .LBB4_4479
; %bb.4166:                             ;   in Loop: Header=BB4_3887 Depth=4
	v_cmp_eq_u16_sdwa s73, v97, v101 src0_sel:BYTE_0 src1_sel:DWORD
	s_mov_b32 s16, -1
	s_and_saveexec_b32 s72, s73
; %bb.4167:                             ;   in Loop: Header=BB4_3887 Depth=4
	s_xor_b32 s16, exec_lo, -1
; %bb.4168:                             ;   in Loop: Header=BB4_3887 Depth=4
	s_or_b32 exec_lo, exec_lo, s72
	s_and_b32 s16, s16, exec_lo
	s_or_saveexec_b32 s63, s63
	v_mov_b32_e32 v51, 0x7f800001
	s_xor_b32 exec_lo, exec_lo, s63
	s_cbranch_execnz .LBB4_4480
.LBB4_4169:                             ;   in Loop: Header=BB4_3887 Depth=4
	s_or_b32 exec_lo, exec_lo, s63
	s_and_saveexec_b32 s63, s16
	s_cbranch_execz .LBB4_4171
.LBB4_4170:                             ;   in Loop: Header=BB4_3887 Depth=4
	v_and_b32_e32 v51, 3, v97
	v_lshrrev_b16 v115, 2, v97
	v_ffbh_u32_e32 v64, v51
	v_and_b32_e32 v115, 31, v115
	v_min_u32_e32 v64, 32, v64
	v_cmp_eq_u32_e32 vcc_lo, 0, v115
	v_subrev_nc_u32_e32 v40, 29, v64
	v_sub_nc_u32_e32 v64, 30, v64
	v_lshlrev_b32_e32 v40, v40, v97
	v_lshlrev_b32_e32 v97, 24, v97
	v_cndmask_b32_e32 v64, v115, v64, vcc_lo
	v_and_b32_e32 v40, 3, v40
	v_and_b32_e32 v97, 0x80000000, v97
	v_lshl_add_u32 v64, v64, 23, 0x37800000
	v_cndmask_b32_e32 v51, v51, v40, vcc_lo
	v_lshlrev_b32_e32 v51, 21, v51
	v_or3_b32 v51, v97, v64, v51
.LBB4_4171:                             ;   in Loop: Header=BB4_3887 Depth=4
	s_or_b32 exec_lo, exec_lo, s63
	v_add_f32_e32 v50, v50, v51
	v_mov_b32_e32 v64, 0x80
	s_mov_b32 s63, exec_lo
	v_and_b32_e32 v51, 0x7f800000, v50
	v_cmpx_ne_u32_e32 0x7f800000, v51
	s_cbranch_execz .LBB4_4179
; %bb.4172:                             ;   in Loop: Header=BB4_3887 Depth=4
	v_mov_b32_e32 v64, 0
	s_mov_b32 s72, exec_lo
	v_cmpx_ne_u32_e32 0, v50
	s_cbranch_execz .LBB4_4178
; %bb.4173:                             ;   in Loop: Header=BB4_3887 Depth=4
	v_bfe_u32 v51, v50, 23, 8
	v_and_b32_e32 v64, 0x7fffff, v50
	v_sub_nc_u32_e32 v97, 0x70, v51
	v_cmp_gt_u32_e32 vcc_lo, 0x71, v51
	v_or_b32_e32 v115, 0x800000, v64
	v_cndmask_b32_e32 v97, 0, v97, vcc_lo
	v_cmp_eq_u32_e32 vcc_lo, 0, v51
	v_add_nc_u32_e32 v51, 0xffffff91, v51
	v_cndmask_b32_e64 v97, v97, 0x6f, vcc_lo
	v_cndmask_b32_e32 v64, v115, v64, vcc_lo
	v_cndmask_b32_e64 v51, v51, 0xffffff92, vcc_lo
	v_lshl_add_u32 v40, 0x200000, v97, -1
	v_lshrrev_b32_e32 v115, v97, v64
	v_lshlrev_b32_e64 v74, v97, 0x100000
	v_add_nc_u32_e32 v97, v97, v51
	v_and_b32_e32 v64, v40, v64
	v_bfe_u32 v73, v115, 21, 1
	v_cmp_eq_u32_e64 s16, v64, v74
	v_add_nc_u32_e32 v40, -1, v73
	v_cndmask_b32_e64 v64, 0, v40, s16
	v_lshrrev_b32_e32 v40, 23, v115
	s_mov_b32 s16, exec_lo
	v_add_nc_u32_e32 v64, v64, v115
	v_xor_b32_e32 v40, 1, v40
	v_and_b32_e32 v51, 0x1fffff, v64
	v_add_nc_u32_e32 v64, v51, v115
                                        ; implicit-def: $vgpr51
	v_cmpx_ne_u32_e64 v97, v40
	s_xor_b32 s16, exec_lo, s16
; %bb.4174:                             ;   in Loop: Header=BB4_3887 Depth=4
	v_cmp_lt_u32_e32 vcc_lo, 0xffffff, v64
	v_sub_nc_u32_e32 v51, v97, v40
	v_cndmask_b32_e64 v97, 0, 1, vcc_lo
	v_add_co_ci_u32_e64 v51, null, 0, v51, vcc_lo
	v_lshrrev_b32_e32 v64, v97, v64
; %bb.4175:                             ;   in Loop: Header=BB4_3887 Depth=4
	s_andn2_saveexec_b32 s16, s16
; %bb.4176:                             ;   in Loop: Header=BB4_3887 Depth=4
	v_bfe_u32 v51, v64, 23, 1
; %bb.4177:                             ;   in Loop: Header=BB4_3887 Depth=4
	s_or_b32 exec_lo, exec_lo, s16
	v_lshrrev_b32_e32 v64, 21, v64
	v_cmp_gt_i32_e32 vcc_lo, 32, v51
	v_min_i32_e32 v97, 31, v51
	v_and_b32_sdwa v50, v50, v101 dst_sel:DWORD dst_unused:UNUSED_PAD src0_sel:BYTE_3 src1_sel:DWORD
	v_cndmask_b32_e32 v64, 3, v64, vcc_lo
	v_lshlrev_b32_e32 v97, 2, v97
	v_and_b32_e32 v115, 3, v64
	v_or_b32_e32 v51, v51, v64
	v_or3_b32 v50, v97, v50, v115
	v_cmp_ne_u32_e32 vcc_lo, 0, v51
	v_cndmask_b32_e32 v64, 0, v50, vcc_lo
.LBB4_4178:                             ;   in Loop: Header=BB4_3887 Depth=4
	s_or_b32 exec_lo, exec_lo, s72
.LBB4_4179:                             ;   in Loop: Header=BB4_3887 Depth=4
	s_or_b32 exec_lo, exec_lo, s63
	v_cmp_gt_i16_sdwa s63, v59, v100 src0_sel:BYTE_0 src1_sel:DWORD
	s_mov_b32 s16, 0
	s_and_saveexec_b32 s72, s63
	s_xor_b32 s63, exec_lo, s72
	s_cbranch_execz .LBB4_4481
; %bb.4180:                             ;   in Loop: Header=BB4_3887 Depth=4
	v_cmp_eq_u16_sdwa s73, v59, v101 src0_sel:BYTE_0 src1_sel:DWORD
	s_mov_b32 s16, -1
	s_and_saveexec_b32 s72, s73
; %bb.4181:                             ;   in Loop: Header=BB4_3887 Depth=4
	s_xor_b32 s16, exec_lo, -1
; %bb.4182:                             ;   in Loop: Header=BB4_3887 Depth=4
	s_or_b32 exec_lo, exec_lo, s72
	s_and_b32 s16, s16, exec_lo
	s_or_saveexec_b32 s63, s63
	v_mov_b32_e32 v50, 0x7f800001
	s_xor_b32 exec_lo, exec_lo, s63
	s_cbranch_execnz .LBB4_4482
.LBB4_4183:                             ;   in Loop: Header=BB4_3887 Depth=4
	s_or_b32 exec_lo, exec_lo, s63
	s_and_saveexec_b32 s63, s16
	s_cbranch_execz .LBB4_4185
.LBB4_4184:                             ;   in Loop: Header=BB4_3887 Depth=4
	v_and_b32_e32 v50, 3, v59
	v_lshrrev_b16 v97, 2, v59
	v_lshlrev_b32_e32 v40, 24, v59
	v_ffbh_u32_e32 v51, v50
	v_and_b32_e32 v97, 31, v97
	v_min_u32_e32 v51, 32, v51
	v_cmp_eq_u32_e32 vcc_lo, 0, v97
	v_subrev_nc_u32_e32 v115, 29, v51
	v_sub_nc_u32_e32 v51, 30, v51
	v_lshlrev_b32_e32 v115, v115, v59
	v_cndmask_b32_e32 v51, v97, v51, vcc_lo
	v_and_b32_e32 v97, 0x80000000, v40
	v_and_b32_e32 v115, 3, v115
	v_lshl_add_u32 v51, v51, 23, 0x37800000
	v_cndmask_b32_e32 v50, v50, v115, vcc_lo
	v_lshlrev_b32_e32 v50, 21, v50
	v_or3_b32 v50, v97, v51, v50
.LBB4_4185:                             ;   in Loop: Header=BB4_3887 Depth=4
	s_or_b32 exec_lo, exec_lo, s63
	s_waitcnt vmcnt(12) lgkmcnt(12)
	v_cmp_gt_i16_sdwa s63, v72, v100 src0_sel:BYTE_0 src1_sel:DWORD
	s_mov_b32 s16, 0
	s_and_saveexec_b32 s72, s63
	s_xor_b32 s63, exec_lo, s72
	s_cbranch_execz .LBB4_4483
; %bb.4186:                             ;   in Loop: Header=BB4_3887 Depth=4
	v_cmp_eq_u16_sdwa s73, v72, v101 src0_sel:BYTE_0 src1_sel:DWORD
	s_mov_b32 s16, -1
	s_and_saveexec_b32 s72, s73
; %bb.4187:                             ;   in Loop: Header=BB4_3887 Depth=4
	s_xor_b32 s16, exec_lo, -1
; %bb.4188:                             ;   in Loop: Header=BB4_3887 Depth=4
	s_or_b32 exec_lo, exec_lo, s72
	s_and_b32 s16, s16, exec_lo
	s_or_saveexec_b32 s63, s63
	v_mov_b32_e32 v51, 0x7f800001
	s_xor_b32 exec_lo, exec_lo, s63
	s_cbranch_execnz .LBB4_4484
.LBB4_4189:                             ;   in Loop: Header=BB4_3887 Depth=4
	s_or_b32 exec_lo, exec_lo, s63
	s_and_saveexec_b32 s63, s16
	s_cbranch_execz .LBB4_4191
.LBB4_4190:                             ;   in Loop: Header=BB4_3887 Depth=4
	v_and_b32_e32 v51, 3, v72
	v_lshrrev_b16 v115, 2, v72
	v_lshlrev_b32_e32 v59, 24, v72
	v_ffbh_u32_e32 v97, v51
	v_and_b32_e32 v115, 31, v115
	v_min_u32_e32 v97, 32, v97
	v_cmp_eq_u32_e32 vcc_lo, 0, v115
	v_subrev_nc_u32_e32 v40, 29, v97
	v_sub_nc_u32_e32 v97, 30, v97
	v_lshlrev_b32_e32 v40, v40, v72
	v_cndmask_b32_e32 v97, v115, v97, vcc_lo
	v_and_b32_e32 v115, 0x80000000, v59
	v_and_b32_e32 v40, 3, v40
	v_lshl_add_u32 v97, v97, 23, 0x37800000
	v_cndmask_b32_e32 v51, v51, v40, vcc_lo
	v_lshlrev_b32_e32 v51, 21, v51
	v_or3_b32 v51, v115, v97, v51
.LBB4_4191:                             ;   in Loop: Header=BB4_3887 Depth=4
	s_or_b32 exec_lo, exec_lo, s63
	v_add_f32_e32 v50, v50, v51
	v_mov_b32_e32 v59, 0x80
	s_mov_b32 s63, exec_lo
	v_and_b32_e32 v51, 0x7f800000, v50
	v_cmpx_ne_u32_e32 0x7f800000, v51
	s_cbranch_execz .LBB4_4199
; %bb.4192:                             ;   in Loop: Header=BB4_3887 Depth=4
	v_mov_b32_e32 v59, 0
	s_mov_b32 s72, exec_lo
	v_cmpx_ne_u32_e32 0, v50
	s_cbranch_execz .LBB4_4198
; %bb.4193:                             ;   in Loop: Header=BB4_3887 Depth=4
	v_bfe_u32 v51, v50, 23, 8
	v_and_b32_e32 v97, 0x7fffff, v50
	v_sub_nc_u32_e32 v115, 0x70, v51
	v_cmp_gt_u32_e32 vcc_lo, 0x71, v51
	v_or_b32_e32 v40, 0x800000, v97
	v_cndmask_b32_e32 v115, 0, v115, vcc_lo
	v_cmp_eq_u32_e32 vcc_lo, 0, v51
	v_add_nc_u32_e32 v51, 0xffffff91, v51
	v_cndmask_b32_e64 v115, v115, 0x6f, vcc_lo
	v_cndmask_b32_e32 v97, v40, v97, vcc_lo
	v_cndmask_b32_e64 v51, v51, 0xffffff92, vcc_lo
	v_lshl_add_u32 v40, 0x200000, v115, -1
	v_lshrrev_b32_e32 v72, v115, v97
	v_lshlrev_b32_e64 v73, v115, 0x100000
	v_and_b32_e32 v97, v40, v97
	v_bfe_u32 v59, v72, 21, 1
	v_cmp_eq_u32_e64 s16, v97, v73
	v_add_nc_u32_e32 v40, -1, v59
	v_lshrrev_b32_e32 v59, 23, v72
	v_cndmask_b32_e64 v97, 0, v40, s16
	v_add_nc_u32_e32 v40, v115, v51
	v_xor_b32_e32 v59, 1, v59
	s_mov_b32 s16, exec_lo
	v_add_nc_u32_e32 v97, v97, v72
	v_and_b32_e32 v51, 0x1fffff, v97
	v_add_nc_u32_e32 v97, v51, v72
                                        ; implicit-def: $vgpr51
	v_cmpx_ne_u32_e64 v40, v59
	s_xor_b32 s16, exec_lo, s16
; %bb.4194:                             ;   in Loop: Header=BB4_3887 Depth=4
	v_cmp_lt_u32_e32 vcc_lo, 0xffffff, v97
	v_sub_nc_u32_e32 v51, v40, v59
	v_cndmask_b32_e64 v115, 0, 1, vcc_lo
	v_add_co_ci_u32_e64 v51, null, 0, v51, vcc_lo
	v_lshrrev_b32_e32 v97, v115, v97
; %bb.4195:                             ;   in Loop: Header=BB4_3887 Depth=4
	s_andn2_saveexec_b32 s16, s16
; %bb.4196:                             ;   in Loop: Header=BB4_3887 Depth=4
	v_bfe_u32 v51, v97, 23, 1
; %bb.4197:                             ;   in Loop: Header=BB4_3887 Depth=4
	s_or_b32 exec_lo, exec_lo, s16
	v_lshrrev_b32_e32 v97, 21, v97
	v_cmp_gt_i32_e32 vcc_lo, 32, v51
	v_min_i32_e32 v115, 31, v51
	v_and_b32_sdwa v50, v50, v101 dst_sel:DWORD dst_unused:UNUSED_PAD src0_sel:BYTE_3 src1_sel:DWORD
	v_cndmask_b32_e32 v97, 3, v97, vcc_lo
	v_lshlrev_b32_e32 v115, 2, v115
	v_and_b32_e32 v40, 3, v97
	v_or_b32_e32 v51, v51, v97
	v_or3_b32 v50, v115, v50, v40
	v_cmp_ne_u32_e32 vcc_lo, 0, v51
	v_cndmask_b32_e32 v59, 0, v50, vcc_lo
.LBB4_4198:                             ;   in Loop: Header=BB4_3887 Depth=4
	s_or_b32 exec_lo, exec_lo, s72
.LBB4_4199:                             ;   in Loop: Header=BB4_3887 Depth=4
	s_or_b32 exec_lo, exec_lo, s63
	v_cmp_gt_i16_sdwa s63, v60, v100 src0_sel:BYTE_0 src1_sel:DWORD
	s_mov_b32 s16, 0
	s_and_saveexec_b32 s72, s63
	s_xor_b32 s63, exec_lo, s72
	s_cbranch_execz .LBB4_4485
; %bb.4200:                             ;   in Loop: Header=BB4_3887 Depth=4
	v_cmp_eq_u16_sdwa s73, v60, v101 src0_sel:BYTE_0 src1_sel:DWORD
	s_mov_b32 s16, -1
	s_and_saveexec_b32 s72, s73
; %bb.4201:                             ;   in Loop: Header=BB4_3887 Depth=4
	s_xor_b32 s16, exec_lo, -1
; %bb.4202:                             ;   in Loop: Header=BB4_3887 Depth=4
	s_or_b32 exec_lo, exec_lo, s72
	s_and_b32 s16, s16, exec_lo
	s_or_saveexec_b32 s63, s63
	v_mov_b32_e32 v50, 0x7f800001
	s_xor_b32 exec_lo, exec_lo, s63
	s_cbranch_execnz .LBB4_4486
.LBB4_4203:                             ;   in Loop: Header=BB4_3887 Depth=4
	s_or_b32 exec_lo, exec_lo, s63
	s_and_saveexec_b32 s63, s16
	s_cbranch_execz .LBB4_4205
.LBB4_4204:                             ;   in Loop: Header=BB4_3887 Depth=4
	v_and_b32_e32 v50, 3, v60
	v_lshrrev_b16 v97, 2, v60
	v_lshlrev_b32_e32 v40, 24, v60
	v_ffbh_u32_e32 v51, v50
	v_and_b32_e32 v97, 31, v97
	v_min_u32_e32 v51, 32, v51
	v_cmp_eq_u32_e32 vcc_lo, 0, v97
	v_subrev_nc_u32_e32 v115, 29, v51
	v_sub_nc_u32_e32 v51, 30, v51
	v_lshlrev_b32_e32 v115, v115, v60
	v_cndmask_b32_e32 v51, v97, v51, vcc_lo
	v_and_b32_e32 v97, 0x80000000, v40
	v_and_b32_e32 v115, 3, v115
	v_lshl_add_u32 v51, v51, 23, 0x37800000
	v_cndmask_b32_e32 v50, v50, v115, vcc_lo
	v_lshlrev_b32_e32 v50, 21, v50
	v_or3_b32 v50, v97, v51, v50
.LBB4_4205:                             ;   in Loop: Header=BB4_3887 Depth=4
	s_or_b32 exec_lo, exec_lo, s63
	s_waitcnt vmcnt(11) lgkmcnt(11)
	v_cmp_gt_i16_sdwa s63, v1, v100 src0_sel:BYTE_0 src1_sel:DWORD
	s_mov_b32 s16, 0
	s_and_saveexec_b32 s72, s63
	s_xor_b32 s63, exec_lo, s72
	s_cbranch_execz .LBB4_4487
; %bb.4206:                             ;   in Loop: Header=BB4_3887 Depth=4
	v_cmp_eq_u16_sdwa s73, v1, v101 src0_sel:BYTE_0 src1_sel:DWORD
	s_mov_b32 s16, -1
	s_and_saveexec_b32 s72, s73
; %bb.4207:                             ;   in Loop: Header=BB4_3887 Depth=4
	s_xor_b32 s16, exec_lo, -1
; %bb.4208:                             ;   in Loop: Header=BB4_3887 Depth=4
	s_or_b32 exec_lo, exec_lo, s72
	s_and_b32 s16, s16, exec_lo
	s_or_saveexec_b32 s63, s63
	v_mov_b32_e32 v51, 0x7f800001
	s_xor_b32 exec_lo, exec_lo, s63
	s_cbranch_execnz .LBB4_4488
.LBB4_4209:                             ;   in Loop: Header=BB4_3887 Depth=4
	s_or_b32 exec_lo, exec_lo, s63
	s_and_saveexec_b32 s63, s16
	s_cbranch_execz .LBB4_4211
.LBB4_4210:                             ;   in Loop: Header=BB4_3887 Depth=4
	v_and_b32_e32 v51, 3, v1
	v_lshrrev_b16 v115, 2, v1
	v_ffbh_u32_e32 v97, v51
	v_and_b32_e32 v115, 31, v115
	v_min_u32_e32 v97, 32, v97
	v_cmp_eq_u32_e32 vcc_lo, 0, v115
	v_subrev_nc_u32_e32 v40, 29, v97
	v_sub_nc_u32_e32 v97, 30, v97
	v_lshlrev_b32_e32 v40, v40, v1
	v_lshlrev_b32_e32 v1, 24, v1
	v_cndmask_b32_e32 v97, v115, v97, vcc_lo
	v_and_b32_e32 v40, 3, v40
	v_and_b32_e32 v1, 0x80000000, v1
	v_lshl_add_u32 v97, v97, 23, 0x37800000
	v_cndmask_b32_e32 v51, v51, v40, vcc_lo
	v_lshlrev_b32_e32 v51, 21, v51
	v_or3_b32 v51, v1, v97, v51
.LBB4_4211:                             ;   in Loop: Header=BB4_3887 Depth=4
	s_or_b32 exec_lo, exec_lo, s63
	v_add_f32_e32 v1, v50, v51
	v_mov_b32_e32 v60, 0x80
	s_mov_b32 s63, exec_lo
	v_and_b32_e32 v50, 0x7f800000, v1
	v_cmpx_ne_u32_e32 0x7f800000, v50
	s_cbranch_execz .LBB4_4219
; %bb.4212:                             ;   in Loop: Header=BB4_3887 Depth=4
	v_mov_b32_e32 v60, 0
	s_mov_b32 s72, exec_lo
	v_cmpx_ne_u32_e32 0, v1
	s_cbranch_execz .LBB4_4218
; %bb.4213:                             ;   in Loop: Header=BB4_3887 Depth=4
	v_bfe_u32 v50, v1, 23, 8
	v_and_b32_e32 v51, 0x7fffff, v1
	v_sub_nc_u32_e32 v97, 0x70, v50
	v_cmp_gt_u32_e32 vcc_lo, 0x71, v50
	v_or_b32_e32 v115, 0x800000, v51
	v_cndmask_b32_e32 v97, 0, v97, vcc_lo
	v_cmp_eq_u32_e32 vcc_lo, 0, v50
	v_add_nc_u32_e32 v50, 0xffffff91, v50
	v_cndmask_b32_e64 v97, v97, 0x6f, vcc_lo
	v_cndmask_b32_e32 v51, v115, v51, vcc_lo
	v_cndmask_b32_e64 v50, v50, 0xffffff92, vcc_lo
	v_lshl_add_u32 v40, 0x200000, v97, -1
	v_lshrrev_b32_e32 v115, v97, v51
	v_lshlrev_b32_e64 v72, v97, 0x100000
	v_add_nc_u32_e32 v97, v97, v50
	v_and_b32_e32 v51, v40, v51
	v_bfe_u32 v60, v115, 21, 1
	v_cmp_eq_u32_e64 s16, v51, v72
	v_add_nc_u32_e32 v40, -1, v60
	v_cndmask_b32_e64 v51, 0, v40, s16
	v_lshrrev_b32_e32 v40, 23, v115
	s_mov_b32 s16, exec_lo
	v_add_nc_u32_e32 v51, v51, v115
	v_xor_b32_e32 v40, 1, v40
	v_and_b32_e32 v50, 0x1fffff, v51
	v_add_nc_u32_e32 v51, v50, v115
                                        ; implicit-def: $vgpr50
	v_cmpx_ne_u32_e64 v97, v40
	s_xor_b32 s16, exec_lo, s16
; %bb.4214:                             ;   in Loop: Header=BB4_3887 Depth=4
	v_cmp_lt_u32_e32 vcc_lo, 0xffffff, v51
	v_sub_nc_u32_e32 v50, v97, v40
	v_cndmask_b32_e64 v97, 0, 1, vcc_lo
	v_add_co_ci_u32_e64 v50, null, 0, v50, vcc_lo
	v_lshrrev_b32_e32 v51, v97, v51
; %bb.4215:                             ;   in Loop: Header=BB4_3887 Depth=4
	s_andn2_saveexec_b32 s16, s16
; %bb.4216:                             ;   in Loop: Header=BB4_3887 Depth=4
	v_bfe_u32 v50, v51, 23, 1
; %bb.4217:                             ;   in Loop: Header=BB4_3887 Depth=4
	s_or_b32 exec_lo, exec_lo, s16
	v_lshrrev_b32_e32 v51, 21, v51
	v_cmp_gt_i32_e32 vcc_lo, 32, v50
	v_min_i32_e32 v97, 31, v50
	v_and_b32_sdwa v1, v1, v101 dst_sel:DWORD dst_unused:UNUSED_PAD src0_sel:BYTE_3 src1_sel:DWORD
	v_cndmask_b32_e32 v51, 3, v51, vcc_lo
	v_lshlrev_b32_e32 v97, 2, v97
	v_and_b32_e32 v115, 3, v51
	v_or_b32_e32 v50, v50, v51
	v_or3_b32 v1, v97, v1, v115
	v_cmp_ne_u32_e32 vcc_lo, 0, v50
	v_cndmask_b32_e32 v60, 0, v1, vcc_lo
.LBB4_4218:                             ;   in Loop: Header=BB4_3887 Depth=4
	s_or_b32 exec_lo, exec_lo, s72
.LBB4_4219:                             ;   in Loop: Header=BB4_3887 Depth=4
	s_or_b32 exec_lo, exec_lo, s63
	v_cmp_gt_i16_sdwa s63, v81, v100 src0_sel:BYTE_0 src1_sel:DWORD
	s_mov_b32 s16, 0
	s_and_saveexec_b32 s72, s63
	s_xor_b32 s63, exec_lo, s72
	s_cbranch_execz .LBB4_4489
; %bb.4220:                             ;   in Loop: Header=BB4_3887 Depth=4
	v_cmp_eq_u16_sdwa s73, v81, v101 src0_sel:BYTE_0 src1_sel:DWORD
	s_mov_b32 s16, -1
	s_and_saveexec_b32 s72, s73
; %bb.4221:                             ;   in Loop: Header=BB4_3887 Depth=4
	s_xor_b32 s16, exec_lo, -1
; %bb.4222:                             ;   in Loop: Header=BB4_3887 Depth=4
	s_or_b32 exec_lo, exec_lo, s72
	s_and_b32 s16, s16, exec_lo
	s_or_saveexec_b32 s63, s63
	v_mov_b32_e32 v1, 0x7f800001
	s_xor_b32 exec_lo, exec_lo, s63
	s_cbranch_execnz .LBB4_4490
.LBB4_4223:                             ;   in Loop: Header=BB4_3887 Depth=4
	s_or_b32 exec_lo, exec_lo, s63
	s_and_saveexec_b32 s63, s16
	s_cbranch_execz .LBB4_4225
.LBB4_4224:                             ;   in Loop: Header=BB4_3887 Depth=4
	v_and_b32_e32 v1, 3, v81
	v_lshrrev_b16 v51, 2, v81
	v_ffbh_u32_e32 v50, v1
	v_and_b32_e32 v51, 31, v51
	v_min_u32_e32 v50, 32, v50
	v_cmp_eq_u32_e32 vcc_lo, 0, v51
	v_subrev_nc_u32_e32 v97, 29, v50
	v_sub_nc_u32_e32 v50, 30, v50
	v_lshlrev_b32_e32 v97, v97, v81
	v_lshlrev_b32_e32 v81, 24, v81
	v_cndmask_b32_e32 v50, v51, v50, vcc_lo
	v_and_b32_e32 v97, 3, v97
	v_and_b32_e32 v51, 0x80000000, v81
	v_lshl_add_u32 v50, v50, 23, 0x37800000
	v_cndmask_b32_e32 v1, v1, v97, vcc_lo
	v_lshlrev_b32_e32 v1, 21, v1
	v_or3_b32 v1, v51, v50, v1
.LBB4_4225:                             ;   in Loop: Header=BB4_3887 Depth=4
	s_or_b32 exec_lo, exec_lo, s63
	s_waitcnt vmcnt(10) lgkmcnt(10)
	v_cmp_gt_i16_sdwa s63, v35, v100 src0_sel:BYTE_0 src1_sel:DWORD
	s_mov_b32 s16, 0
	s_and_saveexec_b32 s72, s63
	s_xor_b32 s63, exec_lo, s72
	s_cbranch_execz .LBB4_4491
; %bb.4226:                             ;   in Loop: Header=BB4_3887 Depth=4
	v_cmp_eq_u16_sdwa s73, v35, v101 src0_sel:BYTE_0 src1_sel:DWORD
	s_mov_b32 s16, -1
	s_and_saveexec_b32 s72, s73
; %bb.4227:                             ;   in Loop: Header=BB4_3887 Depth=4
	s_xor_b32 s16, exec_lo, -1
; %bb.4228:                             ;   in Loop: Header=BB4_3887 Depth=4
	s_or_b32 exec_lo, exec_lo, s72
	s_and_b32 s16, s16, exec_lo
	s_or_saveexec_b32 s63, s63
	v_mov_b32_e32 v50, 0x7f800001
	s_xor_b32 exec_lo, exec_lo, s63
	s_cbranch_execnz .LBB4_4492
.LBB4_4229:                             ;   in Loop: Header=BB4_3887 Depth=4
	s_or_b32 exec_lo, exec_lo, s63
	s_and_saveexec_b32 s63, s16
	s_cbranch_execz .LBB4_4231
.LBB4_4230:                             ;   in Loop: Header=BB4_3887 Depth=4
	v_and_b32_e32 v50, 3, v35
	v_lshrrev_b16 v81, 2, v35
	v_ffbh_u32_e32 v51, v50
	v_and_b32_e32 v81, 31, v81
	v_min_u32_e32 v51, 32, v51
	v_cmp_eq_u32_e32 vcc_lo, 0, v81
	v_subrev_nc_u32_e32 v97, 29, v51
	v_sub_nc_u32_e32 v51, 30, v51
	v_lshlrev_b32_e32 v97, v97, v35
	v_lshlrev_b32_e32 v35, 24, v35
	v_cndmask_b32_e32 v51, v81, v51, vcc_lo
	v_and_b32_e32 v97, 3, v97
	v_and_b32_e32 v35, 0x80000000, v35
	v_lshl_add_u32 v51, v51, 23, 0x37800000
	v_cndmask_b32_e32 v50, v50, v97, vcc_lo
	v_lshlrev_b32_e32 v50, 21, v50
	v_or3_b32 v50, v35, v51, v50
.LBB4_4231:                             ;   in Loop: Header=BB4_3887 Depth=4
	s_or_b32 exec_lo, exec_lo, s63
	v_add_f32_e32 v1, v1, v50
	v_and_b32_e32 v35, 0x7f800000, v1
	v_cmp_ne_u32_e32 vcc_lo, 0x7f800000, v35
	v_mov_b32_e32 v35, 0x80
	s_and_saveexec_b32 s63, vcc_lo
	s_cbranch_execz .LBB4_4239
; %bb.4232:                             ;   in Loop: Header=BB4_3887 Depth=4
	v_mov_b32_e32 v35, 0
	s_mov_b32 s72, exec_lo
	v_cmpx_ne_u32_e32 0, v1
	s_cbranch_execz .LBB4_4238
; %bb.4233:                             ;   in Loop: Header=BB4_3887 Depth=4
	v_bfe_u32 v35, v1, 23, 8
	v_and_b32_e32 v50, 0x7fffff, v1
	v_sub_nc_u32_e32 v51, 0x70, v35
	v_cmp_gt_u32_e32 vcc_lo, 0x71, v35
	v_or_b32_e32 v81, 0x800000, v50
	v_cndmask_b32_e32 v51, 0, v51, vcc_lo
	v_cmp_eq_u32_e32 vcc_lo, 0, v35
	v_add_nc_u32_e32 v35, 0xffffff91, v35
	v_cndmask_b32_e64 v51, v51, 0x6f, vcc_lo
	v_cndmask_b32_e32 v50, v81, v50, vcc_lo
	v_cndmask_b32_e64 v35, v35, 0xffffff92, vcc_lo
	v_lshl_add_u32 v81, 0x200000, v51, -1
	v_lshrrev_b32_e32 v97, v51, v50
	v_lshlrev_b32_e64 v40, v51, 0x100000
	v_add_nc_u32_e32 v51, v51, v35
	v_and_b32_e32 v50, v81, v50
	v_bfe_u32 v115, v97, 21, 1
	v_cmp_eq_u32_e64 s16, v50, v40
	v_add_nc_u32_e32 v81, -1, v115
	v_cndmask_b32_e64 v50, 0, v81, s16
	v_lshrrev_b32_e32 v81, 23, v97
	s_mov_b32 s16, exec_lo
	v_add_nc_u32_e32 v50, v50, v97
	v_xor_b32_e32 v81, 1, v81
	v_and_b32_e32 v35, 0x1fffff, v50
	v_add_nc_u32_e32 v50, v35, v97
                                        ; implicit-def: $vgpr35
	v_cmpx_ne_u32_e64 v51, v81
	s_xor_b32 s16, exec_lo, s16
; %bb.4234:                             ;   in Loop: Header=BB4_3887 Depth=4
	v_cmp_lt_u32_e32 vcc_lo, 0xffffff, v50
	v_sub_nc_u32_e32 v35, v51, v81
	v_cndmask_b32_e64 v51, 0, 1, vcc_lo
	v_add_co_ci_u32_e64 v35, null, 0, v35, vcc_lo
	v_lshrrev_b32_e32 v50, v51, v50
; %bb.4235:                             ;   in Loop: Header=BB4_3887 Depth=4
	s_andn2_saveexec_b32 s16, s16
; %bb.4236:                             ;   in Loop: Header=BB4_3887 Depth=4
	v_bfe_u32 v35, v50, 23, 1
; %bb.4237:                             ;   in Loop: Header=BB4_3887 Depth=4
	s_or_b32 exec_lo, exec_lo, s16
	v_lshrrev_b32_e32 v50, 21, v50
	v_cmp_gt_i32_e32 vcc_lo, 32, v35
	v_min_i32_e32 v51, 31, v35
	v_and_b32_sdwa v1, v1, v101 dst_sel:DWORD dst_unused:UNUSED_PAD src0_sel:BYTE_3 src1_sel:DWORD
	v_cndmask_b32_e32 v50, 3, v50, vcc_lo
	v_lshlrev_b32_e32 v51, 2, v51
	v_and_b32_e32 v81, 3, v50
	v_or_b32_e32 v35, v35, v50
	v_or3_b32 v1, v51, v1, v81
	v_cmp_ne_u32_e32 vcc_lo, 0, v35
	v_cndmask_b32_e32 v35, 0, v1, vcc_lo
.LBB4_4238:                             ;   in Loop: Header=BB4_3887 Depth=4
	s_or_b32 exec_lo, exec_lo, s72
.LBB4_4239:                             ;   in Loop: Header=BB4_3887 Depth=4
	s_or_b32 exec_lo, exec_lo, s63
	v_cmp_gt_i16_sdwa s63, v66, v100 src0_sel:BYTE_0 src1_sel:DWORD
	s_mov_b32 s16, 0
	s_and_saveexec_b32 s72, s63
	s_xor_b32 s63, exec_lo, s72
	s_cbranch_execz .LBB4_4493
; %bb.4240:                             ;   in Loop: Header=BB4_3887 Depth=4
	v_cmp_eq_u16_sdwa s73, v66, v101 src0_sel:BYTE_0 src1_sel:DWORD
	s_mov_b32 s16, -1
	s_and_saveexec_b32 s72, s73
; %bb.4241:                             ;   in Loop: Header=BB4_3887 Depth=4
	s_xor_b32 s16, exec_lo, -1
; %bb.4242:                             ;   in Loop: Header=BB4_3887 Depth=4
	s_or_b32 exec_lo, exec_lo, s72
	s_and_b32 s16, s16, exec_lo
	s_or_saveexec_b32 s63, s63
	v_mov_b32_e32 v1, 0x7f800001
	s_xor_b32 exec_lo, exec_lo, s63
	s_cbranch_execnz .LBB4_4494
.LBB4_4243:                             ;   in Loop: Header=BB4_3887 Depth=4
	s_or_b32 exec_lo, exec_lo, s63
	s_and_saveexec_b32 s63, s16
	s_cbranch_execz .LBB4_4245
.LBB4_4244:                             ;   in Loop: Header=BB4_3887 Depth=4
	v_and_b32_e32 v1, 3, v66
	v_lshrrev_b16 v51, 2, v66
	v_ffbh_u32_e32 v50, v1
	v_and_b32_e32 v51, 31, v51
	v_min_u32_e32 v50, 32, v50
	v_cmp_eq_u32_e32 vcc_lo, 0, v51
	v_subrev_nc_u32_e32 v81, 29, v50
	v_sub_nc_u32_e32 v50, 30, v50
	v_lshlrev_b32_e32 v81, v81, v66
	v_lshlrev_b32_e32 v66, 24, v66
	v_cndmask_b32_e32 v50, v51, v50, vcc_lo
	v_and_b32_e32 v81, 3, v81
	v_and_b32_e32 v51, 0x80000000, v66
	v_lshl_add_u32 v50, v50, 23, 0x37800000
	v_cndmask_b32_e32 v1, v1, v81, vcc_lo
	v_lshlrev_b32_e32 v1, 21, v1
	v_or3_b32 v1, v51, v50, v1
.LBB4_4245:                             ;   in Loop: Header=BB4_3887 Depth=4
	s_or_b32 exec_lo, exec_lo, s63
	s_waitcnt vmcnt(9) lgkmcnt(9)
	v_cmp_gt_i16_sdwa s63, v31, v100 src0_sel:BYTE_0 src1_sel:DWORD
	s_mov_b32 s16, 0
	s_and_saveexec_b32 s72, s63
	s_xor_b32 s63, exec_lo, s72
	s_cbranch_execz .LBB4_4495
; %bb.4246:                             ;   in Loop: Header=BB4_3887 Depth=4
	v_cmp_eq_u16_sdwa s73, v31, v101 src0_sel:BYTE_0 src1_sel:DWORD
	s_mov_b32 s16, -1
	s_and_saveexec_b32 s72, s73
; %bb.4247:                             ;   in Loop: Header=BB4_3887 Depth=4
	s_xor_b32 s16, exec_lo, -1
; %bb.4248:                             ;   in Loop: Header=BB4_3887 Depth=4
	s_or_b32 exec_lo, exec_lo, s72
	s_and_b32 s16, s16, exec_lo
	s_or_saveexec_b32 s63, s63
	v_mov_b32_e32 v50, 0x7f800001
	s_xor_b32 exec_lo, exec_lo, s63
	s_cbranch_execnz .LBB4_4496
.LBB4_4249:                             ;   in Loop: Header=BB4_3887 Depth=4
	s_or_b32 exec_lo, exec_lo, s63
	s_and_saveexec_b32 s63, s16
	s_cbranch_execz .LBB4_4251
.LBB4_4250:                             ;   in Loop: Header=BB4_3887 Depth=4
	v_and_b32_e32 v50, 3, v31
	v_lshrrev_b16 v66, 2, v31
	v_ffbh_u32_e32 v51, v50
	v_and_b32_e32 v66, 31, v66
	v_min_u32_e32 v51, 32, v51
	v_cmp_eq_u32_e32 vcc_lo, 0, v66
	v_subrev_nc_u32_e32 v81, 29, v51
	v_sub_nc_u32_e32 v51, 30, v51
	v_lshlrev_b32_e32 v81, v81, v31
	v_lshlrev_b32_e32 v31, 24, v31
	v_cndmask_b32_e32 v51, v66, v51, vcc_lo
	v_and_b32_e32 v81, 3, v81
	v_and_b32_e32 v31, 0x80000000, v31
	v_lshl_add_u32 v51, v51, 23, 0x37800000
	v_cndmask_b32_e32 v50, v50, v81, vcc_lo
	v_lshlrev_b32_e32 v50, 21, v50
	v_or3_b32 v50, v31, v51, v50
.LBB4_4251:                             ;   in Loop: Header=BB4_3887 Depth=4
	s_or_b32 exec_lo, exec_lo, s63
	v_add_f32_e32 v1, v1, v50
	v_mov_b32_e32 v66, 0x80
	s_mov_b32 s63, exec_lo
	v_and_b32_e32 v31, 0x7f800000, v1
	v_cmpx_ne_u32_e32 0x7f800000, v31
	s_cbranch_execz .LBB4_4259
; %bb.4252:                             ;   in Loop: Header=BB4_3887 Depth=4
	v_mov_b32_e32 v66, 0
	s_mov_b32 s72, exec_lo
	v_cmpx_ne_u32_e32 0, v1
	s_cbranch_execz .LBB4_4258
; %bb.4253:                             ;   in Loop: Header=BB4_3887 Depth=4
	v_bfe_u32 v31, v1, 23, 8
	v_and_b32_e32 v50, 0x7fffff, v1
	v_sub_nc_u32_e32 v51, 0x70, v31
	v_cmp_gt_u32_e32 vcc_lo, 0x71, v31
	v_or_b32_e32 v66, 0x800000, v50
	v_cndmask_b32_e32 v51, 0, v51, vcc_lo
	v_cmp_eq_u32_e32 vcc_lo, 0, v31
	v_add_nc_u32_e32 v31, 0xffffff91, v31
	v_cndmask_b32_e64 v51, v51, 0x6f, vcc_lo
	v_cndmask_b32_e32 v50, v66, v50, vcc_lo
	v_cndmask_b32_e64 v31, v31, 0xffffff92, vcc_lo
	v_lshl_add_u32 v66, 0x200000, v51, -1
	v_lshrrev_b32_e32 v81, v51, v50
	v_lshlrev_b32_e64 v115, v51, 0x100000
	v_add_nc_u32_e32 v51, v51, v31
	v_and_b32_e32 v50, v66, v50
	v_bfe_u32 v97, v81, 21, 1
	v_cmp_eq_u32_e64 s16, v50, v115
	v_add_nc_u32_e32 v66, -1, v97
	v_cndmask_b32_e64 v50, 0, v66, s16
	v_lshrrev_b32_e32 v66, 23, v81
	s_mov_b32 s16, exec_lo
	v_add_nc_u32_e32 v50, v50, v81
	v_xor_b32_e32 v66, 1, v66
	v_and_b32_e32 v31, 0x1fffff, v50
	v_add_nc_u32_e32 v50, v31, v81
                                        ; implicit-def: $vgpr31
	v_cmpx_ne_u32_e64 v51, v66
	s_xor_b32 s16, exec_lo, s16
; %bb.4254:                             ;   in Loop: Header=BB4_3887 Depth=4
	v_cmp_lt_u32_e32 vcc_lo, 0xffffff, v50
	v_sub_nc_u32_e32 v31, v51, v66
	v_cndmask_b32_e64 v51, 0, 1, vcc_lo
	v_add_co_ci_u32_e64 v31, null, 0, v31, vcc_lo
	v_lshrrev_b32_e32 v50, v51, v50
; %bb.4255:                             ;   in Loop: Header=BB4_3887 Depth=4
	s_andn2_saveexec_b32 s16, s16
; %bb.4256:                             ;   in Loop: Header=BB4_3887 Depth=4
	v_bfe_u32 v31, v50, 23, 1
; %bb.4257:                             ;   in Loop: Header=BB4_3887 Depth=4
	s_or_b32 exec_lo, exec_lo, s16
	v_lshrrev_b32_e32 v50, 21, v50
	v_cmp_gt_i32_e32 vcc_lo, 32, v31
	v_min_i32_e32 v51, 31, v31
	v_and_b32_sdwa v1, v1, v101 dst_sel:DWORD dst_unused:UNUSED_PAD src0_sel:BYTE_3 src1_sel:DWORD
	v_cndmask_b32_e32 v50, 3, v50, vcc_lo
	v_lshlrev_b32_e32 v51, 2, v51
	v_and_b32_e32 v66, 3, v50
	v_or_b32_e32 v31, v31, v50
	v_or3_b32 v1, v51, v1, v66
	v_cmp_ne_u32_e32 vcc_lo, 0, v31
	v_cndmask_b32_e32 v66, 0, v1, vcc_lo
.LBB4_4258:                             ;   in Loop: Header=BB4_3887 Depth=4
	s_or_b32 exec_lo, exec_lo, s72
.LBB4_4259:                             ;   in Loop: Header=BB4_3887 Depth=4
	s_or_b32 exec_lo, exec_lo, s63
	v_cmp_gt_i16_sdwa s63, v65, v100 src0_sel:BYTE_0 src1_sel:DWORD
	s_mov_b32 s16, 0
	s_and_saveexec_b32 s72, s63
	s_xor_b32 s63, exec_lo, s72
	s_cbranch_execz .LBB4_4497
; %bb.4260:                             ;   in Loop: Header=BB4_3887 Depth=4
	v_cmp_eq_u16_sdwa s73, v65, v101 src0_sel:BYTE_0 src1_sel:DWORD
	s_mov_b32 s16, -1
	s_and_saveexec_b32 s72, s73
; %bb.4261:                             ;   in Loop: Header=BB4_3887 Depth=4
	s_xor_b32 s16, exec_lo, -1
; %bb.4262:                             ;   in Loop: Header=BB4_3887 Depth=4
	s_or_b32 exec_lo, exec_lo, s72
	s_and_b32 s16, s16, exec_lo
	s_or_saveexec_b32 s63, s63
	v_mov_b32_e32 v1, 0x7f800001
	s_xor_b32 exec_lo, exec_lo, s63
	s_cbranch_execnz .LBB4_4498
.LBB4_4263:                             ;   in Loop: Header=BB4_3887 Depth=4
	s_or_b32 exec_lo, exec_lo, s63
	s_and_saveexec_b32 s63, s16
	s_cbranch_execz .LBB4_4265
.LBB4_4264:                             ;   in Loop: Header=BB4_3887 Depth=4
	v_and_b32_e32 v1, 3, v65
	v_lshrrev_b16 v50, 2, v65
	v_ffbh_u32_e32 v31, v1
	v_and_b32_e32 v50, 31, v50
	v_min_u32_e32 v31, 32, v31
	v_cmp_eq_u32_e32 vcc_lo, 0, v50
	v_subrev_nc_u32_e32 v51, 29, v31
	v_sub_nc_u32_e32 v31, 30, v31
	v_lshlrev_b32_e32 v51, v51, v65
	v_lshlrev_b32_e32 v65, 24, v65
	v_cndmask_b32_e32 v31, v50, v31, vcc_lo
	v_and_b32_e32 v51, 3, v51
	v_and_b32_e32 v50, 0x80000000, v65
	v_lshl_add_u32 v31, v31, 23, 0x37800000
	v_cndmask_b32_e32 v1, v1, v51, vcc_lo
	v_lshlrev_b32_e32 v1, 21, v1
	v_or3_b32 v1, v50, v31, v1
.LBB4_4265:                             ;   in Loop: Header=BB4_3887 Depth=4
	s_or_b32 exec_lo, exec_lo, s63
	s_waitcnt vmcnt(8) lgkmcnt(8)
	v_cmp_gt_i16_sdwa s63, v96, v100 src0_sel:BYTE_0 src1_sel:DWORD
	s_mov_b32 s16, 0
	s_and_saveexec_b32 s72, s63
	s_xor_b32 s63, exec_lo, s72
	s_cbranch_execz .LBB4_4499
; %bb.4266:                             ;   in Loop: Header=BB4_3887 Depth=4
	v_cmp_eq_u16_sdwa s73, v96, v101 src0_sel:BYTE_0 src1_sel:DWORD
	s_mov_b32 s16, -1
	s_and_saveexec_b32 s72, s73
; %bb.4267:                             ;   in Loop: Header=BB4_3887 Depth=4
	s_xor_b32 s16, exec_lo, -1
; %bb.4268:                             ;   in Loop: Header=BB4_3887 Depth=4
	s_or_b32 exec_lo, exec_lo, s72
	s_and_b32 s16, s16, exec_lo
	s_or_saveexec_b32 s63, s63
	v_mov_b32_e32 v31, 0x7f800001
	s_xor_b32 exec_lo, exec_lo, s63
	s_cbranch_execnz .LBB4_4500
.LBB4_4269:                             ;   in Loop: Header=BB4_3887 Depth=4
	s_or_b32 exec_lo, exec_lo, s63
	s_and_saveexec_b32 s63, s16
	s_cbranch_execz .LBB4_4271
.LBB4_4270:                             ;   in Loop: Header=BB4_3887 Depth=4
	v_and_b32_e32 v31, 3, v96
	v_lshrrev_b16 v51, 2, v96
	v_lshlrev_b32_e32 v81, 24, v96
	v_ffbh_u32_e32 v50, v31
	v_and_b32_e32 v51, 31, v51
	v_min_u32_e32 v50, 32, v50
	v_cmp_eq_u32_e32 vcc_lo, 0, v51
	v_subrev_nc_u32_e32 v65, 29, v50
	v_sub_nc_u32_e32 v50, 30, v50
	v_lshlrev_b32_e32 v65, v65, v96
	v_cndmask_b32_e32 v50, v51, v50, vcc_lo
	v_and_b32_e32 v51, 0x80000000, v81
	v_and_b32_e32 v65, 3, v65
	v_lshl_add_u32 v50, v50, 23, 0x37800000
	v_cndmask_b32_e32 v31, v31, v65, vcc_lo
	v_lshlrev_b32_e32 v31, 21, v31
	v_or3_b32 v31, v51, v50, v31
.LBB4_4271:                             ;   in Loop: Header=BB4_3887 Depth=4
	s_or_b32 exec_lo, exec_lo, s63
	v_add_f32_e32 v1, v1, v31
	v_mov_b32_e32 v65, 0x80
	s_mov_b32 s63, exec_lo
	v_and_b32_e32 v31, 0x7f800000, v1
	v_cmpx_ne_u32_e32 0x7f800000, v31
	s_cbranch_execz .LBB4_4279
; %bb.4272:                             ;   in Loop: Header=BB4_3887 Depth=4
	v_mov_b32_e32 v65, 0
	s_mov_b32 s72, exec_lo
	v_cmpx_ne_u32_e32 0, v1
	s_cbranch_execz .LBB4_4278
; %bb.4273:                             ;   in Loop: Header=BB4_3887 Depth=4
	v_bfe_u32 v31, v1, 23, 8
	v_and_b32_e32 v50, 0x7fffff, v1
	v_sub_nc_u32_e32 v51, 0x70, v31
	v_cmp_gt_u32_e32 vcc_lo, 0x71, v31
	v_or_b32_e32 v65, 0x800000, v50
	v_cndmask_b32_e32 v51, 0, v51, vcc_lo
	v_cmp_eq_u32_e32 vcc_lo, 0, v31
	v_add_nc_u32_e32 v31, 0xffffff91, v31
	v_cndmask_b32_e64 v51, v51, 0x6f, vcc_lo
	v_cndmask_b32_e32 v50, v65, v50, vcc_lo
	v_cndmask_b32_e64 v31, v31, 0xffffff92, vcc_lo
	v_lshl_add_u32 v65, 0x200000, v51, -1
	v_lshrrev_b32_e32 v81, v51, v50
	v_lshlrev_b32_e64 v97, v51, 0x100000
	v_add_nc_u32_e32 v51, v51, v31
	v_and_b32_e32 v50, v65, v50
	v_bfe_u32 v96, v81, 21, 1
	v_cmp_eq_u32_e64 s16, v50, v97
	v_add_nc_u32_e32 v65, -1, v96
	v_cndmask_b32_e64 v50, 0, v65, s16
	v_lshrrev_b32_e32 v65, 23, v81
	s_mov_b32 s16, exec_lo
	v_add_nc_u32_e32 v50, v50, v81
	v_xor_b32_e32 v65, 1, v65
	v_and_b32_e32 v31, 0x1fffff, v50
	v_add_nc_u32_e32 v50, v31, v81
                                        ; implicit-def: $vgpr31
	v_cmpx_ne_u32_e64 v51, v65
	s_xor_b32 s16, exec_lo, s16
; %bb.4274:                             ;   in Loop: Header=BB4_3887 Depth=4
	v_cmp_lt_u32_e32 vcc_lo, 0xffffff, v50
	v_sub_nc_u32_e32 v31, v51, v65
	v_cndmask_b32_e64 v51, 0, 1, vcc_lo
	v_add_co_ci_u32_e64 v31, null, 0, v31, vcc_lo
	v_lshrrev_b32_e32 v50, v51, v50
; %bb.4275:                             ;   in Loop: Header=BB4_3887 Depth=4
	s_andn2_saveexec_b32 s16, s16
; %bb.4276:                             ;   in Loop: Header=BB4_3887 Depth=4
	v_bfe_u32 v31, v50, 23, 1
; %bb.4277:                             ;   in Loop: Header=BB4_3887 Depth=4
	s_or_b32 exec_lo, exec_lo, s16
	v_lshrrev_b32_e32 v50, 21, v50
	v_cmp_gt_i32_e32 vcc_lo, 32, v31
	v_min_i32_e32 v51, 31, v31
	v_and_b32_sdwa v1, v1, v101 dst_sel:DWORD dst_unused:UNUSED_PAD src0_sel:BYTE_3 src1_sel:DWORD
	v_cndmask_b32_e32 v50, 3, v50, vcc_lo
	v_lshlrev_b32_e32 v51, 2, v51
	v_and_b32_e32 v65, 3, v50
	v_or_b32_e32 v31, v31, v50
	v_or3_b32 v1, v51, v1, v65
	v_cmp_ne_u32_e32 vcc_lo, 0, v31
	v_cndmask_b32_e32 v65, 0, v1, vcc_lo
.LBB4_4278:                             ;   in Loop: Header=BB4_3887 Depth=4
	s_or_b32 exec_lo, exec_lo, s72
.LBB4_4279:                             ;   in Loop: Header=BB4_3887 Depth=4
	s_or_b32 exec_lo, exec_lo, s63
	v_cmp_gt_i16_sdwa s63, v37, v100 src0_sel:BYTE_0 src1_sel:DWORD
	s_mov_b32 s16, 0
	s_and_saveexec_b32 s72, s63
	s_xor_b32 s63, exec_lo, s72
	s_cbranch_execz .LBB4_4501
; %bb.4280:                             ;   in Loop: Header=BB4_3887 Depth=4
	v_cmp_eq_u16_sdwa s73, v37, v101 src0_sel:BYTE_0 src1_sel:DWORD
	s_mov_b32 s16, -1
	s_and_saveexec_b32 s72, s73
; %bb.4281:                             ;   in Loop: Header=BB4_3887 Depth=4
	s_xor_b32 s16, exec_lo, -1
; %bb.4282:                             ;   in Loop: Header=BB4_3887 Depth=4
	s_or_b32 exec_lo, exec_lo, s72
	s_and_b32 s16, s16, exec_lo
	s_or_saveexec_b32 s63, s63
	v_mov_b32_e32 v1, 0x7f800001
	s_xor_b32 exec_lo, exec_lo, s63
	s_cbranch_execnz .LBB4_4502
.LBB4_4283:                             ;   in Loop: Header=BB4_3887 Depth=4
	s_or_b32 exec_lo, exec_lo, s63
	s_and_saveexec_b32 s63, s16
	s_cbranch_execz .LBB4_4285
.LBB4_4284:                             ;   in Loop: Header=BB4_3887 Depth=4
	v_and_b32_e32 v1, 3, v37
	v_lshrrev_b16 v50, 2, v37
	v_ffbh_u32_e32 v31, v1
	v_and_b32_e32 v50, 31, v50
	v_min_u32_e32 v31, 32, v31
	v_cmp_eq_u32_e32 vcc_lo, 0, v50
	v_subrev_nc_u32_e32 v51, 29, v31
	v_sub_nc_u32_e32 v31, 30, v31
	v_lshlrev_b32_e32 v51, v51, v37
	v_lshlrev_b32_e32 v37, 24, v37
	v_cndmask_b32_e32 v31, v50, v31, vcc_lo
	v_and_b32_e32 v51, 3, v51
	v_and_b32_e32 v37, 0x80000000, v37
	v_lshl_add_u32 v31, v31, 23, 0x37800000
	v_cndmask_b32_e32 v1, v1, v51, vcc_lo
	v_lshlrev_b32_e32 v1, 21, v1
	v_or3_b32 v1, v37, v31, v1
.LBB4_4285:                             ;   in Loop: Header=BB4_3887 Depth=4
	s_or_b32 exec_lo, exec_lo, s63
	s_waitcnt vmcnt(7) lgkmcnt(7)
	v_cmp_gt_i16_sdwa s63, v63, v100 src0_sel:BYTE_0 src1_sel:DWORD
	s_mov_b32 s16, 0
	s_and_saveexec_b32 s72, s63
	s_xor_b32 s63, exec_lo, s72
	s_cbranch_execz .LBB4_4503
; %bb.4286:                             ;   in Loop: Header=BB4_3887 Depth=4
	v_cmp_eq_u16_sdwa s73, v63, v101 src0_sel:BYTE_0 src1_sel:DWORD
	s_mov_b32 s16, -1
	s_and_saveexec_b32 s72, s73
; %bb.4287:                             ;   in Loop: Header=BB4_3887 Depth=4
	s_xor_b32 s16, exec_lo, -1
; %bb.4288:                             ;   in Loop: Header=BB4_3887 Depth=4
	s_or_b32 exec_lo, exec_lo, s72
	s_and_b32 s16, s16, exec_lo
	s_or_saveexec_b32 s63, s63
	v_mov_b32_e32 v31, 0x7f800001
	s_xor_b32 exec_lo, exec_lo, s63
	s_cbranch_execnz .LBB4_4504
.LBB4_4289:                             ;   in Loop: Header=BB4_3887 Depth=4
	s_or_b32 exec_lo, exec_lo, s63
	s_and_saveexec_b32 s63, s16
	s_cbranch_execz .LBB4_4291
.LBB4_4290:                             ;   in Loop: Header=BB4_3887 Depth=4
	v_and_b32_e32 v31, 3, v63
	v_lshrrev_b16 v50, 2, v63
	v_lshlrev_b32_e32 v81, 24, v63
	v_ffbh_u32_e32 v37, v31
	v_and_b32_e32 v50, 31, v50
	v_min_u32_e32 v37, 32, v37
	v_cmp_eq_u32_e32 vcc_lo, 0, v50
	v_subrev_nc_u32_e32 v51, 29, v37
	v_sub_nc_u32_e32 v37, 30, v37
	v_lshlrev_b32_e32 v51, v51, v63
	v_cndmask_b32_e32 v37, v50, v37, vcc_lo
	v_and_b32_e32 v50, 0x80000000, v81
	v_and_b32_e32 v51, 3, v51
	v_lshl_add_u32 v37, v37, 23, 0x37800000
	v_cndmask_b32_e32 v31, v31, v51, vcc_lo
	v_lshlrev_b32_e32 v31, 21, v31
	v_or3_b32 v31, v50, v37, v31
.LBB4_4291:                             ;   in Loop: Header=BB4_3887 Depth=4
	s_or_b32 exec_lo, exec_lo, s63
	v_add_f32_e32 v1, v1, v31
	v_mov_b32_e32 v37, 0x80
	s_mov_b32 s63, exec_lo
	v_and_b32_e32 v31, 0x7f800000, v1
	v_cmpx_ne_u32_e32 0x7f800000, v31
	s_cbranch_execz .LBB4_4299
; %bb.4292:                             ;   in Loop: Header=BB4_3887 Depth=4
	v_mov_b32_e32 v37, 0
	s_mov_b32 s72, exec_lo
	v_cmpx_ne_u32_e32 0, v1
	s_cbranch_execz .LBB4_4298
; %bb.4293:                             ;   in Loop: Header=BB4_3887 Depth=4
	v_bfe_u32 v31, v1, 23, 8
	v_and_b32_e32 v37, 0x7fffff, v1
	v_sub_nc_u32_e32 v50, 0x70, v31
	v_cmp_gt_u32_e32 vcc_lo, 0x71, v31
	v_or_b32_e32 v51, 0x800000, v37
	v_cndmask_b32_e32 v50, 0, v50, vcc_lo
	v_cmp_eq_u32_e32 vcc_lo, 0, v31
	v_add_nc_u32_e32 v31, 0xffffff91, v31
	v_cndmask_b32_e64 v50, v50, 0x6f, vcc_lo
	v_cndmask_b32_e32 v37, v51, v37, vcc_lo
	v_cndmask_b32_e64 v31, v31, 0xffffff92, vcc_lo
	v_lshl_add_u32 v51, 0x200000, v50, -1
	v_lshrrev_b32_e32 v81, v50, v37
	v_lshlrev_b32_e64 v97, v50, 0x100000
	v_add_nc_u32_e32 v50, v50, v31
	v_and_b32_e32 v37, v51, v37
	v_bfe_u32 v96, v81, 21, 1
	v_cmp_eq_u32_e64 s16, v37, v97
	v_add_nc_u32_e32 v51, -1, v96
	v_cndmask_b32_e64 v37, 0, v51, s16
	v_lshrrev_b32_e32 v51, 23, v81
	s_mov_b32 s16, exec_lo
	v_add_nc_u32_e32 v37, v37, v81
	v_xor_b32_e32 v51, 1, v51
	v_and_b32_e32 v31, 0x1fffff, v37
	v_add_nc_u32_e32 v37, v31, v81
                                        ; implicit-def: $vgpr31
	v_cmpx_ne_u32_e64 v50, v51
	s_xor_b32 s16, exec_lo, s16
; %bb.4294:                             ;   in Loop: Header=BB4_3887 Depth=4
	v_cmp_lt_u32_e32 vcc_lo, 0xffffff, v37
	v_sub_nc_u32_e32 v31, v50, v51
	v_cndmask_b32_e64 v50, 0, 1, vcc_lo
	v_add_co_ci_u32_e64 v31, null, 0, v31, vcc_lo
	v_lshrrev_b32_e32 v37, v50, v37
; %bb.4295:                             ;   in Loop: Header=BB4_3887 Depth=4
	s_andn2_saveexec_b32 s16, s16
; %bb.4296:                             ;   in Loop: Header=BB4_3887 Depth=4
	v_bfe_u32 v31, v37, 23, 1
; %bb.4297:                             ;   in Loop: Header=BB4_3887 Depth=4
	s_or_b32 exec_lo, exec_lo, s16
	v_lshrrev_b32_e32 v37, 21, v37
	v_cmp_gt_i32_e32 vcc_lo, 32, v31
	v_min_i32_e32 v50, 31, v31
	v_and_b32_sdwa v1, v1, v101 dst_sel:DWORD dst_unused:UNUSED_PAD src0_sel:BYTE_3 src1_sel:DWORD
	v_cndmask_b32_e32 v37, 3, v37, vcc_lo
	v_lshlrev_b32_e32 v50, 2, v50
	v_and_b32_e32 v51, 3, v37
	v_or_b32_e32 v31, v31, v37
	v_or3_b32 v1, v50, v1, v51
	v_cmp_ne_u32_e32 vcc_lo, 0, v31
	v_cndmask_b32_e32 v37, 0, v1, vcc_lo
.LBB4_4298:                             ;   in Loop: Header=BB4_3887 Depth=4
	s_or_b32 exec_lo, exec_lo, s72
.LBB4_4299:                             ;   in Loop: Header=BB4_3887 Depth=4
	s_or_b32 exec_lo, exec_lo, s63
	v_cmp_gt_i16_sdwa s63, v4, v100 src0_sel:BYTE_0 src1_sel:DWORD
	s_mov_b32 s16, 0
	s_and_saveexec_b32 s72, s63
	s_xor_b32 s63, exec_lo, s72
	s_cbranch_execz .LBB4_4505
; %bb.4300:                             ;   in Loop: Header=BB4_3887 Depth=4
	v_cmp_eq_u16_sdwa s73, v4, v101 src0_sel:BYTE_0 src1_sel:DWORD
	s_mov_b32 s16, -1
	s_and_saveexec_b32 s72, s73
; %bb.4301:                             ;   in Loop: Header=BB4_3887 Depth=4
	s_xor_b32 s16, exec_lo, -1
; %bb.4302:                             ;   in Loop: Header=BB4_3887 Depth=4
	s_or_b32 exec_lo, exec_lo, s72
	s_and_b32 s16, s16, exec_lo
	s_or_saveexec_b32 s63, s63
	v_mov_b32_e32 v1, 0x7f800001
	s_xor_b32 exec_lo, exec_lo, s63
	s_cbranch_execnz .LBB4_4506
.LBB4_4303:                             ;   in Loop: Header=BB4_3887 Depth=4
	s_or_b32 exec_lo, exec_lo, s63
	s_and_saveexec_b32 s63, s16
	s_cbranch_execz .LBB4_4305
.LBB4_4304:                             ;   in Loop: Header=BB4_3887 Depth=4
	v_and_b32_e32 v1, 3, v4
	v_lshrrev_b16 v50, 2, v4
	v_ffbh_u32_e32 v31, v1
	v_and_b32_e32 v50, 31, v50
	v_min_u32_e32 v31, 32, v31
	v_cmp_eq_u32_e32 vcc_lo, 0, v50
	v_subrev_nc_u32_e32 v51, 29, v31
	v_sub_nc_u32_e32 v31, 30, v31
	v_lshlrev_b32_e32 v51, v51, v4
	v_lshlrev_b32_e32 v4, 24, v4
	v_cndmask_b32_e32 v31, v50, v31, vcc_lo
	v_and_b32_e32 v51, 3, v51
	v_and_b32_e32 v4, 0x80000000, v4
	v_lshl_add_u32 v31, v31, 23, 0x37800000
	v_cndmask_b32_e32 v1, v1, v51, vcc_lo
	v_lshlrev_b32_e32 v1, 21, v1
	v_or3_b32 v1, v4, v31, v1
.LBB4_4305:                             ;   in Loop: Header=BB4_3887 Depth=4
	s_or_b32 exec_lo, exec_lo, s63
	s_waitcnt vmcnt(6) lgkmcnt(6)
	v_cmp_gt_i16_sdwa s63, v62, v100 src0_sel:BYTE_0 src1_sel:DWORD
	s_mov_b32 s16, 0
	s_and_saveexec_b32 s72, s63
	s_xor_b32 s63, exec_lo, s72
	s_cbranch_execz .LBB4_4507
; %bb.4306:                             ;   in Loop: Header=BB4_3887 Depth=4
	v_cmp_eq_u16_sdwa s73, v62, v101 src0_sel:BYTE_0 src1_sel:DWORD
	s_mov_b32 s16, -1
	s_and_saveexec_b32 s72, s73
; %bb.4307:                             ;   in Loop: Header=BB4_3887 Depth=4
	s_xor_b32 s16, exec_lo, -1
; %bb.4308:                             ;   in Loop: Header=BB4_3887 Depth=4
	s_or_b32 exec_lo, exec_lo, s72
	s_and_b32 s16, s16, exec_lo
	s_or_saveexec_b32 s63, s63
	v_mov_b32_e32 v4, 0x7f800001
	s_xor_b32 exec_lo, exec_lo, s63
	s_cbranch_execnz .LBB4_4508
.LBB4_4309:                             ;   in Loop: Header=BB4_3887 Depth=4
	s_or_b32 exec_lo, exec_lo, s63
	s_and_saveexec_b32 s63, s16
	s_cbranch_execz .LBB4_4311
.LBB4_4310:                             ;   in Loop: Header=BB4_3887 Depth=4
	v_and_b32_e32 v4, 3, v62
	v_lshrrev_b16 v50, 2, v62
	v_lshlrev_b32_e32 v81, 24, v62
	v_ffbh_u32_e32 v31, v4
	v_and_b32_e32 v50, 31, v50
	v_min_u32_e32 v31, 32, v31
	v_cmp_eq_u32_e32 vcc_lo, 0, v50
	v_subrev_nc_u32_e32 v51, 29, v31
	v_sub_nc_u32_e32 v31, 30, v31
	v_lshlrev_b32_e32 v51, v51, v62
	v_cndmask_b32_e32 v31, v50, v31, vcc_lo
	v_and_b32_e32 v50, 0x80000000, v81
	v_and_b32_e32 v51, 3, v51
	v_lshl_add_u32 v31, v31, 23, 0x37800000
	v_cndmask_b32_e32 v4, v4, v51, vcc_lo
	v_lshlrev_b32_e32 v4, 21, v4
	v_or3_b32 v4, v50, v31, v4
.LBB4_4311:                             ;   in Loop: Header=BB4_3887 Depth=4
	s_or_b32 exec_lo, exec_lo, s63
	v_add_f32_e32 v1, v1, v4
	v_and_b32_e32 v4, 0x7f800000, v1
	v_cmp_ne_u32_e32 vcc_lo, 0x7f800000, v4
	v_mov_b32_e32 v4, 0x80
	s_and_saveexec_b32 s63, vcc_lo
	s_cbranch_execz .LBB4_4319
; %bb.4312:                             ;   in Loop: Header=BB4_3887 Depth=4
	v_mov_b32_e32 v4, 0
	s_mov_b32 s72, exec_lo
	v_cmpx_ne_u32_e32 0, v1
	s_cbranch_execz .LBB4_4318
; %bb.4313:                             ;   in Loop: Header=BB4_3887 Depth=4
	v_bfe_u32 v4, v1, 23, 8
	v_and_b32_e32 v31, 0x7fffff, v1
	v_sub_nc_u32_e32 v50, 0x70, v4
	v_cmp_gt_u32_e32 vcc_lo, 0x71, v4
	v_or_b32_e32 v51, 0x800000, v31
	v_cndmask_b32_e32 v50, 0, v50, vcc_lo
	v_cmp_eq_u32_e32 vcc_lo, 0, v4
	v_add_nc_u32_e32 v4, 0xffffff91, v4
	v_cndmask_b32_e64 v50, v50, 0x6f, vcc_lo
	v_cndmask_b32_e32 v31, v51, v31, vcc_lo
	v_cndmask_b32_e64 v4, v4, 0xffffff92, vcc_lo
	v_lshl_add_u32 v51, 0x200000, v50, -1
	v_lshrrev_b32_e32 v81, v50, v31
	v_lshlrev_b32_e64 v97, v50, 0x100000
	v_add_nc_u32_e32 v50, v50, v4
	v_and_b32_e32 v31, v51, v31
	v_bfe_u32 v96, v81, 21, 1
	v_cmp_eq_u32_e64 s16, v31, v97
	v_add_nc_u32_e32 v51, -1, v96
	v_cndmask_b32_e64 v31, 0, v51, s16
	v_lshrrev_b32_e32 v51, 23, v81
	s_mov_b32 s16, exec_lo
	v_add_nc_u32_e32 v31, v31, v81
	v_xor_b32_e32 v51, 1, v51
	v_and_b32_e32 v4, 0x1fffff, v31
	v_add_nc_u32_e32 v31, v4, v81
                                        ; implicit-def: $vgpr4
	v_cmpx_ne_u32_e64 v50, v51
	s_xor_b32 s16, exec_lo, s16
; %bb.4314:                             ;   in Loop: Header=BB4_3887 Depth=4
	v_cmp_lt_u32_e32 vcc_lo, 0xffffff, v31
	v_sub_nc_u32_e32 v4, v50, v51
	v_cndmask_b32_e64 v50, 0, 1, vcc_lo
	v_add_co_ci_u32_e64 v4, null, 0, v4, vcc_lo
	v_lshrrev_b32_e32 v31, v50, v31
; %bb.4315:                             ;   in Loop: Header=BB4_3887 Depth=4
	s_andn2_saveexec_b32 s16, s16
; %bb.4316:                             ;   in Loop: Header=BB4_3887 Depth=4
	v_bfe_u32 v4, v31, 23, 1
; %bb.4317:                             ;   in Loop: Header=BB4_3887 Depth=4
	s_or_b32 exec_lo, exec_lo, s16
	v_lshrrev_b32_e32 v31, 21, v31
	v_cmp_gt_i32_e32 vcc_lo, 32, v4
	v_min_i32_e32 v50, 31, v4
	v_and_b32_sdwa v1, v1, v101 dst_sel:DWORD dst_unused:UNUSED_PAD src0_sel:BYTE_3 src1_sel:DWORD
	v_cndmask_b32_e32 v31, 3, v31, vcc_lo
	v_lshlrev_b32_e32 v50, 2, v50
	v_and_b32_e32 v51, 3, v31
	v_or_b32_e32 v4, v4, v31
	v_or3_b32 v1, v50, v1, v51
	v_cmp_ne_u32_e32 vcc_lo, 0, v4
	v_cndmask_b32_e32 v4, 0, v1, vcc_lo
.LBB4_4318:                             ;   in Loop: Header=BB4_3887 Depth=4
	s_or_b32 exec_lo, exec_lo, s72
.LBB4_4319:                             ;   in Loop: Header=BB4_3887 Depth=4
	s_or_b32 exec_lo, exec_lo, s63
	v_cmp_gt_i16_sdwa s63, v36, v100 src0_sel:BYTE_0 src1_sel:DWORD
	s_mov_b32 s16, 0
	s_and_saveexec_b32 s72, s63
	s_xor_b32 s63, exec_lo, s72
	s_cbranch_execz .LBB4_4509
; %bb.4320:                             ;   in Loop: Header=BB4_3887 Depth=4
	v_cmp_eq_u16_sdwa s73, v36, v101 src0_sel:BYTE_0 src1_sel:DWORD
	s_mov_b32 s16, -1
	s_and_saveexec_b32 s72, s73
; %bb.4321:                             ;   in Loop: Header=BB4_3887 Depth=4
	s_xor_b32 s16, exec_lo, -1
; %bb.4322:                             ;   in Loop: Header=BB4_3887 Depth=4
	s_or_b32 exec_lo, exec_lo, s72
	s_and_b32 s16, s16, exec_lo
	s_or_saveexec_b32 s63, s63
	v_mov_b32_e32 v1, 0x7f800001
	s_xor_b32 exec_lo, exec_lo, s63
	s_cbranch_execnz .LBB4_4510
.LBB4_4323:                             ;   in Loop: Header=BB4_3887 Depth=4
	s_or_b32 exec_lo, exec_lo, s63
	s_and_saveexec_b32 s63, s16
	s_cbranch_execz .LBB4_4325
.LBB4_4324:                             ;   in Loop: Header=BB4_3887 Depth=4
	v_and_b32_e32 v1, 3, v36
	v_lshrrev_b16 v50, 2, v36
	v_ffbh_u32_e32 v31, v1
	v_and_b32_e32 v50, 31, v50
	v_min_u32_e32 v31, 32, v31
	v_cmp_eq_u32_e32 vcc_lo, 0, v50
	v_subrev_nc_u32_e32 v51, 29, v31
	v_sub_nc_u32_e32 v31, 30, v31
	v_lshlrev_b32_e32 v51, v51, v36
	v_lshlrev_b32_e32 v36, 24, v36
	v_cndmask_b32_e32 v31, v50, v31, vcc_lo
	v_and_b32_e32 v51, 3, v51
	v_and_b32_e32 v36, 0x80000000, v36
	v_lshl_add_u32 v31, v31, 23, 0x37800000
	v_cndmask_b32_e32 v1, v1, v51, vcc_lo
	v_lshlrev_b32_e32 v1, 21, v1
	v_or3_b32 v1, v36, v31, v1
.LBB4_4325:                             ;   in Loop: Header=BB4_3887 Depth=4
	s_or_b32 exec_lo, exec_lo, s63
	s_waitcnt vmcnt(5) lgkmcnt(5)
	v_cmp_gt_i16_sdwa s63, v34, v100 src0_sel:BYTE_0 src1_sel:DWORD
	s_mov_b32 s16, 0
	s_and_saveexec_b32 s72, s63
	s_xor_b32 s63, exec_lo, s72
	s_cbranch_execz .LBB4_4511
; %bb.4326:                             ;   in Loop: Header=BB4_3887 Depth=4
	v_cmp_eq_u16_sdwa s73, v34, v101 src0_sel:BYTE_0 src1_sel:DWORD
	s_mov_b32 s16, -1
	s_and_saveexec_b32 s72, s73
; %bb.4327:                             ;   in Loop: Header=BB4_3887 Depth=4
	s_xor_b32 s16, exec_lo, -1
; %bb.4328:                             ;   in Loop: Header=BB4_3887 Depth=4
	s_or_b32 exec_lo, exec_lo, s72
	s_and_b32 s16, s16, exec_lo
	s_or_saveexec_b32 s63, s63
	v_mov_b32_e32 v31, 0x7f800001
	s_xor_b32 exec_lo, exec_lo, s63
	s_cbranch_execnz .LBB4_4512
.LBB4_4329:                             ;   in Loop: Header=BB4_3887 Depth=4
	s_or_b32 exec_lo, exec_lo, s63
	s_and_saveexec_b32 s63, s16
	s_cbranch_execz .LBB4_4331
.LBB4_4330:                             ;   in Loop: Header=BB4_3887 Depth=4
	v_and_b32_e32 v31, 3, v34
	v_lshrrev_b16 v50, 2, v34
	v_ffbh_u32_e32 v36, v31
	v_and_b32_e32 v50, 31, v50
	v_min_u32_e32 v36, 32, v36
	v_cmp_eq_u32_e32 vcc_lo, 0, v50
	v_subrev_nc_u32_e32 v51, 29, v36
	v_sub_nc_u32_e32 v36, 30, v36
	v_lshlrev_b32_e32 v51, v51, v34
	v_lshlrev_b32_e32 v34, 24, v34
	v_cndmask_b32_e32 v36, v50, v36, vcc_lo
	v_and_b32_e32 v51, 3, v51
	v_and_b32_e32 v34, 0x80000000, v34
	v_lshl_add_u32 v36, v36, 23, 0x37800000
	v_cndmask_b32_e32 v31, v31, v51, vcc_lo
	v_lshlrev_b32_e32 v31, 21, v31
	v_or3_b32 v31, v34, v36, v31
.LBB4_4331:                             ;   in Loop: Header=BB4_3887 Depth=4
	s_or_b32 exec_lo, exec_lo, s63
	v_add_f32_e32 v31, v1, v31
	v_and_b32_e32 v1, 0x7f800000, v31
	v_cmp_ne_u32_e32 vcc_lo, 0x7f800000, v1
	v_mov_b32_e32 v1, 0x80
	s_and_saveexec_b32 s63, vcc_lo
	s_cbranch_execz .LBB4_4339
; %bb.4332:                             ;   in Loop: Header=BB4_3887 Depth=4
	v_mov_b32_e32 v1, 0
	s_mov_b32 s72, exec_lo
	v_cmpx_ne_u32_e32 0, v31
	s_cbranch_execz .LBB4_4338
; %bb.4333:                             ;   in Loop: Header=BB4_3887 Depth=4
	v_bfe_u32 v1, v31, 23, 8
	v_and_b32_e32 v34, 0x7fffff, v31
	v_sub_nc_u32_e32 v36, 0x70, v1
	v_cmp_gt_u32_e32 vcc_lo, 0x71, v1
	v_or_b32_e32 v50, 0x800000, v34
	v_cndmask_b32_e32 v36, 0, v36, vcc_lo
	v_cmp_eq_u32_e32 vcc_lo, 0, v1
	v_add_nc_u32_e32 v1, 0xffffff91, v1
	v_cndmask_b32_e64 v36, v36, 0x6f, vcc_lo
	v_cndmask_b32_e32 v34, v50, v34, vcc_lo
	v_cndmask_b32_e64 v1, v1, 0xffffff92, vcc_lo
	v_lshl_add_u32 v50, 0x200000, v36, -1
	v_lshrrev_b32_e32 v51, v36, v34
	v_lshlrev_b32_e64 v96, v36, 0x100000
	v_add_nc_u32_e32 v36, v36, v1
	v_and_b32_e32 v34, v50, v34
	v_bfe_u32 v81, v51, 21, 1
	v_cmp_eq_u32_e64 s16, v34, v96
	v_add_nc_u32_e32 v50, -1, v81
	v_cndmask_b32_e64 v34, 0, v50, s16
	v_lshrrev_b32_e32 v50, 23, v51
	s_mov_b32 s16, exec_lo
	v_add_nc_u32_e32 v34, v34, v51
	v_xor_b32_e32 v50, 1, v50
	v_and_b32_e32 v1, 0x1fffff, v34
	v_add_nc_u32_e32 v34, v1, v51
                                        ; implicit-def: $vgpr1
	v_cmpx_ne_u32_e64 v36, v50
	s_xor_b32 s16, exec_lo, s16
; %bb.4334:                             ;   in Loop: Header=BB4_3887 Depth=4
	v_cmp_lt_u32_e32 vcc_lo, 0xffffff, v34
	v_sub_nc_u32_e32 v1, v36, v50
	v_cndmask_b32_e64 v36, 0, 1, vcc_lo
	v_add_co_ci_u32_e64 v1, null, 0, v1, vcc_lo
	v_lshrrev_b32_e32 v34, v36, v34
; %bb.4335:                             ;   in Loop: Header=BB4_3887 Depth=4
	s_andn2_saveexec_b32 s16, s16
; %bb.4336:                             ;   in Loop: Header=BB4_3887 Depth=4
	v_bfe_u32 v1, v34, 23, 1
; %bb.4337:                             ;   in Loop: Header=BB4_3887 Depth=4
	s_or_b32 exec_lo, exec_lo, s16
	v_lshrrev_b32_e32 v34, 21, v34
	v_cmp_gt_i32_e32 vcc_lo, 32, v1
	v_min_i32_e32 v36, 31, v1
	v_and_b32_sdwa v31, v31, v101 dst_sel:DWORD dst_unused:UNUSED_PAD src0_sel:BYTE_3 src1_sel:DWORD
	v_cndmask_b32_e32 v34, 3, v34, vcc_lo
	v_lshlrev_b32_e32 v36, 2, v36
	v_and_b32_e32 v50, 3, v34
	v_or_b32_e32 v1, v1, v34
	v_or3_b32 v31, v36, v31, v50
	v_cmp_ne_u32_e32 vcc_lo, 0, v1
	v_cndmask_b32_e32 v1, 0, v31, vcc_lo
.LBB4_4338:                             ;   in Loop: Header=BB4_3887 Depth=4
	s_or_b32 exec_lo, exec_lo, s72
.LBB4_4339:                             ;   in Loop: Header=BB4_3887 Depth=4
	s_or_b32 exec_lo, exec_lo, s63
	v_cmp_gt_i16_sdwa s63, v21, v100 src0_sel:BYTE_0 src1_sel:DWORD
	s_mov_b32 s16, 0
	s_and_saveexec_b32 s72, s63
	s_xor_b32 s63, exec_lo, s72
	s_cbranch_execz .LBB4_4513
; %bb.4340:                             ;   in Loop: Header=BB4_3887 Depth=4
	v_cmp_eq_u16_sdwa s73, v21, v101 src0_sel:BYTE_0 src1_sel:DWORD
	s_mov_b32 s16, -1
	s_and_saveexec_b32 s72, s73
; %bb.4341:                             ;   in Loop: Header=BB4_3887 Depth=4
	s_xor_b32 s16, exec_lo, -1
; %bb.4342:                             ;   in Loop: Header=BB4_3887 Depth=4
	s_or_b32 exec_lo, exec_lo, s72
	s_and_b32 s16, s16, exec_lo
	s_or_saveexec_b32 s63, s63
	v_mov_b32_e32 v31, 0x7f800001
	s_xor_b32 exec_lo, exec_lo, s63
	s_cbranch_execnz .LBB4_4514
.LBB4_4343:                             ;   in Loop: Header=BB4_3887 Depth=4
	s_or_b32 exec_lo, exec_lo, s63
	s_and_saveexec_b32 s63, s16
	s_cbranch_execz .LBB4_4345
.LBB4_4344:                             ;   in Loop: Header=BB4_3887 Depth=4
	v_and_b32_e32 v31, 3, v21
	v_lshrrev_b16 v36, 2, v21
	v_ffbh_u32_e32 v34, v31
	v_and_b32_e32 v36, 31, v36
	v_min_u32_e32 v34, 32, v34
	v_cmp_eq_u32_e32 vcc_lo, 0, v36
	v_subrev_nc_u32_e32 v50, 29, v34
	v_sub_nc_u32_e32 v34, 30, v34
	v_lshlrev_b32_e32 v50, v50, v21
	v_lshlrev_b32_e32 v21, 24, v21
	v_cndmask_b32_e32 v34, v36, v34, vcc_lo
	v_and_b32_e32 v50, 3, v50
	v_and_b32_e32 v21, 0x80000000, v21
	v_lshl_add_u32 v34, v34, 23, 0x37800000
	v_cndmask_b32_e32 v31, v31, v50, vcc_lo
	v_lshlrev_b32_e32 v31, 21, v31
	v_or3_b32 v31, v21, v34, v31
.LBB4_4345:                             ;   in Loop: Header=BB4_3887 Depth=4
	s_or_b32 exec_lo, exec_lo, s63
	s_waitcnt vmcnt(4) lgkmcnt(4)
	v_cmp_gt_i16_sdwa s63, v61, v100 src0_sel:BYTE_0 src1_sel:DWORD
	s_mov_b32 s16, 0
	s_and_saveexec_b32 s72, s63
	s_xor_b32 s63, exec_lo, s72
	s_cbranch_execz .LBB4_4515
; %bb.4346:                             ;   in Loop: Header=BB4_3887 Depth=4
	v_cmp_eq_u16_sdwa s73, v61, v101 src0_sel:BYTE_0 src1_sel:DWORD
	s_mov_b32 s16, -1
	s_and_saveexec_b32 s72, s73
; %bb.4347:                             ;   in Loop: Header=BB4_3887 Depth=4
	s_xor_b32 s16, exec_lo, -1
; %bb.4348:                             ;   in Loop: Header=BB4_3887 Depth=4
	s_or_b32 exec_lo, exec_lo, s72
	s_and_b32 s16, s16, exec_lo
	s_or_saveexec_b32 s63, s63
	v_mov_b32_e32 v21, 0x7f800001
	s_xor_b32 exec_lo, exec_lo, s63
	s_cbranch_execnz .LBB4_4516
.LBB4_4349:                             ;   in Loop: Header=BB4_3887 Depth=4
	s_or_b32 exec_lo, exec_lo, s63
	s_and_saveexec_b32 s63, s16
	s_cbranch_execz .LBB4_4351
.LBB4_4350:                             ;   in Loop: Header=BB4_3887 Depth=4
	v_and_b32_e32 v21, 3, v61
	v_lshrrev_b16 v36, 2, v61
	v_lshlrev_b32_e32 v51, 24, v61
	v_ffbh_u32_e32 v34, v21
	v_and_b32_e32 v36, 31, v36
	v_min_u32_e32 v34, 32, v34
	v_cmp_eq_u32_e32 vcc_lo, 0, v36
	v_subrev_nc_u32_e32 v50, 29, v34
	v_sub_nc_u32_e32 v34, 30, v34
	v_lshlrev_b32_e32 v50, v50, v61
	v_cndmask_b32_e32 v34, v36, v34, vcc_lo
	v_and_b32_e32 v36, 0x80000000, v51
	v_and_b32_e32 v50, 3, v50
	v_lshl_add_u32 v34, v34, 23, 0x37800000
	v_cndmask_b32_e32 v21, v21, v50, vcc_lo
	v_lshlrev_b32_e32 v21, 21, v21
	v_or3_b32 v21, v36, v34, v21
.LBB4_4351:                             ;   in Loop: Header=BB4_3887 Depth=4
	s_or_b32 exec_lo, exec_lo, s63
	v_add_f32_e32 v31, v31, v21
	v_and_b32_e32 v21, 0x7f800000, v31
	v_cmp_ne_u32_e32 vcc_lo, 0x7f800000, v21
	v_mov_b32_e32 v21, 0x80
	s_and_saveexec_b32 s63, vcc_lo
	s_cbranch_execz .LBB4_4359
; %bb.4352:                             ;   in Loop: Header=BB4_3887 Depth=4
	v_mov_b32_e32 v21, 0
	s_mov_b32 s72, exec_lo
	v_cmpx_ne_u32_e32 0, v31
	s_cbranch_execz .LBB4_4358
; %bb.4353:                             ;   in Loop: Header=BB4_3887 Depth=4
	v_bfe_u32 v21, v31, 23, 8
	v_and_b32_e32 v34, 0x7fffff, v31
	v_sub_nc_u32_e32 v36, 0x70, v21
	v_cmp_gt_u32_e32 vcc_lo, 0x71, v21
	v_or_b32_e32 v50, 0x800000, v34
	v_cndmask_b32_e32 v36, 0, v36, vcc_lo
	v_cmp_eq_u32_e32 vcc_lo, 0, v21
	v_add_nc_u32_e32 v21, 0xffffff91, v21
	v_cndmask_b32_e64 v36, v36, 0x6f, vcc_lo
	v_cndmask_b32_e32 v34, v50, v34, vcc_lo
	v_cndmask_b32_e64 v21, v21, 0xffffff92, vcc_lo
	v_lshl_add_u32 v50, 0x200000, v36, -1
	v_lshrrev_b32_e32 v51, v36, v34
	v_lshlrev_b32_e64 v96, v36, 0x100000
	v_add_nc_u32_e32 v36, v36, v21
	v_and_b32_e32 v34, v50, v34
	v_bfe_u32 v81, v51, 21, 1
	v_cmp_eq_u32_e64 s16, v34, v96
	v_add_nc_u32_e32 v50, -1, v81
	v_cndmask_b32_e64 v34, 0, v50, s16
	v_lshrrev_b32_e32 v50, 23, v51
	s_mov_b32 s16, exec_lo
	v_add_nc_u32_e32 v34, v34, v51
	v_xor_b32_e32 v50, 1, v50
	v_and_b32_e32 v21, 0x1fffff, v34
	v_add_nc_u32_e32 v34, v21, v51
                                        ; implicit-def: $vgpr21
	v_cmpx_ne_u32_e64 v36, v50
	s_xor_b32 s16, exec_lo, s16
; %bb.4354:                             ;   in Loop: Header=BB4_3887 Depth=4
	v_cmp_lt_u32_e32 vcc_lo, 0xffffff, v34
	v_sub_nc_u32_e32 v21, v36, v50
	v_cndmask_b32_e64 v36, 0, 1, vcc_lo
	v_add_co_ci_u32_e64 v21, null, 0, v21, vcc_lo
	v_lshrrev_b32_e32 v34, v36, v34
; %bb.4355:                             ;   in Loop: Header=BB4_3887 Depth=4
	s_andn2_saveexec_b32 s16, s16
; %bb.4356:                             ;   in Loop: Header=BB4_3887 Depth=4
	v_bfe_u32 v21, v34, 23, 1
; %bb.4357:                             ;   in Loop: Header=BB4_3887 Depth=4
	s_or_b32 exec_lo, exec_lo, s16
	v_lshrrev_b32_e32 v34, 21, v34
	v_cmp_gt_i32_e32 vcc_lo, 32, v21
	v_min_i32_e32 v36, 31, v21
	v_and_b32_sdwa v31, v31, v101 dst_sel:DWORD dst_unused:UNUSED_PAD src0_sel:BYTE_3 src1_sel:DWORD
	v_cndmask_b32_e32 v34, 3, v34, vcc_lo
	v_lshlrev_b32_e32 v36, 2, v36
	v_and_b32_e32 v50, 3, v34
	v_or_b32_e32 v21, v21, v34
	v_or3_b32 v31, v36, v31, v50
	v_cmp_ne_u32_e32 vcc_lo, 0, v21
	v_cndmask_b32_e32 v21, 0, v31, vcc_lo
.LBB4_4358:                             ;   in Loop: Header=BB4_3887 Depth=4
	s_or_b32 exec_lo, exec_lo, s72
.LBB4_4359:                             ;   in Loop: Header=BB4_3887 Depth=4
	s_or_b32 exec_lo, exec_lo, s63
	v_cmp_gt_i16_sdwa s63, v20, v100 src0_sel:BYTE_0 src1_sel:DWORD
	s_mov_b32 s16, 0
	s_and_saveexec_b32 s72, s63
	s_xor_b32 s63, exec_lo, s72
	s_cbranch_execz .LBB4_4517
; %bb.4360:                             ;   in Loop: Header=BB4_3887 Depth=4
	v_cmp_eq_u16_sdwa s73, v20, v101 src0_sel:BYTE_0 src1_sel:DWORD
	s_mov_b32 s16, -1
	s_and_saveexec_b32 s72, s73
; %bb.4361:                             ;   in Loop: Header=BB4_3887 Depth=4
	s_xor_b32 s16, exec_lo, -1
; %bb.4362:                             ;   in Loop: Header=BB4_3887 Depth=4
	s_or_b32 exec_lo, exec_lo, s72
	s_and_b32 s16, s16, exec_lo
	s_or_saveexec_b32 s63, s63
	v_mov_b32_e32 v31, 0x7f800001
	s_xor_b32 exec_lo, exec_lo, s63
	s_cbranch_execnz .LBB4_4518
.LBB4_4363:                             ;   in Loop: Header=BB4_3887 Depth=4
	s_or_b32 exec_lo, exec_lo, s63
	s_and_saveexec_b32 s63, s16
	s_cbranch_execz .LBB4_4365
.LBB4_4364:                             ;   in Loop: Header=BB4_3887 Depth=4
	v_and_b32_e32 v31, 3, v20
	v_lshrrev_b16 v36, 2, v20
	v_ffbh_u32_e32 v34, v31
	v_and_b32_e32 v36, 31, v36
	v_min_u32_e32 v34, 32, v34
	v_cmp_eq_u32_e32 vcc_lo, 0, v36
	v_subrev_nc_u32_e32 v50, 29, v34
	v_sub_nc_u32_e32 v34, 30, v34
	v_lshlrev_b32_e32 v50, v50, v20
	v_lshlrev_b32_e32 v20, 24, v20
	v_cndmask_b32_e32 v34, v36, v34, vcc_lo
	v_and_b32_e32 v50, 3, v50
	v_and_b32_e32 v20, 0x80000000, v20
	v_lshl_add_u32 v34, v34, 23, 0x37800000
	v_cndmask_b32_e32 v31, v31, v50, vcc_lo
	v_lshlrev_b32_e32 v31, 21, v31
	v_or3_b32 v31, v20, v34, v31
.LBB4_4365:                             ;   in Loop: Header=BB4_3887 Depth=4
	s_or_b32 exec_lo, exec_lo, s63
	s_waitcnt vmcnt(3) lgkmcnt(3)
	v_cmp_gt_i16_sdwa s63, v67, v100 src0_sel:BYTE_0 src1_sel:DWORD
	s_mov_b32 s16, 0
	s_and_saveexec_b32 s72, s63
	s_xor_b32 s63, exec_lo, s72
	s_cbranch_execz .LBB4_4519
; %bb.4366:                             ;   in Loop: Header=BB4_3887 Depth=4
	v_cmp_eq_u16_sdwa s73, v67, v101 src0_sel:BYTE_0 src1_sel:DWORD
	s_mov_b32 s16, -1
	s_and_saveexec_b32 s72, s73
; %bb.4367:                             ;   in Loop: Header=BB4_3887 Depth=4
	s_xor_b32 s16, exec_lo, -1
; %bb.4368:                             ;   in Loop: Header=BB4_3887 Depth=4
	s_or_b32 exec_lo, exec_lo, s72
	s_and_b32 s16, s16, exec_lo
	s_or_saveexec_b32 s63, s63
	v_mov_b32_e32 v20, 0x7f800001
	s_xor_b32 exec_lo, exec_lo, s63
	s_cbranch_execnz .LBB4_4520
.LBB4_4369:                             ;   in Loop: Header=BB4_3887 Depth=4
	s_or_b32 exec_lo, exec_lo, s63
	s_and_saveexec_b32 s63, s16
	s_cbranch_execz .LBB4_4371
.LBB4_4370:                             ;   in Loop: Header=BB4_3887 Depth=4
	v_and_b32_e32 v20, 3, v67
	v_lshrrev_b16 v36, 2, v67
	v_lshlrev_b32_e32 v51, 24, v67
	v_ffbh_u32_e32 v34, v20
	v_and_b32_e32 v36, 31, v36
	v_min_u32_e32 v34, 32, v34
	v_cmp_eq_u32_e32 vcc_lo, 0, v36
	v_subrev_nc_u32_e32 v50, 29, v34
	v_sub_nc_u32_e32 v34, 30, v34
	v_lshlrev_b32_e32 v50, v50, v67
	v_cndmask_b32_e32 v34, v36, v34, vcc_lo
	v_and_b32_e32 v36, 0x80000000, v51
	v_and_b32_e32 v50, 3, v50
	v_lshl_add_u32 v34, v34, 23, 0x37800000
	v_cndmask_b32_e32 v20, v20, v50, vcc_lo
	v_lshlrev_b32_e32 v20, 21, v20
	v_or3_b32 v20, v36, v34, v20
.LBB4_4371:                             ;   in Loop: Header=BB4_3887 Depth=4
	s_or_b32 exec_lo, exec_lo, s63
	v_add_f32_e32 v31, v31, v20
	v_and_b32_e32 v20, 0x7f800000, v31
	v_cmp_ne_u32_e32 vcc_lo, 0x7f800000, v20
	v_mov_b32_e32 v20, 0x80
	s_and_saveexec_b32 s63, vcc_lo
	s_cbranch_execz .LBB4_4379
; %bb.4372:                             ;   in Loop: Header=BB4_3887 Depth=4
	v_mov_b32_e32 v20, 0
	s_mov_b32 s72, exec_lo
	v_cmpx_ne_u32_e32 0, v31
	s_cbranch_execz .LBB4_4378
; %bb.4373:                             ;   in Loop: Header=BB4_3887 Depth=4
	v_bfe_u32 v20, v31, 23, 8
	v_and_b32_e32 v34, 0x7fffff, v31
	v_sub_nc_u32_e32 v36, 0x70, v20
	v_cmp_gt_u32_e32 vcc_lo, 0x71, v20
	v_or_b32_e32 v50, 0x800000, v34
	v_cndmask_b32_e32 v36, 0, v36, vcc_lo
	v_cmp_eq_u32_e32 vcc_lo, 0, v20
	v_add_nc_u32_e32 v20, 0xffffff91, v20
	v_cndmask_b32_e64 v36, v36, 0x6f, vcc_lo
	v_cndmask_b32_e32 v34, v50, v34, vcc_lo
	v_cndmask_b32_e64 v20, v20, 0xffffff92, vcc_lo
	v_lshl_add_u32 v50, 0x200000, v36, -1
	v_lshrrev_b32_e32 v51, v36, v34
	v_lshlrev_b32_e64 v81, v36, 0x100000
	v_add_nc_u32_e32 v36, v36, v20
	v_and_b32_e32 v34, v50, v34
	v_bfe_u32 v67, v51, 21, 1
	v_cmp_eq_u32_e64 s16, v34, v81
	v_add_nc_u32_e32 v50, -1, v67
	v_cndmask_b32_e64 v34, 0, v50, s16
	v_lshrrev_b32_e32 v50, 23, v51
	s_mov_b32 s16, exec_lo
	v_add_nc_u32_e32 v34, v34, v51
	v_xor_b32_e32 v50, 1, v50
	v_and_b32_e32 v20, 0x1fffff, v34
	v_add_nc_u32_e32 v34, v20, v51
                                        ; implicit-def: $vgpr20
	v_cmpx_ne_u32_e64 v36, v50
	s_xor_b32 s16, exec_lo, s16
; %bb.4374:                             ;   in Loop: Header=BB4_3887 Depth=4
	v_cmp_lt_u32_e32 vcc_lo, 0xffffff, v34
	v_sub_nc_u32_e32 v20, v36, v50
	v_cndmask_b32_e64 v36, 0, 1, vcc_lo
	v_add_co_ci_u32_e64 v20, null, 0, v20, vcc_lo
	v_lshrrev_b32_e32 v34, v36, v34
; %bb.4375:                             ;   in Loop: Header=BB4_3887 Depth=4
	s_andn2_saveexec_b32 s16, s16
; %bb.4376:                             ;   in Loop: Header=BB4_3887 Depth=4
	v_bfe_u32 v20, v34, 23, 1
; %bb.4377:                             ;   in Loop: Header=BB4_3887 Depth=4
	s_or_b32 exec_lo, exec_lo, s16
	v_lshrrev_b32_e32 v34, 21, v34
	v_cmp_gt_i32_e32 vcc_lo, 32, v20
	v_min_i32_e32 v36, 31, v20
	v_and_b32_sdwa v31, v31, v101 dst_sel:DWORD dst_unused:UNUSED_PAD src0_sel:BYTE_3 src1_sel:DWORD
	v_cndmask_b32_e32 v34, 3, v34, vcc_lo
	v_lshlrev_b32_e32 v36, 2, v36
	v_and_b32_e32 v50, 3, v34
	v_or_b32_e32 v20, v20, v34
	v_or3_b32 v31, v36, v31, v50
	v_cmp_ne_u32_e32 vcc_lo, 0, v20
	v_cndmask_b32_e32 v20, 0, v31, vcc_lo
.LBB4_4378:                             ;   in Loop: Header=BB4_3887 Depth=4
	s_or_b32 exec_lo, exec_lo, s72
.LBB4_4379:                             ;   in Loop: Header=BB4_3887 Depth=4
	s_or_b32 exec_lo, exec_lo, s63
	v_cmp_gt_i16_sdwa s63, v18, v100 src0_sel:BYTE_0 src1_sel:DWORD
	s_mov_b32 s16, 0
	s_and_saveexec_b32 s72, s63
	s_xor_b32 s63, exec_lo, s72
	s_cbranch_execz .LBB4_4521
; %bb.4380:                             ;   in Loop: Header=BB4_3887 Depth=4
	v_cmp_eq_u16_sdwa s73, v18, v101 src0_sel:BYTE_0 src1_sel:DWORD
	s_mov_b32 s16, -1
	s_and_saveexec_b32 s72, s73
; %bb.4381:                             ;   in Loop: Header=BB4_3887 Depth=4
	s_xor_b32 s16, exec_lo, -1
; %bb.4382:                             ;   in Loop: Header=BB4_3887 Depth=4
	s_or_b32 exec_lo, exec_lo, s72
	s_and_b32 s16, s16, exec_lo
	s_or_saveexec_b32 s63, s63
	v_mov_b32_e32 v31, 0x7f800001
	s_xor_b32 exec_lo, exec_lo, s63
	s_cbranch_execnz .LBB4_4522
.LBB4_4383:                             ;   in Loop: Header=BB4_3887 Depth=4
	s_or_b32 exec_lo, exec_lo, s63
	s_and_saveexec_b32 s63, s16
	s_cbranch_execz .LBB4_4385
.LBB4_4384:                             ;   in Loop: Header=BB4_3887 Depth=4
	v_and_b32_e32 v31, 3, v18
	v_lshrrev_b16 v36, 2, v18
	v_ffbh_u32_e32 v34, v31
	v_and_b32_e32 v36, 31, v36
	v_min_u32_e32 v34, 32, v34
	v_cmp_eq_u32_e32 vcc_lo, 0, v36
	v_subrev_nc_u32_e32 v50, 29, v34
	v_sub_nc_u32_e32 v34, 30, v34
	v_lshlrev_b32_e32 v50, v50, v18
	v_lshlrev_b32_e32 v18, 24, v18
	v_cndmask_b32_e32 v34, v36, v34, vcc_lo
	v_and_b32_e32 v50, 3, v50
	v_and_b32_e32 v18, 0x80000000, v18
	v_lshl_add_u32 v34, v34, 23, 0x37800000
	v_cndmask_b32_e32 v31, v31, v50, vcc_lo
	v_lshlrev_b32_e32 v31, 21, v31
	v_or3_b32 v31, v18, v34, v31
.LBB4_4385:                             ;   in Loop: Header=BB4_3887 Depth=4
	s_or_b32 exec_lo, exec_lo, s63
	s_waitcnt vmcnt(2) lgkmcnt(2)
	v_cmp_gt_i16_sdwa s63, v5, v100 src0_sel:BYTE_0 src1_sel:DWORD
	s_mov_b32 s16, 0
	s_and_saveexec_b32 s72, s63
	s_xor_b32 s63, exec_lo, s72
	s_cbranch_execz .LBB4_4523
; %bb.4386:                             ;   in Loop: Header=BB4_3887 Depth=4
	v_cmp_eq_u16_sdwa s73, v5, v101 src0_sel:BYTE_0 src1_sel:DWORD
	s_mov_b32 s16, -1
	s_and_saveexec_b32 s72, s73
; %bb.4387:                             ;   in Loop: Header=BB4_3887 Depth=4
	s_xor_b32 s16, exec_lo, -1
; %bb.4388:                             ;   in Loop: Header=BB4_3887 Depth=4
	s_or_b32 exec_lo, exec_lo, s72
	s_and_b32 s16, s16, exec_lo
	s_or_saveexec_b32 s63, s63
	v_mov_b32_e32 v18, 0x7f800001
	s_xor_b32 exec_lo, exec_lo, s63
	s_cbranch_execnz .LBB4_4524
.LBB4_4389:                             ;   in Loop: Header=BB4_3887 Depth=4
	s_or_b32 exec_lo, exec_lo, s63
	s_and_saveexec_b32 s63, s16
	s_cbranch_execz .LBB4_4391
.LBB4_4390:                             ;   in Loop: Header=BB4_3887 Depth=4
	v_and_b32_e32 v18, 3, v5
	v_lshrrev_b16 v36, 2, v5
	v_ffbh_u32_e32 v34, v18
	v_and_b32_e32 v36, 31, v36
	v_min_u32_e32 v34, 32, v34
	v_cmp_eq_u32_e32 vcc_lo, 0, v36
	v_subrev_nc_u32_e32 v50, 29, v34
	v_sub_nc_u32_e32 v34, 30, v34
	v_lshlrev_b32_e32 v50, v50, v5
	v_lshlrev_b32_e32 v5, 24, v5
	v_cndmask_b32_e32 v34, v36, v34, vcc_lo
	v_and_b32_e32 v50, 3, v50
	v_and_b32_e32 v5, 0x80000000, v5
	v_lshl_add_u32 v34, v34, 23, 0x37800000
	v_cndmask_b32_e32 v18, v18, v50, vcc_lo
	v_lshlrev_b32_e32 v18, 21, v18
	v_or3_b32 v18, v5, v34, v18
.LBB4_4391:                             ;   in Loop: Header=BB4_3887 Depth=4
	s_or_b32 exec_lo, exec_lo, s63
	v_add_f32_e32 v18, v31, v18
	v_and_b32_e32 v5, 0x7f800000, v18
	v_cmp_ne_u32_e32 vcc_lo, 0x7f800000, v5
	v_mov_b32_e32 v5, 0x80
	s_and_saveexec_b32 s63, vcc_lo
	s_cbranch_execz .LBB4_4399
; %bb.4392:                             ;   in Loop: Header=BB4_3887 Depth=4
	v_mov_b32_e32 v5, 0
	s_mov_b32 s72, exec_lo
	v_cmpx_ne_u32_e32 0, v18
	s_cbranch_execz .LBB4_4398
; %bb.4393:                             ;   in Loop: Header=BB4_3887 Depth=4
	v_bfe_u32 v5, v18, 23, 8
	v_and_b32_e32 v31, 0x7fffff, v18
	v_sub_nc_u32_e32 v34, 0x70, v5
	v_cmp_gt_u32_e32 vcc_lo, 0x71, v5
	v_or_b32_e32 v36, 0x800000, v31
	v_cndmask_b32_e32 v34, 0, v34, vcc_lo
	v_cmp_eq_u32_e32 vcc_lo, 0, v5
	v_add_nc_u32_e32 v5, 0xffffff91, v5
	v_cndmask_b32_e64 v34, v34, 0x6f, vcc_lo
	v_cndmask_b32_e32 v31, v36, v31, vcc_lo
	v_cndmask_b32_e64 v5, v5, 0xffffff92, vcc_lo
	v_lshl_add_u32 v36, 0x200000, v34, -1
	v_lshrrev_b32_e32 v50, v34, v31
	v_lshlrev_b32_e64 v67, v34, 0x100000
	v_add_nc_u32_e32 v34, v34, v5
	v_and_b32_e32 v31, v36, v31
	v_bfe_u32 v51, v50, 21, 1
	v_cmp_eq_u32_e64 s16, v31, v67
	v_add_nc_u32_e32 v36, -1, v51
	v_cndmask_b32_e64 v31, 0, v36, s16
	v_lshrrev_b32_e32 v36, 23, v50
	s_mov_b32 s16, exec_lo
	v_add_nc_u32_e32 v31, v31, v50
	v_xor_b32_e32 v36, 1, v36
	v_and_b32_e32 v5, 0x1fffff, v31
	v_add_nc_u32_e32 v31, v5, v50
                                        ; implicit-def: $vgpr5
	v_cmpx_ne_u32_e64 v34, v36
	s_xor_b32 s16, exec_lo, s16
; %bb.4394:                             ;   in Loop: Header=BB4_3887 Depth=4
	v_cmp_lt_u32_e32 vcc_lo, 0xffffff, v31
	v_sub_nc_u32_e32 v5, v34, v36
	v_cndmask_b32_e64 v34, 0, 1, vcc_lo
	v_add_co_ci_u32_e64 v5, null, 0, v5, vcc_lo
	v_lshrrev_b32_e32 v31, v34, v31
; %bb.4395:                             ;   in Loop: Header=BB4_3887 Depth=4
	s_andn2_saveexec_b32 s16, s16
; %bb.4396:                             ;   in Loop: Header=BB4_3887 Depth=4
	v_bfe_u32 v5, v31, 23, 1
; %bb.4397:                             ;   in Loop: Header=BB4_3887 Depth=4
	s_or_b32 exec_lo, exec_lo, s16
	v_lshrrev_b32_e32 v31, 21, v31
	v_cmp_gt_i32_e32 vcc_lo, 32, v5
	v_min_i32_e32 v34, 31, v5
	v_and_b32_sdwa v18, v18, v101 dst_sel:DWORD dst_unused:UNUSED_PAD src0_sel:BYTE_3 src1_sel:DWORD
	v_cndmask_b32_e32 v31, 3, v31, vcc_lo
	v_lshlrev_b32_e32 v34, 2, v34
	v_and_b32_e32 v36, 3, v31
	v_or_b32_e32 v5, v5, v31
	v_or3_b32 v18, v34, v18, v36
	v_cmp_ne_u32_e32 vcc_lo, 0, v5
	v_cndmask_b32_e32 v5, 0, v18, vcc_lo
.LBB4_4398:                             ;   in Loop: Header=BB4_3887 Depth=4
	s_or_b32 exec_lo, exec_lo, s72
.LBB4_4399:                             ;   in Loop: Header=BB4_3887 Depth=4
	s_or_b32 exec_lo, exec_lo, s63
	v_cmp_gt_i16_sdwa s63, v17, v100 src0_sel:BYTE_0 src1_sel:DWORD
	s_mov_b32 s16, 0
	s_and_saveexec_b32 s72, s63
	s_xor_b32 s63, exec_lo, s72
	s_cbranch_execz .LBB4_4525
; %bb.4400:                             ;   in Loop: Header=BB4_3887 Depth=4
	v_cmp_eq_u16_sdwa s73, v17, v101 src0_sel:BYTE_0 src1_sel:DWORD
	s_mov_b32 s16, -1
	s_and_saveexec_b32 s72, s73
; %bb.4401:                             ;   in Loop: Header=BB4_3887 Depth=4
	s_xor_b32 s16, exec_lo, -1
; %bb.4402:                             ;   in Loop: Header=BB4_3887 Depth=4
	s_or_b32 exec_lo, exec_lo, s72
	s_and_b32 s16, s16, exec_lo
	s_or_saveexec_b32 s63, s63
	v_mov_b32_e32 v18, 0x7f800001
	s_xor_b32 exec_lo, exec_lo, s63
	s_cbranch_execnz .LBB4_4526
.LBB4_4403:                             ;   in Loop: Header=BB4_3887 Depth=4
	s_or_b32 exec_lo, exec_lo, s63
	s_and_saveexec_b32 s63, s16
	s_cbranch_execz .LBB4_4405
.LBB4_4404:                             ;   in Loop: Header=BB4_3887 Depth=4
	v_and_b32_e32 v18, 3, v17
	v_lshrrev_b16 v34, 2, v17
	v_ffbh_u32_e32 v31, v18
	v_and_b32_e32 v34, 31, v34
	v_min_u32_e32 v31, 32, v31
	v_cmp_eq_u32_e32 vcc_lo, 0, v34
	v_subrev_nc_u32_e32 v36, 29, v31
	v_sub_nc_u32_e32 v31, 30, v31
	v_lshlrev_b32_e32 v36, v36, v17
	v_lshlrev_b32_e32 v17, 24, v17
	v_cndmask_b32_e32 v31, v34, v31, vcc_lo
	v_and_b32_e32 v36, 3, v36
	v_and_b32_e32 v17, 0x80000000, v17
	v_lshl_add_u32 v31, v31, 23, 0x37800000
	v_cndmask_b32_e32 v18, v18, v36, vcc_lo
	v_lshlrev_b32_e32 v18, 21, v18
	v_or3_b32 v18, v17, v31, v18
.LBB4_4405:                             ;   in Loop: Header=BB4_3887 Depth=4
	s_or_b32 exec_lo, exec_lo, s63
	s_waitcnt vmcnt(1) lgkmcnt(1)
	v_cmp_gt_i16_sdwa s63, v19, v100 src0_sel:BYTE_0 src1_sel:DWORD
	s_mov_b32 s16, 0
	s_and_saveexec_b32 s72, s63
	s_xor_b32 s63, exec_lo, s72
	s_cbranch_execz .LBB4_4527
; %bb.4406:                             ;   in Loop: Header=BB4_3887 Depth=4
	v_cmp_eq_u16_sdwa s73, v19, v101 src0_sel:BYTE_0 src1_sel:DWORD
	s_mov_b32 s16, -1
	s_and_saveexec_b32 s72, s73
; %bb.4407:                             ;   in Loop: Header=BB4_3887 Depth=4
	s_xor_b32 s16, exec_lo, -1
; %bb.4408:                             ;   in Loop: Header=BB4_3887 Depth=4
	s_or_b32 exec_lo, exec_lo, s72
	s_and_b32 s16, s16, exec_lo
	s_or_saveexec_b32 s63, s63
	v_mov_b32_e32 v17, 0x7f800001
	s_xor_b32 exec_lo, exec_lo, s63
	s_cbranch_execnz .LBB4_4528
.LBB4_4409:                             ;   in Loop: Header=BB4_3887 Depth=4
	s_or_b32 exec_lo, exec_lo, s63
	s_and_saveexec_b32 s63, s16
	s_cbranch_execz .LBB4_4411
.LBB4_4410:                             ;   in Loop: Header=BB4_3887 Depth=4
	v_and_b32_e32 v17, 3, v19
	v_lshrrev_b16 v34, 2, v19
	v_ffbh_u32_e32 v31, v17
	v_and_b32_e32 v34, 31, v34
	v_min_u32_e32 v31, 32, v31
	v_cmp_eq_u32_e32 vcc_lo, 0, v34
	v_subrev_nc_u32_e32 v36, 29, v31
	v_sub_nc_u32_e32 v31, 30, v31
	v_lshlrev_b32_e32 v36, v36, v19
	v_lshlrev_b32_e32 v19, 24, v19
	v_cndmask_b32_e32 v31, v34, v31, vcc_lo
	v_and_b32_e32 v36, 3, v36
	v_and_b32_e32 v19, 0x80000000, v19
	v_lshl_add_u32 v31, v31, 23, 0x37800000
	v_cndmask_b32_e32 v17, v17, v36, vcc_lo
	v_lshlrev_b32_e32 v17, 21, v17
	v_or3_b32 v17, v19, v31, v17
.LBB4_4411:                             ;   in Loop: Header=BB4_3887 Depth=4
	s_or_b32 exec_lo, exec_lo, s63
	v_add_f32_e32 v18, v18, v17
	v_and_b32_e32 v17, 0x7f800000, v18
	v_cmp_ne_u32_e32 vcc_lo, 0x7f800000, v17
	v_mov_b32_e32 v17, 0x80
	s_and_saveexec_b32 s63, vcc_lo
	s_cbranch_execz .LBB4_4419
; %bb.4412:                             ;   in Loop: Header=BB4_3887 Depth=4
	v_mov_b32_e32 v17, 0
	s_mov_b32 s72, exec_lo
	v_cmpx_ne_u32_e32 0, v18
	s_cbranch_execz .LBB4_4418
; %bb.4413:                             ;   in Loop: Header=BB4_3887 Depth=4
	v_bfe_u32 v17, v18, 23, 8
	v_and_b32_e32 v19, 0x7fffff, v18
	v_sub_nc_u32_e32 v31, 0x70, v17
	v_cmp_gt_u32_e32 vcc_lo, 0x71, v17
	v_or_b32_e32 v34, 0x800000, v19
	v_cndmask_b32_e32 v31, 0, v31, vcc_lo
	v_cmp_eq_u32_e32 vcc_lo, 0, v17
	v_add_nc_u32_e32 v17, 0xffffff91, v17
	v_cndmask_b32_e64 v31, v31, 0x6f, vcc_lo
	v_cndmask_b32_e32 v19, v34, v19, vcc_lo
	v_cndmask_b32_e64 v17, v17, 0xffffff92, vcc_lo
	v_lshl_add_u32 v34, 0x200000, v31, -1
	v_lshrrev_b32_e32 v36, v31, v19
	v_lshlrev_b32_e64 v51, v31, 0x100000
	v_add_nc_u32_e32 v31, v31, v17
	v_and_b32_e32 v19, v34, v19
	v_bfe_u32 v50, v36, 21, 1
	v_cmp_eq_u32_e64 s16, v19, v51
	v_add_nc_u32_e32 v34, -1, v50
	v_cndmask_b32_e64 v19, 0, v34, s16
	v_lshrrev_b32_e32 v34, 23, v36
	s_mov_b32 s16, exec_lo
	v_add_nc_u32_e32 v19, v19, v36
	v_xor_b32_e32 v34, 1, v34
	v_and_b32_e32 v17, 0x1fffff, v19
	v_add_nc_u32_e32 v19, v17, v36
                                        ; implicit-def: $vgpr17
	v_cmpx_ne_u32_e64 v31, v34
	s_xor_b32 s16, exec_lo, s16
; %bb.4414:                             ;   in Loop: Header=BB4_3887 Depth=4
	v_cmp_lt_u32_e32 vcc_lo, 0xffffff, v19
	v_sub_nc_u32_e32 v17, v31, v34
	v_cndmask_b32_e64 v31, 0, 1, vcc_lo
	v_add_co_ci_u32_e64 v17, null, 0, v17, vcc_lo
	v_lshrrev_b32_e32 v19, v31, v19
; %bb.4415:                             ;   in Loop: Header=BB4_3887 Depth=4
	s_andn2_saveexec_b32 s16, s16
; %bb.4416:                             ;   in Loop: Header=BB4_3887 Depth=4
	v_bfe_u32 v17, v19, 23, 1
; %bb.4417:                             ;   in Loop: Header=BB4_3887 Depth=4
	s_or_b32 exec_lo, exec_lo, s16
	v_lshrrev_b32_e32 v19, 21, v19
	v_cmp_gt_i32_e32 vcc_lo, 32, v17
	v_min_i32_e32 v31, 31, v17
	v_and_b32_sdwa v18, v18, v101 dst_sel:DWORD dst_unused:UNUSED_PAD src0_sel:BYTE_3 src1_sel:DWORD
	v_cndmask_b32_e32 v19, 3, v19, vcc_lo
	v_lshlrev_b32_e32 v31, 2, v31
	v_and_b32_e32 v34, 3, v19
	v_or_b32_e32 v17, v17, v19
	v_or3_b32 v18, v31, v18, v34
	v_cmp_ne_u32_e32 vcc_lo, 0, v17
	v_cndmask_b32_e32 v17, 0, v18, vcc_lo
.LBB4_4418:                             ;   in Loop: Header=BB4_3887 Depth=4
	s_or_b32 exec_lo, exec_lo, s72
.LBB4_4419:                             ;   in Loop: Header=BB4_3887 Depth=4
	s_or_b32 exec_lo, exec_lo, s63
	v_cmp_gt_i16_sdwa s63, v15, v100 src0_sel:BYTE_0 src1_sel:DWORD
	s_mov_b32 s16, 0
	s_and_saveexec_b32 s72, s63
	s_xor_b32 s63, exec_lo, s72
	s_cbranch_execz .LBB4_4529
; %bb.4420:                             ;   in Loop: Header=BB4_3887 Depth=4
	v_cmp_eq_u16_sdwa s73, v15, v101 src0_sel:BYTE_0 src1_sel:DWORD
	s_mov_b32 s16, -1
	s_and_saveexec_b32 s72, s73
; %bb.4421:                             ;   in Loop: Header=BB4_3887 Depth=4
	s_xor_b32 s16, exec_lo, -1
; %bb.4422:                             ;   in Loop: Header=BB4_3887 Depth=4
	s_or_b32 exec_lo, exec_lo, s72
	s_and_b32 s16, s16, exec_lo
	s_or_saveexec_b32 s63, s63
	v_mov_b32_e32 v18, 0x7f800001
	s_xor_b32 exec_lo, exec_lo, s63
	s_cbranch_execnz .LBB4_4530
.LBB4_4423:                             ;   in Loop: Header=BB4_3887 Depth=4
	s_or_b32 exec_lo, exec_lo, s63
	s_and_saveexec_b32 s63, s16
	s_cbranch_execz .LBB4_4425
.LBB4_4424:                             ;   in Loop: Header=BB4_3887 Depth=4
	v_and_b32_e32 v18, 3, v15
	v_lshrrev_b16 v31, 2, v15
	v_ffbh_u32_e32 v19, v18
	v_and_b32_e32 v31, 31, v31
	v_min_u32_e32 v19, 32, v19
	v_cmp_eq_u32_e32 vcc_lo, 0, v31
	v_subrev_nc_u32_e32 v34, 29, v19
	v_sub_nc_u32_e32 v19, 30, v19
	v_lshlrev_b32_e32 v34, v34, v15
	v_lshlrev_b32_e32 v15, 24, v15
	v_cndmask_b32_e32 v19, v31, v19, vcc_lo
	v_and_b32_e32 v34, 3, v34
	v_and_b32_e32 v15, 0x80000000, v15
	v_lshl_add_u32 v19, v19, 23, 0x37800000
	v_cndmask_b32_e32 v18, v18, v34, vcc_lo
	v_lshlrev_b32_e32 v18, 21, v18
	v_or3_b32 v18, v15, v19, v18
.LBB4_4425:                             ;   in Loop: Header=BB4_3887 Depth=4
	s_or_b32 exec_lo, exec_lo, s63
	s_waitcnt vmcnt(0) lgkmcnt(0)
	v_cmp_gt_i16_sdwa s63, v14, v100 src0_sel:BYTE_0 src1_sel:DWORD
	s_mov_b32 s16, 0
	s_and_saveexec_b32 s72, s63
	s_xor_b32 s63, exec_lo, s72
	s_cbranch_execz .LBB4_4531
; %bb.4426:                             ;   in Loop: Header=BB4_3887 Depth=4
	v_cmp_eq_u16_sdwa s73, v14, v101 src0_sel:BYTE_0 src1_sel:DWORD
	s_mov_b32 s16, -1
	s_and_saveexec_b32 s72, s73
; %bb.4427:                             ;   in Loop: Header=BB4_3887 Depth=4
	s_xor_b32 s16, exec_lo, -1
; %bb.4428:                             ;   in Loop: Header=BB4_3887 Depth=4
	s_or_b32 exec_lo, exec_lo, s72
	s_and_b32 s16, s16, exec_lo
	s_or_saveexec_b32 s63, s63
	v_mov_b32_e32 v15, 0x7f800001
	s_xor_b32 exec_lo, exec_lo, s63
	s_cbranch_execnz .LBB4_4532
.LBB4_4429:                             ;   in Loop: Header=BB4_3887 Depth=4
	s_or_b32 exec_lo, exec_lo, s63
	s_and_saveexec_b32 s63, s16
	s_cbranch_execz .LBB4_4431
.LBB4_4430:                             ;   in Loop: Header=BB4_3887 Depth=4
	v_and_b32_e32 v15, 3, v14
	v_lshrrev_b16 v31, 2, v14
	v_ffbh_u32_e32 v19, v15
	v_and_b32_e32 v31, 31, v31
	v_min_u32_e32 v19, 32, v19
	v_cmp_eq_u32_e32 vcc_lo, 0, v31
	v_subrev_nc_u32_e32 v34, 29, v19
	v_sub_nc_u32_e32 v19, 30, v19
	v_lshlrev_b32_e32 v34, v34, v14
	v_lshlrev_b32_e32 v14, 24, v14
	v_cndmask_b32_e32 v19, v31, v19, vcc_lo
	v_and_b32_e32 v34, 3, v34
	v_and_b32_e32 v14, 0x80000000, v14
	v_lshl_add_u32 v19, v19, 23, 0x37800000
	v_cndmask_b32_e32 v15, v15, v34, vcc_lo
	v_lshlrev_b32_e32 v15, 21, v15
	v_or3_b32 v15, v14, v19, v15
.LBB4_4431:                             ;   in Loop: Header=BB4_3887 Depth=4
	s_or_b32 exec_lo, exec_lo, s63
	v_add_f32_e32 v15, v18, v15
	v_and_b32_e32 v14, 0x7f800000, v15
	v_cmp_ne_u32_e32 vcc_lo, 0x7f800000, v14
	v_mov_b32_e32 v14, 0x80
	s_and_saveexec_b32 s63, vcc_lo
	s_cbranch_execz .LBB4_3886
; %bb.4432:                             ;   in Loop: Header=BB4_3887 Depth=4
	v_mov_b32_e32 v14, 0
	s_mov_b32 s72, exec_lo
	v_cmpx_ne_u32_e32 0, v15
	s_cbranch_execz .LBB4_3885
; %bb.4433:                             ;   in Loop: Header=BB4_3887 Depth=4
	v_bfe_u32 v14, v15, 23, 8
	v_and_b32_e32 v18, 0x7fffff, v15
	v_sub_nc_u32_e32 v19, 0x70, v14
	v_cmp_gt_u32_e32 vcc_lo, 0x71, v14
	v_or_b32_e32 v31, 0x800000, v18
	v_cndmask_b32_e32 v19, 0, v19, vcc_lo
	v_cmp_eq_u32_e32 vcc_lo, 0, v14
	v_add_nc_u32_e32 v14, 0xffffff91, v14
	v_cndmask_b32_e64 v19, v19, 0x6f, vcc_lo
	v_cndmask_b32_e32 v18, v31, v18, vcc_lo
	v_cndmask_b32_e64 v14, v14, 0xffffff92, vcc_lo
	v_lshl_add_u32 v31, 0x200000, v19, -1
	v_lshrrev_b32_e32 v34, v19, v18
	v_lshlrev_b32_e64 v50, v19, 0x100000
	v_add_nc_u32_e32 v19, v19, v14
	v_and_b32_e32 v18, v31, v18
	v_bfe_u32 v36, v34, 21, 1
	v_cmp_eq_u32_e64 s16, v18, v50
	v_add_nc_u32_e32 v31, -1, v36
	v_cndmask_b32_e64 v18, 0, v31, s16
	v_lshrrev_b32_e32 v31, 23, v34
	s_mov_b32 s16, exec_lo
	v_add_nc_u32_e32 v18, v18, v34
	v_xor_b32_e32 v31, 1, v31
	v_and_b32_e32 v14, 0x1fffff, v18
	v_add_nc_u32_e32 v18, v14, v34
                                        ; implicit-def: $vgpr14
	v_cmpx_ne_u32_e64 v19, v31
	s_xor_b32 s16, exec_lo, s16
; %bb.4434:                             ;   in Loop: Header=BB4_3887 Depth=4
	v_cmp_lt_u32_e32 vcc_lo, 0xffffff, v18
	v_sub_nc_u32_e32 v14, v19, v31
	v_cndmask_b32_e64 v19, 0, 1, vcc_lo
	v_add_co_ci_u32_e64 v14, null, 0, v14, vcc_lo
	v_lshrrev_b32_e32 v18, v19, v18
; %bb.4435:                             ;   in Loop: Header=BB4_3887 Depth=4
	s_andn2_saveexec_b32 s16, s16
	s_cbranch_execz .LBB4_3884
; %bb.4436:                             ;   in Loop: Header=BB4_3887 Depth=4
	v_bfe_u32 v14, v18, 23, 1
	s_branch .LBB4_3884
.LBB4_4437:                             ;   in Loop: Header=BB4_3887 Depth=4
	s_or_saveexec_b32 s63, s63
	v_mov_b32_e32 v4, 0x7f800001
	s_xor_b32 exec_lo, exec_lo, s63
	s_cbranch_execz .LBB4_3899
.LBB4_4438:                             ;   in Loop: Header=BB4_3887 Depth=4
	v_cmp_ne_u16_e32 vcc_lo, 0, v1
	v_mov_b32_e32 v4, 0
	s_andn2_b32 s16, s16, exec_lo
	s_and_b32 s72, vcc_lo, exec_lo
	s_or_b32 s16, s16, s72
	s_or_b32 exec_lo, exec_lo, s63
	s_and_saveexec_b32 s63, s16
	s_cbranch_execnz .LBB4_3900
	s_branch .LBB4_3901
.LBB4_4439:                             ;   in Loop: Header=BB4_3887 Depth=4
	s_or_saveexec_b32 s63, s63
	v_mov_b32_e32 v4, 0x7f800001
	s_xor_b32 exec_lo, exec_lo, s63
	s_cbranch_execz .LBB4_3913
.LBB4_4440:                             ;   in Loop: Header=BB4_3887 Depth=4
	v_cmp_ne_u16_e32 vcc_lo, 0, v1
	v_mov_b32_e32 v4, 0
	s_andn2_b32 s16, s16, exec_lo
	s_and_b32 s72, vcc_lo, exec_lo
	s_or_b32 s16, s16, s72
	s_or_b32 exec_lo, exec_lo, s63
	s_and_saveexec_b32 s63, s16
	s_cbranch_execnz .LBB4_3914
	s_branch .LBB4_3915
.LBB4_4441:                             ;   in Loop: Header=BB4_3887 Depth=4
	s_or_saveexec_b32 s63, s63
	v_mov_b32_e32 v4, 0x7f800001
	s_xor_b32 exec_lo, exec_lo, s63
	s_cbranch_execz .LBB4_3927
.LBB4_4442:                             ;   in Loop: Header=BB4_3887 Depth=4
	v_cmp_ne_u16_e32 vcc_lo, 0, v1
	v_mov_b32_e32 v4, 0
	s_andn2_b32 s16, s16, exec_lo
	s_and_b32 s72, vcc_lo, exec_lo
	s_or_b32 s16, s16, s72
	s_or_b32 exec_lo, exec_lo, s63
	s_and_saveexec_b32 s63, s16
	s_cbranch_execnz .LBB4_3928
	s_branch .LBB4_3929
.LBB4_4443:                             ;   in Loop: Header=BB4_3887 Depth=4
	s_or_saveexec_b32 s63, s63
	v_mov_b32_e32 v4, 0x7f800001
	s_xor_b32 exec_lo, exec_lo, s63
	s_cbranch_execz .LBB4_3941
.LBB4_4444:                             ;   in Loop: Header=BB4_3887 Depth=4
	v_cmp_ne_u16_e32 vcc_lo, 0, v1
	v_mov_b32_e32 v4, 0
	s_andn2_b32 s16, s16, exec_lo
	s_and_b32 s72, vcc_lo, exec_lo
	s_or_b32 s16, s16, s72
	s_or_b32 exec_lo, exec_lo, s63
	s_and_saveexec_b32 s63, s16
	s_cbranch_execnz .LBB4_3942
	s_branch .LBB4_3943
.LBB4_4445:                             ;   in Loop: Header=BB4_3887 Depth=4
	s_or_saveexec_b32 s63, s63
	v_mov_b32_e32 v4, 0x7f800001
	s_xor_b32 exec_lo, exec_lo, s63
	s_cbranch_execz .LBB4_3955
.LBB4_4446:                             ;   in Loop: Header=BB4_3887 Depth=4
	v_cmp_ne_u16_e32 vcc_lo, 0, v1
	v_mov_b32_e32 v4, 0
	s_andn2_b32 s16, s16, exec_lo
	s_and_b32 s72, vcc_lo, exec_lo
	s_or_b32 s16, s16, s72
	s_or_b32 exec_lo, exec_lo, s63
	s_and_saveexec_b32 s63, s16
	s_cbranch_execnz .LBB4_3956
	s_branch .LBB4_3957
.LBB4_4447:                             ;   in Loop: Header=BB4_3887 Depth=4
	s_or_saveexec_b32 s63, s63
	v_mov_b32_e32 v4, 0x7f800001
	s_xor_b32 exec_lo, exec_lo, s63
	s_cbranch_execz .LBB4_3969
.LBB4_4448:                             ;   in Loop: Header=BB4_3887 Depth=4
	v_cmp_ne_u16_e32 vcc_lo, 0, v1
	v_mov_b32_e32 v4, 0
	s_andn2_b32 s16, s16, exec_lo
	s_and_b32 s72, vcc_lo, exec_lo
	s_or_b32 s16, s16, s72
	s_or_b32 exec_lo, exec_lo, s63
	s_and_saveexec_b32 s63, s16
	s_cbranch_execnz .LBB4_3970
	s_branch .LBB4_3971
.LBB4_4449:                             ;   in Loop: Header=BB4_3887 Depth=4
	s_or_saveexec_b32 s63, s63
	v_mov_b32_e32 v4, 0x7f800001
	s_xor_b32 exec_lo, exec_lo, s63
	s_cbranch_execz .LBB4_3983
.LBB4_4450:                             ;   in Loop: Header=BB4_3887 Depth=4
	v_cmp_ne_u16_e32 vcc_lo, 0, v1
	v_mov_b32_e32 v4, 0
	s_andn2_b32 s16, s16, exec_lo
	s_and_b32 s72, vcc_lo, exec_lo
	s_or_b32 s16, s16, s72
	s_or_b32 exec_lo, exec_lo, s63
	s_and_saveexec_b32 s63, s16
	s_cbranch_execnz .LBB4_3984
	s_branch .LBB4_3985
.LBB4_4451:                             ;   in Loop: Header=BB4_3887 Depth=4
	s_or_saveexec_b32 s63, s63
	v_mov_b32_e32 v4, 0x7f800001
	s_xor_b32 exec_lo, exec_lo, s63
	s_cbranch_execz .LBB4_3997
.LBB4_4452:                             ;   in Loop: Header=BB4_3887 Depth=4
	v_cmp_ne_u16_e32 vcc_lo, 0, v1
	v_mov_b32_e32 v4, 0
	s_andn2_b32 s16, s16, exec_lo
	s_and_b32 s72, vcc_lo, exec_lo
	s_or_b32 s16, s16, s72
	s_or_b32 exec_lo, exec_lo, s63
	s_and_saveexec_b32 s63, s16
	s_cbranch_execnz .LBB4_3998
	s_branch .LBB4_3999
.LBB4_4453:                             ;   in Loop: Header=BB4_3887 Depth=4
	s_or_saveexec_b32 s63, s63
	v_mov_b32_e32 v4, 0x7f800001
	s_xor_b32 exec_lo, exec_lo, s63
	s_cbranch_execz .LBB4_4011
.LBB4_4454:                             ;   in Loop: Header=BB4_3887 Depth=4
	v_cmp_ne_u16_e32 vcc_lo, 0, v1
	v_mov_b32_e32 v4, 0
	s_andn2_b32 s16, s16, exec_lo
	s_and_b32 s72, vcc_lo, exec_lo
	s_or_b32 s16, s16, s72
	s_or_b32 exec_lo, exec_lo, s63
	s_and_saveexec_b32 s63, s16
	s_cbranch_execnz .LBB4_4012
	s_branch .LBB4_4013
.LBB4_4455:                             ;   in Loop: Header=BB4_3887 Depth=4
	s_or_saveexec_b32 s63, s63
	v_mov_b32_e32 v4, 0x7f800001
	s_xor_b32 exec_lo, exec_lo, s63
	s_cbranch_execz .LBB4_4025
.LBB4_4456:                             ;   in Loop: Header=BB4_3887 Depth=4
	v_cmp_ne_u16_e32 vcc_lo, 0, v1
	v_mov_b32_e32 v4, 0
	s_andn2_b32 s16, s16, exec_lo
	s_and_b32 s72, vcc_lo, exec_lo
	s_or_b32 s16, s16, s72
	s_or_b32 exec_lo, exec_lo, s63
	s_and_saveexec_b32 s63, s16
	s_cbranch_execnz .LBB4_4026
	s_branch .LBB4_4027
.LBB4_4457:                             ;   in Loop: Header=BB4_3887 Depth=4
	s_or_saveexec_b32 s63, s63
	v_mov_b32_e32 v14, 0x7f800001
	s_xor_b32 exec_lo, exec_lo, s63
	s_cbranch_execz .LBB4_4039
.LBB4_4458:                             ;   in Loop: Header=BB4_3887 Depth=4
	v_cmp_ne_u16_e32 vcc_lo, 0, v1
	v_mov_b32_e32 v14, 0
	s_andn2_b32 s16, s16, exec_lo
	s_and_b32 s72, vcc_lo, exec_lo
	s_or_b32 s16, s16, s72
	s_or_b32 exec_lo, exec_lo, s63
	s_and_saveexec_b32 s63, s16
	s_cbranch_execnz .LBB4_4040
	s_branch .LBB4_4041
.LBB4_4459:                             ;   in Loop: Header=BB4_3887 Depth=4
	s_or_saveexec_b32 s63, s63
	v_mov_b32_e32 v14, 0x7f800001
	s_xor_b32 exec_lo, exec_lo, s63
	s_cbranch_execz .LBB4_4053
.LBB4_4460:                             ;   in Loop: Header=BB4_3887 Depth=4
	v_cmp_ne_u16_e32 vcc_lo, 0, v1
	v_mov_b32_e32 v14, 0
	s_andn2_b32 s16, s16, exec_lo
	s_and_b32 s72, vcc_lo, exec_lo
	s_or_b32 s16, s16, s72
	s_or_b32 exec_lo, exec_lo, s63
	s_and_saveexec_b32 s63, s16
	s_cbranch_execnz .LBB4_4054
	s_branch .LBB4_4055
.LBB4_4461:                             ;   in Loop: Header=BB4_3887 Depth=4
	s_or_saveexec_b32 s63, s63
	v_mov_b32_e32 v14, 0x7f800001
	s_xor_b32 exec_lo, exec_lo, s63
	s_cbranch_execz .LBB4_4067
.LBB4_4462:                             ;   in Loop: Header=BB4_3887 Depth=4
	v_cmp_ne_u16_e32 vcc_lo, 0, v1
	v_mov_b32_e32 v14, 0
	s_andn2_b32 s16, s16, exec_lo
	s_and_b32 s72, vcc_lo, exec_lo
	s_or_b32 s16, s16, s72
	s_or_b32 exec_lo, exec_lo, s63
	s_and_saveexec_b32 s63, s16
	s_cbranch_execnz .LBB4_4068
	s_branch .LBB4_4069
.LBB4_4463:                             ;   in Loop: Header=BB4_3887 Depth=4
	s_or_saveexec_b32 s63, s63
	v_mov_b32_e32 v14, 0x7f800001
	s_xor_b32 exec_lo, exec_lo, s63
	s_cbranch_execz .LBB4_4081
.LBB4_4464:                             ;   in Loop: Header=BB4_3887 Depth=4
	v_cmp_ne_u16_e32 vcc_lo, 0, v1
	v_mov_b32_e32 v14, 0
	s_andn2_b32 s16, s16, exec_lo
	s_and_b32 s72, vcc_lo, exec_lo
	s_or_b32 s16, s16, s72
	s_or_b32 exec_lo, exec_lo, s63
	s_and_saveexec_b32 s63, s16
	s_cbranch_execnz .LBB4_4082
	s_branch .LBB4_4083
.LBB4_4465:                             ;   in Loop: Header=BB4_3887 Depth=4
	s_or_saveexec_b32 s63, s63
	v_mov_b32_e32 v14, 0x7f800001
	s_xor_b32 exec_lo, exec_lo, s63
	s_cbranch_execz .LBB4_4095
.LBB4_4466:                             ;   in Loop: Header=BB4_3887 Depth=4
	v_cmp_ne_u16_e32 vcc_lo, 0, v1
	v_mov_b32_e32 v14, 0
	s_andn2_b32 s16, s16, exec_lo
	s_and_b32 s72, vcc_lo, exec_lo
	s_or_b32 s16, s16, s72
	s_or_b32 exec_lo, exec_lo, s63
	s_and_saveexec_b32 s63, s16
	s_cbranch_execnz .LBB4_4096
	s_branch .LBB4_4097
.LBB4_4467:                             ;   in Loop: Header=BB4_3887 Depth=4
	s_or_saveexec_b32 s63, s63
	v_mov_b32_e32 v14, 0x7f800001
	s_xor_b32 exec_lo, exec_lo, s63
	s_cbranch_execz .LBB4_4109
.LBB4_4468:                             ;   in Loop: Header=BB4_3887 Depth=4
	v_cmp_ne_u16_e32 vcc_lo, 0, v1
	v_mov_b32_e32 v14, 0
	s_andn2_b32 s16, s16, exec_lo
	s_and_b32 s72, vcc_lo, exec_lo
	s_or_b32 s16, s16, s72
	s_or_b32 exec_lo, exec_lo, s63
	s_and_saveexec_b32 s63, s16
	s_cbranch_execnz .LBB4_4110
	s_branch .LBB4_4111
.LBB4_4469:                             ;   in Loop: Header=BB4_3887 Depth=4
	s_or_saveexec_b32 s63, s63
	v_mov_b32_e32 v51, 0x7f800001
	s_xor_b32 exec_lo, exec_lo, s63
	s_cbranch_execz .LBB4_4123
.LBB4_4470:                             ;   in Loop: Header=BB4_3887 Depth=4
	v_cmp_ne_u16_sdwa s72, v16, v2 src0_sel:BYTE_0 src1_sel:DWORD
	v_mov_b32_e32 v51, 0
	s_andn2_b32 s16, s16, exec_lo
	s_and_b32 s72, s72, exec_lo
	s_or_b32 s16, s16, s72
	s_or_b32 exec_lo, exec_lo, s63
	s_and_saveexec_b32 s63, s16
	s_cbranch_execnz .LBB4_4124
	s_branch .LBB4_4125
.LBB4_4471:                             ;   in Loop: Header=BB4_3887 Depth=4
	s_or_saveexec_b32 s63, s63
	v_mov_b32_e32 v16, 0x7f800001
	s_xor_b32 exec_lo, exec_lo, s63
	s_cbranch_execz .LBB4_4129
.LBB4_4472:                             ;   in Loop: Header=BB4_3887 Depth=4
	v_cmp_ne_u16_sdwa s72, v50, v2 src0_sel:BYTE_0 src1_sel:DWORD
	v_mov_b32_e32 v16, 0
	s_andn2_b32 s16, s16, exec_lo
	s_and_b32 s72, s72, exec_lo
	s_or_b32 s16, s16, s72
	s_or_b32 exec_lo, exec_lo, s63
	s_and_saveexec_b32 s63, s16
	s_cbranch_execnz .LBB4_4130
	s_branch .LBB4_4131
.LBB4_4473:                             ;   in Loop: Header=BB4_3887 Depth=4
	s_or_saveexec_b32 s63, s63
	v_mov_b32_e32 v50, 0x7f800001
	s_xor_b32 exec_lo, exec_lo, s63
	s_cbranch_execz .LBB4_4143
.LBB4_4474:                             ;   in Loop: Header=BB4_3887 Depth=4
	v_cmp_ne_u16_sdwa s72, v30, v2 src0_sel:BYTE_0 src1_sel:DWORD
	v_mov_b32_e32 v50, 0
	s_andn2_b32 s16, s16, exec_lo
	s_and_b32 s72, s72, exec_lo
	s_or_b32 s16, s16, s72
	s_or_b32 exec_lo, exec_lo, s63
	s_and_saveexec_b32 s63, s16
	s_cbranch_execnz .LBB4_4144
	s_branch .LBB4_4145
.LBB4_4475:                             ;   in Loop: Header=BB4_3887 Depth=4
	s_or_saveexec_b32 s63, s63
	v_mov_b32_e32 v30, 0x7f800001
	s_xor_b32 exec_lo, exec_lo, s63
	s_cbranch_execz .LBB4_4149
.LBB4_4476:                             ;   in Loop: Header=BB4_3887 Depth=4
	v_cmp_ne_u16_sdwa s72, v73, v2 src0_sel:BYTE_0 src1_sel:DWORD
	v_mov_b32_e32 v30, 0
	s_andn2_b32 s16, s16, exec_lo
	s_and_b32 s72, s72, exec_lo
	s_or_b32 s16, s16, s72
	s_or_b32 exec_lo, exec_lo, s63
	s_and_saveexec_b32 s63, s16
	s_cbranch_execnz .LBB4_4150
	s_branch .LBB4_4151
.LBB4_4477:                             ;   in Loop: Header=BB4_3887 Depth=4
	s_or_saveexec_b32 s63, s63
	v_mov_b32_e32 v50, 0x7f800001
	s_xor_b32 exec_lo, exec_lo, s63
	s_cbranch_execz .LBB4_4163
.LBB4_4478:                             ;   in Loop: Header=BB4_3887 Depth=4
	v_cmp_ne_u16_sdwa s72, v64, v2 src0_sel:BYTE_0 src1_sel:DWORD
	v_mov_b32_e32 v50, 0
	s_andn2_b32 s16, s16, exec_lo
	s_and_b32 s72, s72, exec_lo
	s_or_b32 s16, s16, s72
	s_or_b32 exec_lo, exec_lo, s63
	s_and_saveexec_b32 s63, s16
	s_cbranch_execnz .LBB4_4164
	s_branch .LBB4_4165
.LBB4_4479:                             ;   in Loop: Header=BB4_3887 Depth=4
	s_or_saveexec_b32 s63, s63
	v_mov_b32_e32 v51, 0x7f800001
	s_xor_b32 exec_lo, exec_lo, s63
	s_cbranch_execz .LBB4_4169
.LBB4_4480:                             ;   in Loop: Header=BB4_3887 Depth=4
	v_cmp_ne_u16_sdwa s72, v97, v2 src0_sel:BYTE_0 src1_sel:DWORD
	v_mov_b32_e32 v51, 0
	s_andn2_b32 s16, s16, exec_lo
	s_and_b32 s72, s72, exec_lo
	s_or_b32 s16, s16, s72
	s_or_b32 exec_lo, exec_lo, s63
	s_and_saveexec_b32 s63, s16
	s_cbranch_execnz .LBB4_4170
	s_branch .LBB4_4171
.LBB4_4481:                             ;   in Loop: Header=BB4_3887 Depth=4
	s_or_saveexec_b32 s63, s63
	v_mov_b32_e32 v50, 0x7f800001
	s_xor_b32 exec_lo, exec_lo, s63
	s_cbranch_execz .LBB4_4183
.LBB4_4482:                             ;   in Loop: Header=BB4_3887 Depth=4
	v_cmp_ne_u16_sdwa s72, v59, v2 src0_sel:BYTE_0 src1_sel:DWORD
	v_mov_b32_e32 v50, 0
	s_andn2_b32 s16, s16, exec_lo
	s_and_b32 s72, s72, exec_lo
	s_or_b32 s16, s16, s72
	s_or_b32 exec_lo, exec_lo, s63
	s_and_saveexec_b32 s63, s16
	s_cbranch_execnz .LBB4_4184
	s_branch .LBB4_4185
.LBB4_4483:                             ;   in Loop: Header=BB4_3887 Depth=4
	s_or_saveexec_b32 s63, s63
	v_mov_b32_e32 v51, 0x7f800001
	s_xor_b32 exec_lo, exec_lo, s63
	s_cbranch_execz .LBB4_4189
.LBB4_4484:                             ;   in Loop: Header=BB4_3887 Depth=4
	v_cmp_ne_u16_sdwa s72, v72, v2 src0_sel:BYTE_0 src1_sel:DWORD
	v_mov_b32_e32 v51, 0
	s_andn2_b32 s16, s16, exec_lo
	s_and_b32 s72, s72, exec_lo
	s_or_b32 s16, s16, s72
	s_or_b32 exec_lo, exec_lo, s63
	s_and_saveexec_b32 s63, s16
	s_cbranch_execnz .LBB4_4190
	s_branch .LBB4_4191
.LBB4_4485:                             ;   in Loop: Header=BB4_3887 Depth=4
	s_or_saveexec_b32 s63, s63
	v_mov_b32_e32 v50, 0x7f800001
	s_xor_b32 exec_lo, exec_lo, s63
	s_cbranch_execz .LBB4_4203
.LBB4_4486:                             ;   in Loop: Header=BB4_3887 Depth=4
	v_cmp_ne_u16_sdwa s72, v60, v2 src0_sel:BYTE_0 src1_sel:DWORD
	v_mov_b32_e32 v50, 0
	s_andn2_b32 s16, s16, exec_lo
	s_and_b32 s72, s72, exec_lo
	s_or_b32 s16, s16, s72
	s_or_b32 exec_lo, exec_lo, s63
	s_and_saveexec_b32 s63, s16
	s_cbranch_execnz .LBB4_4204
	s_branch .LBB4_4205
.LBB4_4487:                             ;   in Loop: Header=BB4_3887 Depth=4
	s_or_saveexec_b32 s63, s63
	v_mov_b32_e32 v51, 0x7f800001
	s_xor_b32 exec_lo, exec_lo, s63
	s_cbranch_execz .LBB4_4209
.LBB4_4488:                             ;   in Loop: Header=BB4_3887 Depth=4
	v_cmp_ne_u16_sdwa s72, v1, v2 src0_sel:BYTE_0 src1_sel:DWORD
	v_mov_b32_e32 v51, 0
	s_andn2_b32 s16, s16, exec_lo
	s_and_b32 s72, s72, exec_lo
	s_or_b32 s16, s16, s72
	s_or_b32 exec_lo, exec_lo, s63
	s_and_saveexec_b32 s63, s16
	s_cbranch_execnz .LBB4_4210
	s_branch .LBB4_4211
.LBB4_4489:                             ;   in Loop: Header=BB4_3887 Depth=4
	s_or_saveexec_b32 s63, s63
	v_mov_b32_e32 v1, 0x7f800001
	s_xor_b32 exec_lo, exec_lo, s63
	s_cbranch_execz .LBB4_4223
.LBB4_4490:                             ;   in Loop: Header=BB4_3887 Depth=4
	v_cmp_ne_u16_sdwa s72, v81, v2 src0_sel:BYTE_0 src1_sel:DWORD
	v_mov_b32_e32 v1, 0
	s_andn2_b32 s16, s16, exec_lo
	s_and_b32 s72, s72, exec_lo
	s_or_b32 s16, s16, s72
	s_or_b32 exec_lo, exec_lo, s63
	s_and_saveexec_b32 s63, s16
	s_cbranch_execnz .LBB4_4224
	s_branch .LBB4_4225
.LBB4_4491:                             ;   in Loop: Header=BB4_3887 Depth=4
	s_or_saveexec_b32 s63, s63
	v_mov_b32_e32 v50, 0x7f800001
	s_xor_b32 exec_lo, exec_lo, s63
	s_cbranch_execz .LBB4_4229
.LBB4_4492:                             ;   in Loop: Header=BB4_3887 Depth=4
	v_cmp_ne_u16_sdwa s72, v35, v2 src0_sel:BYTE_0 src1_sel:DWORD
	v_mov_b32_e32 v50, 0
	s_andn2_b32 s16, s16, exec_lo
	s_and_b32 s72, s72, exec_lo
	s_or_b32 s16, s16, s72
	s_or_b32 exec_lo, exec_lo, s63
	s_and_saveexec_b32 s63, s16
	s_cbranch_execnz .LBB4_4230
	s_branch .LBB4_4231
.LBB4_4493:                             ;   in Loop: Header=BB4_3887 Depth=4
	s_or_saveexec_b32 s63, s63
	v_mov_b32_e32 v1, 0x7f800001
	s_xor_b32 exec_lo, exec_lo, s63
	s_cbranch_execz .LBB4_4243
.LBB4_4494:                             ;   in Loop: Header=BB4_3887 Depth=4
	v_cmp_ne_u16_sdwa s72, v66, v2 src0_sel:BYTE_0 src1_sel:DWORD
	v_mov_b32_e32 v1, 0
	s_andn2_b32 s16, s16, exec_lo
	s_and_b32 s72, s72, exec_lo
	s_or_b32 s16, s16, s72
	s_or_b32 exec_lo, exec_lo, s63
	s_and_saveexec_b32 s63, s16
	s_cbranch_execnz .LBB4_4244
	s_branch .LBB4_4245
.LBB4_4495:                             ;   in Loop: Header=BB4_3887 Depth=4
	s_or_saveexec_b32 s63, s63
	v_mov_b32_e32 v50, 0x7f800001
	s_xor_b32 exec_lo, exec_lo, s63
	s_cbranch_execz .LBB4_4249
.LBB4_4496:                             ;   in Loop: Header=BB4_3887 Depth=4
	v_cmp_ne_u16_sdwa s72, v31, v2 src0_sel:BYTE_0 src1_sel:DWORD
	v_mov_b32_e32 v50, 0
	s_andn2_b32 s16, s16, exec_lo
	s_and_b32 s72, s72, exec_lo
	s_or_b32 s16, s16, s72
	s_or_b32 exec_lo, exec_lo, s63
	s_and_saveexec_b32 s63, s16
	s_cbranch_execnz .LBB4_4250
	s_branch .LBB4_4251
.LBB4_4497:                             ;   in Loop: Header=BB4_3887 Depth=4
	s_or_saveexec_b32 s63, s63
	v_mov_b32_e32 v1, 0x7f800001
	s_xor_b32 exec_lo, exec_lo, s63
	s_cbranch_execz .LBB4_4263
.LBB4_4498:                             ;   in Loop: Header=BB4_3887 Depth=4
	v_cmp_ne_u16_sdwa s72, v65, v2 src0_sel:BYTE_0 src1_sel:DWORD
	v_mov_b32_e32 v1, 0
	s_andn2_b32 s16, s16, exec_lo
	s_and_b32 s72, s72, exec_lo
	s_or_b32 s16, s16, s72
	s_or_b32 exec_lo, exec_lo, s63
	s_and_saveexec_b32 s63, s16
	s_cbranch_execnz .LBB4_4264
	s_branch .LBB4_4265
.LBB4_4499:                             ;   in Loop: Header=BB4_3887 Depth=4
	s_or_saveexec_b32 s63, s63
	v_mov_b32_e32 v31, 0x7f800001
	s_xor_b32 exec_lo, exec_lo, s63
	s_cbranch_execz .LBB4_4269
.LBB4_4500:                             ;   in Loop: Header=BB4_3887 Depth=4
	v_cmp_ne_u16_sdwa s72, v96, v2 src0_sel:BYTE_0 src1_sel:DWORD
	v_mov_b32_e32 v31, 0
	s_andn2_b32 s16, s16, exec_lo
	s_and_b32 s72, s72, exec_lo
	s_or_b32 s16, s16, s72
	s_or_b32 exec_lo, exec_lo, s63
	s_and_saveexec_b32 s63, s16
	s_cbranch_execnz .LBB4_4270
	s_branch .LBB4_4271
.LBB4_4501:                             ;   in Loop: Header=BB4_3887 Depth=4
	s_or_saveexec_b32 s63, s63
	v_mov_b32_e32 v1, 0x7f800001
	s_xor_b32 exec_lo, exec_lo, s63
	s_cbranch_execz .LBB4_4283
.LBB4_4502:                             ;   in Loop: Header=BB4_3887 Depth=4
	v_cmp_ne_u16_sdwa s72, v37, v2 src0_sel:BYTE_0 src1_sel:DWORD
	v_mov_b32_e32 v1, 0
	s_andn2_b32 s16, s16, exec_lo
	s_and_b32 s72, s72, exec_lo
	s_or_b32 s16, s16, s72
	s_or_b32 exec_lo, exec_lo, s63
	s_and_saveexec_b32 s63, s16
	s_cbranch_execnz .LBB4_4284
	s_branch .LBB4_4285
.LBB4_4503:                             ;   in Loop: Header=BB4_3887 Depth=4
	s_or_saveexec_b32 s63, s63
	v_mov_b32_e32 v31, 0x7f800001
	s_xor_b32 exec_lo, exec_lo, s63
	s_cbranch_execz .LBB4_4289
.LBB4_4504:                             ;   in Loop: Header=BB4_3887 Depth=4
	v_cmp_ne_u16_sdwa s72, v63, v2 src0_sel:BYTE_0 src1_sel:DWORD
	v_mov_b32_e32 v31, 0
	s_andn2_b32 s16, s16, exec_lo
	s_and_b32 s72, s72, exec_lo
	s_or_b32 s16, s16, s72
	s_or_b32 exec_lo, exec_lo, s63
	s_and_saveexec_b32 s63, s16
	s_cbranch_execnz .LBB4_4290
	s_branch .LBB4_4291
.LBB4_4505:                             ;   in Loop: Header=BB4_3887 Depth=4
	s_or_saveexec_b32 s63, s63
	v_mov_b32_e32 v1, 0x7f800001
	s_xor_b32 exec_lo, exec_lo, s63
	s_cbranch_execz .LBB4_4303
.LBB4_4506:                             ;   in Loop: Header=BB4_3887 Depth=4
	v_cmp_ne_u16_sdwa s72, v4, v2 src0_sel:BYTE_0 src1_sel:DWORD
	v_mov_b32_e32 v1, 0
	s_andn2_b32 s16, s16, exec_lo
	s_and_b32 s72, s72, exec_lo
	s_or_b32 s16, s16, s72
	s_or_b32 exec_lo, exec_lo, s63
	s_and_saveexec_b32 s63, s16
	s_cbranch_execnz .LBB4_4304
	s_branch .LBB4_4305
.LBB4_4507:                             ;   in Loop: Header=BB4_3887 Depth=4
	s_or_saveexec_b32 s63, s63
	v_mov_b32_e32 v4, 0x7f800001
	s_xor_b32 exec_lo, exec_lo, s63
	s_cbranch_execz .LBB4_4309
.LBB4_4508:                             ;   in Loop: Header=BB4_3887 Depth=4
	v_cmp_ne_u16_sdwa s72, v62, v2 src0_sel:BYTE_0 src1_sel:DWORD
	v_mov_b32_e32 v4, 0
	s_andn2_b32 s16, s16, exec_lo
	s_and_b32 s72, s72, exec_lo
	s_or_b32 s16, s16, s72
	s_or_b32 exec_lo, exec_lo, s63
	s_and_saveexec_b32 s63, s16
	s_cbranch_execnz .LBB4_4310
	s_branch .LBB4_4311
.LBB4_4509:                             ;   in Loop: Header=BB4_3887 Depth=4
	s_or_saveexec_b32 s63, s63
	v_mov_b32_e32 v1, 0x7f800001
	s_xor_b32 exec_lo, exec_lo, s63
	s_cbranch_execz .LBB4_4323
.LBB4_4510:                             ;   in Loop: Header=BB4_3887 Depth=4
	v_cmp_ne_u16_sdwa s72, v36, v2 src0_sel:BYTE_0 src1_sel:DWORD
	v_mov_b32_e32 v1, 0
	s_andn2_b32 s16, s16, exec_lo
	s_and_b32 s72, s72, exec_lo
	s_or_b32 s16, s16, s72
	s_or_b32 exec_lo, exec_lo, s63
	s_and_saveexec_b32 s63, s16
	s_cbranch_execnz .LBB4_4324
	s_branch .LBB4_4325
.LBB4_4511:                             ;   in Loop: Header=BB4_3887 Depth=4
	s_or_saveexec_b32 s63, s63
	v_mov_b32_e32 v31, 0x7f800001
	s_xor_b32 exec_lo, exec_lo, s63
	s_cbranch_execz .LBB4_4329
.LBB4_4512:                             ;   in Loop: Header=BB4_3887 Depth=4
	v_cmp_ne_u16_sdwa s72, v34, v2 src0_sel:BYTE_0 src1_sel:DWORD
	v_mov_b32_e32 v31, 0
	s_andn2_b32 s16, s16, exec_lo
	s_and_b32 s72, s72, exec_lo
	s_or_b32 s16, s16, s72
	s_or_b32 exec_lo, exec_lo, s63
	s_and_saveexec_b32 s63, s16
	s_cbranch_execnz .LBB4_4330
	s_branch .LBB4_4331
.LBB4_4513:                             ;   in Loop: Header=BB4_3887 Depth=4
	s_or_saveexec_b32 s63, s63
	v_mov_b32_e32 v31, 0x7f800001
	s_xor_b32 exec_lo, exec_lo, s63
	s_cbranch_execz .LBB4_4343
.LBB4_4514:                             ;   in Loop: Header=BB4_3887 Depth=4
	v_cmp_ne_u16_sdwa s72, v21, v2 src0_sel:BYTE_0 src1_sel:DWORD
	v_mov_b32_e32 v31, 0
	s_andn2_b32 s16, s16, exec_lo
	s_and_b32 s72, s72, exec_lo
	s_or_b32 s16, s16, s72
	s_or_b32 exec_lo, exec_lo, s63
	s_and_saveexec_b32 s63, s16
	s_cbranch_execnz .LBB4_4344
	s_branch .LBB4_4345
.LBB4_4515:                             ;   in Loop: Header=BB4_3887 Depth=4
	s_or_saveexec_b32 s63, s63
	v_mov_b32_e32 v21, 0x7f800001
	s_xor_b32 exec_lo, exec_lo, s63
	s_cbranch_execz .LBB4_4349
.LBB4_4516:                             ;   in Loop: Header=BB4_3887 Depth=4
	v_cmp_ne_u16_sdwa s72, v61, v2 src0_sel:BYTE_0 src1_sel:DWORD
	v_mov_b32_e32 v21, 0
	s_andn2_b32 s16, s16, exec_lo
	s_and_b32 s72, s72, exec_lo
	s_or_b32 s16, s16, s72
	s_or_b32 exec_lo, exec_lo, s63
	s_and_saveexec_b32 s63, s16
	s_cbranch_execnz .LBB4_4350
	s_branch .LBB4_4351
.LBB4_4517:                             ;   in Loop: Header=BB4_3887 Depth=4
	s_or_saveexec_b32 s63, s63
	v_mov_b32_e32 v31, 0x7f800001
	s_xor_b32 exec_lo, exec_lo, s63
	s_cbranch_execz .LBB4_4363
.LBB4_4518:                             ;   in Loop: Header=BB4_3887 Depth=4
	v_cmp_ne_u16_sdwa s72, v20, v2 src0_sel:BYTE_0 src1_sel:DWORD
	v_mov_b32_e32 v31, 0
	s_andn2_b32 s16, s16, exec_lo
	s_and_b32 s72, s72, exec_lo
	s_or_b32 s16, s16, s72
	s_or_b32 exec_lo, exec_lo, s63
	s_and_saveexec_b32 s63, s16
	s_cbranch_execnz .LBB4_4364
	s_branch .LBB4_4365
.LBB4_4519:                             ;   in Loop: Header=BB4_3887 Depth=4
	s_or_saveexec_b32 s63, s63
	v_mov_b32_e32 v20, 0x7f800001
	s_xor_b32 exec_lo, exec_lo, s63
	s_cbranch_execz .LBB4_4369
.LBB4_4520:                             ;   in Loop: Header=BB4_3887 Depth=4
	v_cmp_ne_u16_sdwa s72, v67, v2 src0_sel:BYTE_0 src1_sel:DWORD
	v_mov_b32_e32 v20, 0
	s_andn2_b32 s16, s16, exec_lo
	s_and_b32 s72, s72, exec_lo
	s_or_b32 s16, s16, s72
	s_or_b32 exec_lo, exec_lo, s63
	s_and_saveexec_b32 s63, s16
	s_cbranch_execnz .LBB4_4370
	s_branch .LBB4_4371
.LBB4_4521:                             ;   in Loop: Header=BB4_3887 Depth=4
	s_or_saveexec_b32 s63, s63
	v_mov_b32_e32 v31, 0x7f800001
	s_xor_b32 exec_lo, exec_lo, s63
	s_cbranch_execz .LBB4_4383
.LBB4_4522:                             ;   in Loop: Header=BB4_3887 Depth=4
	v_cmp_ne_u16_sdwa s72, v18, v2 src0_sel:BYTE_0 src1_sel:DWORD
	v_mov_b32_e32 v31, 0
	s_andn2_b32 s16, s16, exec_lo
	s_and_b32 s72, s72, exec_lo
	s_or_b32 s16, s16, s72
	s_or_b32 exec_lo, exec_lo, s63
	s_and_saveexec_b32 s63, s16
	s_cbranch_execnz .LBB4_4384
	s_branch .LBB4_4385
.LBB4_4523:                             ;   in Loop: Header=BB4_3887 Depth=4
	s_or_saveexec_b32 s63, s63
	v_mov_b32_e32 v18, 0x7f800001
	s_xor_b32 exec_lo, exec_lo, s63
	s_cbranch_execz .LBB4_4389
.LBB4_4524:                             ;   in Loop: Header=BB4_3887 Depth=4
	v_cmp_ne_u16_sdwa s72, v5, v2 src0_sel:BYTE_0 src1_sel:DWORD
	v_mov_b32_e32 v18, 0
	s_andn2_b32 s16, s16, exec_lo
	s_and_b32 s72, s72, exec_lo
	s_or_b32 s16, s16, s72
	s_or_b32 exec_lo, exec_lo, s63
	s_and_saveexec_b32 s63, s16
	s_cbranch_execnz .LBB4_4390
	s_branch .LBB4_4391
.LBB4_4525:                             ;   in Loop: Header=BB4_3887 Depth=4
	s_or_saveexec_b32 s63, s63
	v_mov_b32_e32 v18, 0x7f800001
	s_xor_b32 exec_lo, exec_lo, s63
	s_cbranch_execz .LBB4_4403
.LBB4_4526:                             ;   in Loop: Header=BB4_3887 Depth=4
	v_cmp_ne_u16_sdwa s72, v17, v2 src0_sel:BYTE_0 src1_sel:DWORD
	v_mov_b32_e32 v18, 0
	s_andn2_b32 s16, s16, exec_lo
	s_and_b32 s72, s72, exec_lo
	s_or_b32 s16, s16, s72
	s_or_b32 exec_lo, exec_lo, s63
	s_and_saveexec_b32 s63, s16
	s_cbranch_execnz .LBB4_4404
	s_branch .LBB4_4405
.LBB4_4527:                             ;   in Loop: Header=BB4_3887 Depth=4
	s_or_saveexec_b32 s63, s63
	v_mov_b32_e32 v17, 0x7f800001
	s_xor_b32 exec_lo, exec_lo, s63
	s_cbranch_execz .LBB4_4409
.LBB4_4528:                             ;   in Loop: Header=BB4_3887 Depth=4
	v_cmp_ne_u16_sdwa s72, v19, v2 src0_sel:BYTE_0 src1_sel:DWORD
	v_mov_b32_e32 v17, 0
	s_andn2_b32 s16, s16, exec_lo
	s_and_b32 s72, s72, exec_lo
	s_or_b32 s16, s16, s72
	s_or_b32 exec_lo, exec_lo, s63
	s_and_saveexec_b32 s63, s16
	s_cbranch_execnz .LBB4_4410
	s_branch .LBB4_4411
.LBB4_4529:                             ;   in Loop: Header=BB4_3887 Depth=4
	s_or_saveexec_b32 s63, s63
	v_mov_b32_e32 v18, 0x7f800001
	s_xor_b32 exec_lo, exec_lo, s63
	s_cbranch_execz .LBB4_4423
.LBB4_4530:                             ;   in Loop: Header=BB4_3887 Depth=4
	v_cmp_ne_u16_sdwa s72, v15, v2 src0_sel:BYTE_0 src1_sel:DWORD
	v_mov_b32_e32 v18, 0
	s_andn2_b32 s16, s16, exec_lo
	s_and_b32 s72, s72, exec_lo
	s_or_b32 s16, s16, s72
	s_or_b32 exec_lo, exec_lo, s63
	s_and_saveexec_b32 s63, s16
	s_cbranch_execnz .LBB4_4424
	s_branch .LBB4_4425
.LBB4_4531:                             ;   in Loop: Header=BB4_3887 Depth=4
	s_or_saveexec_b32 s63, s63
	v_mov_b32_e32 v15, 0x7f800001
	s_xor_b32 exec_lo, exec_lo, s63
	s_cbranch_execz .LBB4_4429
.LBB4_4532:                             ;   in Loop: Header=BB4_3887 Depth=4
	v_cmp_ne_u16_sdwa s72, v14, v2 src0_sel:BYTE_0 src1_sel:DWORD
	v_mov_b32_e32 v15, 0
	s_andn2_b32 s16, s16, exec_lo
	s_and_b32 s72, s72, exec_lo
	s_or_b32 s16, s16, s72
	s_or_b32 exec_lo, exec_lo, s63
	s_and_saveexec_b32 s63, s16
	s_cbranch_execnz .LBB4_4430
	s_branch .LBB4_4431
.LBB4_4533:                             ;   in Loop: Header=BB4_1856 Depth=3
	s_or_b32 exec_lo, exec_lo, s62
.LBB4_4534:                             ;   in Loop: Header=BB4_1856 Depth=3
	s_or_b32 exec_lo, exec_lo, s61
	v_lshlrev_b32_e32 v1, 9, v80
	v_cmp_ne_u32_e32 vcc_lo, v69, v1
	s_and_b32 exec_lo, exec_lo, vcc_lo
	s_cbranch_execz .LBB4_4586
; %bb.4535:                             ;   in Loop: Header=BB4_1856 Depth=3
	v_lshlrev_b32_e32 v4, 5, v53
	v_lshlrev_b32_e32 v5, 5, v71
	v_sub_nc_u32_e32 v4, v70, v4
	v_sub_nc_u32_e32 v4, v4, v5
	v_add_nc_u32_e32 v4, v1, v4
	v_sub_nc_u32_e32 v1, v69, v4
	v_cmp_lt_i32_e32 vcc_lo, 0, v1
	s_and_b32 exec_lo, exec_lo, vcc_lo
	s_cbranch_execz .LBB4_4586
; %bb.4536:                             ;   in Loop: Header=BB4_1856 Depth=3
	s_trap 2
	ds_read_b128 v[8:11], v0
	ds_read_b64 v[12:13], v0
	v_add_nc_u32_e32 v4, v4, v68
	s_mov_b32 s61, 0
	v_ashrrev_i32_e32 v5, 31, v4
	s_waitcnt lgkmcnt(1)
	v_add_co_u32 v8, vcc_lo, v8, v4
	v_add_co_ci_u32_e64 v9, null, v9, v5, vcc_lo
	v_add_co_u32 v10, vcc_lo, v10, v4
	v_add_co_ci_u32_e64 v11, null, v11, v5, vcc_lo
	s_waitcnt lgkmcnt(0)
	v_add_co_u32 v12, vcc_lo, v12, v4
	v_add_co_ci_u32_e64 v13, null, v13, v5, vcc_lo
	s_branch .LBB4_4540
.LBB4_4537:                             ;   in Loop: Header=BB4_4540 Depth=4
	s_or_b32 exec_lo, exec_lo, s16
	v_lshrrev_b32_e32 v14, 21, v14
	v_cmp_gt_i32_e32 vcc_lo, 32, v5
	v_min_i32_e32 v15, 31, v5
	v_and_b32_sdwa v4, v4, v101 dst_sel:DWORD dst_unused:UNUSED_PAD src0_sel:BYTE_3 src1_sel:DWORD
	v_cndmask_b32_e32 v14, 3, v14, vcc_lo
	v_lshlrev_b32_e32 v15, 2, v15
	v_and_b32_e32 v16, 3, v14
	v_or_b32_e32 v5, v5, v14
	v_or3_b32 v4, v15, v4, v16
	v_cmp_ne_u32_e32 vcc_lo, 0, v5
	v_cndmask_b32_e32 v5, 0, v4, vcc_lo
.LBB4_4538:                             ;   in Loop: Header=BB4_4540 Depth=4
	s_or_b32 exec_lo, exec_lo, s63
.LBB4_4539:                             ;   in Loop: Header=BB4_4540 Depth=4
	s_or_b32 exec_lo, exec_lo, s62
	v_sub_nc_u32_e32 v1, v1, v98
	v_add_co_u32 v8, vcc_lo, v8, v98
	v_add_co_ci_u32_e64 v9, null, 0, v9, vcc_lo
	v_add_co_u32 v10, vcc_lo, v10, v98
	flat_store_byte v[12:13], v5 glc slc
	v_add_co_ci_u32_e64 v11, null, 0, v11, vcc_lo
	v_cmp_gt_i32_e32 vcc_lo, 1, v1
	v_add_co_u32 v12, s16, v12, v98
	v_add_co_ci_u32_e64 v13, null, 0, v13, s16
	s_or_b32 s61, vcc_lo, s61
	s_andn2_b32 exec_lo, exec_lo, s61
	s_cbranch_execz .LBB4_4586
.LBB4_4540:                             ;   Parent Loop BB4_47 Depth=1
                                        ;     Parent Loop BB4_1853 Depth=2
                                        ;       Parent Loop BB4_1856 Depth=3
                                        ; =>      This Inner Loop Header: Depth=4
	s_trap 2
	ds_read_b64 v[14:15], v0
	s_waitcnt lgkmcnt(0)
	v_readfirstlane_b32 s16, v14
	s_and_b32 s62, s16, 0xff
	s_cmpk_lt_i32 s62, 0x80
	s_cbranch_scc1 .LBB4_4544
; %bb.4541:                             ;   in Loop: Header=BB4_4540 Depth=4
	s_and_b32 s63, 0xffff, s62
	s_cmpk_eq_i32 s63, 0x80
	s_mov_b32 s63, -1
	s_cbranch_scc0 .LBB4_4543
; %bb.4542:                             ;   in Loop: Header=BB4_4540 Depth=4
	s_mov_b32 s63, 0
.LBB4_4543:                             ;   in Loop: Header=BB4_4540 Depth=4
	s_mov_b32 s72, 0x7f800001
	s_branch .LBB4_4546
.LBB4_4544:                             ;   in Loop: Header=BB4_4540 Depth=4
	s_mov_b32 s63, 0
	s_mov_b32 s72, 0x7f800001
	s_cbranch_execz .LBB4_4546
; %bb.4545:                             ;   in Loop: Header=BB4_4540 Depth=4
	s_and_b32 s62, 0xffff, s62
	s_mov_b32 s72, 0
	s_cmp_lg_u32 s62, 0
	s_cselect_b32 s63, -1, 0
.LBB4_4546:                             ;   in Loop: Header=BB4_4540 Depth=4
	v_mov_b32_e32 v4, s72
	s_andn2_b32 vcc_lo, exec_lo, s63
	s_cbranch_vccnz .LBB4_4548
; %bb.4547:                             ;   in Loop: Header=BB4_4540 Depth=4
	s_and_b32 s62, s16, 3
	s_bfe_u32 s72, s16, 0x50002
	s_flbit_i32_b32 s63, s62
	v_lshlrev_b32_e32 v4, 24, v14
	s_min_u32 s63, s63, 32
	s_sub_i32 s73, s63, 29
	s_sub_i32 s63, 30, s63
	s_lshl_b32 s16, s16, s73
	v_and_b32_e32 v4, 0x80000000, v4
	s_and_b32 s16, s16, 3
	s_cmp_eq_u32 s72, 0
	s_cselect_b32 s63, s63, s72
	s_cselect_b32 s16, s16, s62
	s_lshl_b32 s62, s63, 23
	s_lshl_b32 s16, s16, 21
	s_add_i32 s62, s62, 0x37800000
	v_or_b32_e32 v4, s62, v4
	v_or_b32_e32 v4, s16, v4
.LBB4_4548:                             ;   in Loop: Header=BB4_4540 Depth=4
	flat_load_ubyte v5, v[8:9] slc
	s_mov_b32 s16, 0
	s_mov_b32 s62, exec_lo
	s_waitcnt vmcnt(0) lgkmcnt(0)
	v_cmpx_lt_i16_e32 0x7f, v5
	s_xor_b32 s62, exec_lo, s62
	s_cbranch_execz .LBB4_4580
; %bb.4549:                             ;   in Loop: Header=BB4_4540 Depth=4
	s_mov_b32 s16, -1
	s_mov_b32 s63, exec_lo
	v_cmpx_eq_u16_e32 0x80, v5
; %bb.4550:                             ;   in Loop: Header=BB4_4540 Depth=4
	s_xor_b32 s16, exec_lo, -1
; %bb.4551:                             ;   in Loop: Header=BB4_4540 Depth=4
	s_or_b32 exec_lo, exec_lo, s63
	s_and_b32 s16, s16, exec_lo
	s_or_saveexec_b32 s62, s62
	v_mov_b32_e32 v14, 0x7f800001
	s_xor_b32 exec_lo, exec_lo, s62
	s_cbranch_execnz .LBB4_4581
.LBB4_4552:                             ;   in Loop: Header=BB4_4540 Depth=4
	s_or_b32 exec_lo, exec_lo, s62
	s_and_saveexec_b32 s62, s16
	s_cbranch_execz .LBB4_4554
.LBB4_4553:                             ;   in Loop: Header=BB4_4540 Depth=4
	v_and_b32_e32 v14, 0xffff, v5
	v_lshlrev_b32_e32 v5, 24, v5
	v_and_b32_e32 v15, 3, v14
	v_bfe_u32 v18, v14, 2, 5
	v_and_b32_e32 v5, 0x80000000, v5
	v_ffbh_u32_e32 v16, v15
	v_cmp_eq_u32_e32 vcc_lo, 0, v18
	v_min_u32_e32 v16, 32, v16
	v_subrev_nc_u32_e32 v17, 29, v16
	v_sub_nc_u32_e32 v16, 30, v16
	v_lshlrev_b32_e32 v14, v17, v14
	v_cndmask_b32_e32 v16, v18, v16, vcc_lo
	v_and_b32_e32 v14, 3, v14
	v_cndmask_b32_e32 v14, v15, v14, vcc_lo
	v_lshl_add_u32 v15, v16, 23, 0x37800000
	v_lshlrev_b32_e32 v14, 21, v14
	v_or3_b32 v14, v5, v15, v14
.LBB4_4554:                             ;   in Loop: Header=BB4_4540 Depth=4
	s_or_b32 exec_lo, exec_lo, s62
	v_mul_f32_e32 v4, v4, v14
	v_mov_b32_e32 v14, 0x80
	s_mov_b32 s62, exec_lo
	v_and_b32_e32 v5, 0x7f800000, v4
	v_cmpx_ne_u32_e32 0x7f800000, v5
	s_cbranch_execz .LBB4_4562
; %bb.4555:                             ;   in Loop: Header=BB4_4540 Depth=4
	v_mov_b32_e32 v14, 0
	s_mov_b32 s63, exec_lo
	v_cmpx_ne_u32_e32 0, v4
	s_cbranch_execz .LBB4_4561
; %bb.4556:                             ;   in Loop: Header=BB4_4540 Depth=4
	v_bfe_u32 v5, v4, 23, 8
	v_and_b32_e32 v14, 0x7fffff, v4
	v_sub_nc_u32_e32 v15, 0x70, v5
	v_cmp_gt_u32_e32 vcc_lo, 0x71, v5
	v_or_b32_e32 v16, 0x800000, v14
	v_cndmask_b32_e32 v15, 0, v15, vcc_lo
	v_cmp_eq_u32_e32 vcc_lo, 0, v5
	v_add_nc_u32_e32 v5, 0xffffff91, v5
	v_cndmask_b32_e64 v15, v15, 0x6f, vcc_lo
	v_cndmask_b32_e32 v14, v16, v14, vcc_lo
	v_cndmask_b32_e64 v5, v5, 0xffffff92, vcc_lo
	v_lshl_add_u32 v16, 0x200000, v15, -1
	v_lshrrev_b32_e32 v17, v15, v14
	v_lshlrev_b32_e64 v19, v15, 0x100000
	v_add_nc_u32_e32 v15, v15, v5
	v_and_b32_e32 v14, v16, v14
	v_bfe_u32 v18, v17, 21, 1
	v_cmp_eq_u32_e64 s16, v14, v19
	v_add_nc_u32_e32 v16, -1, v18
	v_cndmask_b32_e64 v14, 0, v16, s16
	v_lshrrev_b32_e32 v16, 23, v17
	s_mov_b32 s16, exec_lo
	v_add_nc_u32_e32 v14, v14, v17
	v_xor_b32_e32 v16, 1, v16
	v_and_b32_e32 v5, 0x1fffff, v14
	v_add_nc_u32_e32 v14, v5, v17
                                        ; implicit-def: $vgpr5
	v_cmpx_ne_u32_e64 v15, v16
	s_xor_b32 s16, exec_lo, s16
; %bb.4557:                             ;   in Loop: Header=BB4_4540 Depth=4
	v_cmp_lt_u32_e32 vcc_lo, 0xffffff, v14
	v_sub_nc_u32_e32 v5, v15, v16
	v_cndmask_b32_e64 v15, 0, 1, vcc_lo
	v_add_co_ci_u32_e64 v5, null, 0, v5, vcc_lo
	v_lshrrev_b32_e32 v14, v15, v14
; %bb.4558:                             ;   in Loop: Header=BB4_4540 Depth=4
	s_andn2_saveexec_b32 s16, s16
; %bb.4559:                             ;   in Loop: Header=BB4_4540 Depth=4
	v_bfe_u32 v5, v14, 23, 1
; %bb.4560:                             ;   in Loop: Header=BB4_4540 Depth=4
	s_or_b32 exec_lo, exec_lo, s16
	v_lshrrev_b32_e32 v14, 21, v14
	v_cmp_gt_i32_e32 vcc_lo, 32, v5
	v_min_i32_e32 v15, 31, v5
	v_and_b32_sdwa v4, v4, v101 dst_sel:DWORD dst_unused:UNUSED_PAD src0_sel:BYTE_3 src1_sel:DWORD
	v_cndmask_b32_e32 v14, 3, v14, vcc_lo
	v_lshlrev_b32_e32 v15, 2, v15
	v_and_b32_e32 v16, 3, v14
	v_or_b32_e32 v5, v5, v14
	v_or3_b32 v4, v15, v4, v16
	v_cmp_ne_u32_e32 vcc_lo, 0, v5
	v_cndmask_b32_e32 v14, 0, v4, vcc_lo
.LBB4_4561:                             ;   in Loop: Header=BB4_4540 Depth=4
	s_or_b32 exec_lo, exec_lo, s63
.LBB4_4562:                             ;   in Loop: Header=BB4_4540 Depth=4
	s_or_b32 exec_lo, exec_lo, s62
	flat_load_ubyte v4, v[10:11] slc
	v_cmp_gt_i16_sdwa s62, v14, v100 src0_sel:BYTE_0 src1_sel:DWORD
	s_mov_b32 s16, 0
	s_and_saveexec_b32 s63, s62
	s_xor_b32 s62, exec_lo, s63
	s_cbranch_execz .LBB4_4582
; %bb.4563:                             ;   in Loop: Header=BB4_4540 Depth=4
	v_cmp_eq_u16_sdwa s72, v14, v101 src0_sel:BYTE_0 src1_sel:DWORD
	s_mov_b32 s16, -1
	s_and_saveexec_b32 s63, s72
; %bb.4564:                             ;   in Loop: Header=BB4_4540 Depth=4
	s_xor_b32 s16, exec_lo, -1
; %bb.4565:                             ;   in Loop: Header=BB4_4540 Depth=4
	s_or_b32 exec_lo, exec_lo, s63
	s_and_b32 s16, s16, exec_lo
	s_or_saveexec_b32 s62, s62
	v_mov_b32_e32 v5, 0x7f800001
	s_xor_b32 exec_lo, exec_lo, s62
	s_cbranch_execnz .LBB4_4583
.LBB4_4566:                             ;   in Loop: Header=BB4_4540 Depth=4
	s_or_b32 exec_lo, exec_lo, s62
	s_and_saveexec_b32 s62, s16
	s_cbranch_execz .LBB4_4568
.LBB4_4567:                             ;   in Loop: Header=BB4_4540 Depth=4
	v_and_b32_e32 v5, 3, v14
	v_lshrrev_b16 v16, 2, v14
	v_ffbh_u32_e32 v15, v5
	v_and_b32_e32 v16, 31, v16
	v_min_u32_e32 v15, 32, v15
	v_cmp_eq_u32_e32 vcc_lo, 0, v16
	v_subrev_nc_u32_e32 v17, 29, v15
	v_sub_nc_u32_e32 v15, 30, v15
	v_lshlrev_b32_e32 v17, v17, v14
	v_lshlrev_b32_e32 v14, 24, v14
	v_cndmask_b32_e32 v15, v16, v15, vcc_lo
	v_and_b32_e32 v17, 3, v17
	v_and_b32_e32 v14, 0x80000000, v14
	v_lshl_add_u32 v15, v15, 23, 0x37800000
	v_cndmask_b32_e32 v5, v5, v17, vcc_lo
	v_lshlrev_b32_e32 v5, 21, v5
	v_or3_b32 v5, v14, v15, v5
.LBB4_4568:                             ;   in Loop: Header=BB4_4540 Depth=4
	s_or_b32 exec_lo, exec_lo, s62
	s_waitcnt vmcnt(0) lgkmcnt(0)
	v_cmp_gt_i16_sdwa s62, v4, v100 src0_sel:BYTE_0 src1_sel:DWORD
	s_mov_b32 s16, 0
	s_and_saveexec_b32 s63, s62
	s_xor_b32 s62, exec_lo, s63
	s_cbranch_execz .LBB4_4584
; %bb.4569:                             ;   in Loop: Header=BB4_4540 Depth=4
	v_cmp_eq_u16_sdwa s72, v4, v101 src0_sel:BYTE_0 src1_sel:DWORD
	s_mov_b32 s16, -1
	s_and_saveexec_b32 s63, s72
; %bb.4570:                             ;   in Loop: Header=BB4_4540 Depth=4
	s_xor_b32 s16, exec_lo, -1
; %bb.4571:                             ;   in Loop: Header=BB4_4540 Depth=4
	s_or_b32 exec_lo, exec_lo, s63
	s_and_b32 s16, s16, exec_lo
	s_or_saveexec_b32 s62, s62
	v_mov_b32_e32 v14, 0x7f800001
	s_xor_b32 exec_lo, exec_lo, s62
	s_cbranch_execnz .LBB4_4585
.LBB4_4572:                             ;   in Loop: Header=BB4_4540 Depth=4
	s_or_b32 exec_lo, exec_lo, s62
	s_and_saveexec_b32 s62, s16
	s_cbranch_execz .LBB4_4574
.LBB4_4573:                             ;   in Loop: Header=BB4_4540 Depth=4
	v_and_b32_e32 v14, 3, v4
	v_lshrrev_b16 v16, 2, v4
	v_ffbh_u32_e32 v15, v14
	v_and_b32_e32 v16, 31, v16
	v_min_u32_e32 v15, 32, v15
	v_cmp_eq_u32_e32 vcc_lo, 0, v16
	v_subrev_nc_u32_e32 v17, 29, v15
	v_sub_nc_u32_e32 v15, 30, v15
	v_lshlrev_b32_e32 v17, v17, v4
	v_lshlrev_b32_e32 v4, 24, v4
	v_cndmask_b32_e32 v15, v16, v15, vcc_lo
	v_and_b32_e32 v17, 3, v17
	v_and_b32_e32 v4, 0x80000000, v4
	v_lshl_add_u32 v15, v15, 23, 0x37800000
	v_cndmask_b32_e32 v14, v14, v17, vcc_lo
	v_lshlrev_b32_e32 v14, 21, v14
	v_or3_b32 v14, v4, v15, v14
.LBB4_4574:                             ;   in Loop: Header=BB4_4540 Depth=4
	s_or_b32 exec_lo, exec_lo, s62
	v_add_f32_e32 v4, v5, v14
	v_and_b32_e32 v5, 0x7f800000, v4
	v_cmp_ne_u32_e32 vcc_lo, 0x7f800000, v5
	v_mov_b32_e32 v5, 0x80
	s_and_saveexec_b32 s62, vcc_lo
	s_cbranch_execz .LBB4_4539
; %bb.4575:                             ;   in Loop: Header=BB4_4540 Depth=4
	v_mov_b32_e32 v5, 0
	s_mov_b32 s63, exec_lo
	v_cmpx_ne_u32_e32 0, v4
	s_cbranch_execz .LBB4_4538
; %bb.4576:                             ;   in Loop: Header=BB4_4540 Depth=4
	v_bfe_u32 v5, v4, 23, 8
	v_and_b32_e32 v14, 0x7fffff, v4
	v_sub_nc_u32_e32 v15, 0x70, v5
	v_cmp_gt_u32_e32 vcc_lo, 0x71, v5
	v_or_b32_e32 v16, 0x800000, v14
	v_cndmask_b32_e32 v15, 0, v15, vcc_lo
	v_cmp_eq_u32_e32 vcc_lo, 0, v5
	v_add_nc_u32_e32 v5, 0xffffff91, v5
	v_cndmask_b32_e64 v15, v15, 0x6f, vcc_lo
	v_cndmask_b32_e32 v14, v16, v14, vcc_lo
	v_cndmask_b32_e64 v5, v5, 0xffffff92, vcc_lo
	v_lshl_add_u32 v16, 0x200000, v15, -1
	v_lshrrev_b32_e32 v17, v15, v14
	v_lshlrev_b32_e64 v19, v15, 0x100000
	v_add_nc_u32_e32 v15, v15, v5
	v_and_b32_e32 v14, v16, v14
	v_bfe_u32 v18, v17, 21, 1
	v_cmp_eq_u32_e64 s16, v14, v19
	v_add_nc_u32_e32 v16, -1, v18
	v_cndmask_b32_e64 v14, 0, v16, s16
	v_lshrrev_b32_e32 v16, 23, v17
	s_mov_b32 s16, exec_lo
	v_add_nc_u32_e32 v14, v14, v17
	v_xor_b32_e32 v16, 1, v16
	v_and_b32_e32 v5, 0x1fffff, v14
	v_add_nc_u32_e32 v14, v5, v17
                                        ; implicit-def: $vgpr5
	v_cmpx_ne_u32_e64 v15, v16
	s_xor_b32 s16, exec_lo, s16
; %bb.4577:                             ;   in Loop: Header=BB4_4540 Depth=4
	v_cmp_lt_u32_e32 vcc_lo, 0xffffff, v14
	v_sub_nc_u32_e32 v5, v15, v16
	v_cndmask_b32_e64 v15, 0, 1, vcc_lo
	v_add_co_ci_u32_e64 v5, null, 0, v5, vcc_lo
	v_lshrrev_b32_e32 v14, v15, v14
; %bb.4578:                             ;   in Loop: Header=BB4_4540 Depth=4
	s_andn2_saveexec_b32 s16, s16
	s_cbranch_execz .LBB4_4537
; %bb.4579:                             ;   in Loop: Header=BB4_4540 Depth=4
	v_bfe_u32 v5, v14, 23, 1
	s_branch .LBB4_4537
.LBB4_4580:                             ;   in Loop: Header=BB4_4540 Depth=4
	s_or_saveexec_b32 s62, s62
	v_mov_b32_e32 v14, 0x7f800001
	s_xor_b32 exec_lo, exec_lo, s62
	s_cbranch_execz .LBB4_4552
.LBB4_4581:                             ;   in Loop: Header=BB4_4540 Depth=4
	v_cmp_ne_u16_e32 vcc_lo, 0, v5
	v_mov_b32_e32 v14, 0
	s_andn2_b32 s16, s16, exec_lo
	s_and_b32 s63, vcc_lo, exec_lo
	s_or_b32 s16, s16, s63
	s_or_b32 exec_lo, exec_lo, s62
	s_and_saveexec_b32 s62, s16
	s_cbranch_execnz .LBB4_4553
	s_branch .LBB4_4554
.LBB4_4582:                             ;   in Loop: Header=BB4_4540 Depth=4
	s_or_saveexec_b32 s62, s62
	v_mov_b32_e32 v5, 0x7f800001
	s_xor_b32 exec_lo, exec_lo, s62
	s_cbranch_execz .LBB4_4566
.LBB4_4583:                             ;   in Loop: Header=BB4_4540 Depth=4
	v_cmp_ne_u16_sdwa s63, v14, v2 src0_sel:BYTE_0 src1_sel:DWORD
	v_mov_b32_e32 v5, 0
	s_andn2_b32 s16, s16, exec_lo
	s_and_b32 s63, s63, exec_lo
	s_or_b32 s16, s16, s63
	s_or_b32 exec_lo, exec_lo, s62
	s_and_saveexec_b32 s62, s16
	s_cbranch_execnz .LBB4_4567
	s_branch .LBB4_4568
.LBB4_4584:                             ;   in Loop: Header=BB4_4540 Depth=4
	s_or_saveexec_b32 s62, s62
	v_mov_b32_e32 v14, 0x7f800001
	s_xor_b32 exec_lo, exec_lo, s62
	s_cbranch_execz .LBB4_4572
.LBB4_4585:                             ;   in Loop: Header=BB4_4540 Depth=4
	v_cmp_ne_u16_sdwa s63, v4, v2 src0_sel:BYTE_0 src1_sel:DWORD
	v_mov_b32_e32 v14, 0
	s_andn2_b32 s16, s16, exec_lo
	s_and_b32 s63, s63, exec_lo
	s_or_b32 s16, s16, s63
	s_or_b32 exec_lo, exec_lo, s62
	s_and_saveexec_b32 s62, s16
	s_cbranch_execnz .LBB4_4573
	s_branch .LBB4_4574
.LBB4_4586:                             ;   in Loop: Header=BB4_1856 Depth=3
	s_or_b32 exec_lo, exec_lo, s17
	v_cmp_lt_i32_e64 s16, 0, v3
	s_and_saveexec_b32 s17, s6
	s_cbranch_execz .LBB4_1931
.LBB4_4587:                             ;   in Loop: Header=BB4_1856 Depth=3
	s_and_saveexec_b32 s61, s29
	s_xor_b32 s61, exec_lo, s61
	s_cbranch_execz .LBB4_4602
; %bb.4588:                             ;   in Loop: Header=BB4_1856 Depth=3
	s_and_saveexec_b32 s62, s11
	s_cbranch_execz .LBB4_4601
; %bb.4589:                             ;   in Loop: Header=BB4_1856 Depth=3
	s_mov_b32 s72, exec_lo
	s_mov_b32 s63, exec_lo
	v_mbcnt_lo_u32_b32 v1, s72, 0
	s_waitcnt vmcnt(0) lgkmcnt(0)
	s_waitcnt_vscnt null, 0x0
	buffer_gl1_inv
	buffer_gl0_inv
	v_cmpx_eq_u32_e32 0, v1
	s_cbranch_execz .LBB4_4591
; %bb.4590:                             ;   in Loop: Header=BB4_1856 Depth=3
	s_bcnt1_i32_b32 s72, s72
	v_mov_b32_e32 v4, v2
	v_mov_b32_e32 v3, s72
	ds_add_u64 v0, v[3:4]
	s_trap 2
.LBB4_4591:                             ;   in Loop: Header=BB4_1856 Depth=3
	s_or_b32 exec_lo, exec_lo, s63
	s_trap 2
	ds_read_b64 v[3:4], v0
	s_waitcnt lgkmcnt(0)
	buffer_gl0_inv
	v_add_co_u32 v28, vcc_lo, v28, v87
	v_add_co_ci_u32_e64 v29, null, 0, v29, vcc_lo
	s_mov_b32 s63, exec_lo
	v_cmpx_lt_u64_e64 v[3:4], v[28:29]
	s_cbranch_execz .LBB4_4600
; %bb.4592:                             ;   in Loop: Header=BB4_1856 Depth=3
	s_mov_b32 s72, 0
	s_mov_b32 s75, 0
                                        ; implicit-def: $sgpr73
                                        ; implicit-def: $sgpr74
	s_inst_prefetch 0x1
	s_branch .LBB4_4594
	.p2align	6
.LBB4_4593:                             ;   in Loop: Header=BB4_4594 Depth=4
	s_or_b32 exec_lo, exec_lo, s77
	s_and_b32 s76, exec_lo, s78
	s_or_b32 s72, s76, s72
	s_andn2_b32 s73, s73, exec_lo
	s_and_b32 s76, s74, exec_lo
	s_or_b32 s73, s73, s76
	s_andn2_b32 exec_lo, exec_lo, s72
	s_cbranch_execz .LBB4_4598
.LBB4_4594:                             ;   Parent Loop BB4_47 Depth=1
                                        ;     Parent Loop BB4_1853 Depth=2
                                        ;       Parent Loop BB4_1856 Depth=3
                                        ; =>      This Inner Loop Header: Depth=4
	s_add_i32 s75, s75, 1
	s_cmpk_lg_i32 s75, 0x2710
	s_cselect_b32 s76, -1, 0
	s_and_b32 vcc_lo, exec_lo, s76
	s_cbranch_vccz .LBB4_4596
; %bb.4595:                             ;   in Loop: Header=BB4_4594 Depth=4
	s_mov_b32 s78, -1
	s_or_b32 s74, s74, exec_lo
	s_and_saveexec_b32 s77, s76
	s_cbranch_execz .LBB4_4593
	s_branch .LBB4_4597
	.p2align	6
.LBB4_4596:                             ;   in Loop: Header=BB4_4594 Depth=4
	s_trap 2
	ds_read_b64 v[3:4], v0
	s_andn2_b32 s76, s76, exec_lo
	s_mov_b32 s75, 0
	s_waitcnt lgkmcnt(0)
	flat_load_dword v1, v[3:4] glc dlc
	s_waitcnt vmcnt(0) lgkmcnt(0)
	buffer_gl1_inv
	buffer_gl0_inv
	v_cmp_eq_u32_e32 vcc_lo, 0, v1
	s_and_b32 s77, vcc_lo, exec_lo
	s_or_b32 s76, s76, s77
	s_mov_b32 s78, -1
	s_or_b32 s74, s74, exec_lo
	s_and_saveexec_b32 s77, s76
	s_cbranch_execz .LBB4_4593
.LBB4_4597:                             ;   in Loop: Header=BB4_4594 Depth=4
	s_sleep 1
	s_trap 2
	ds_read_b64 v[3:4], v0
	s_waitcnt lgkmcnt(0)
	buffer_gl0_inv
	s_andn2_b32 s74, s74, exec_lo
	v_cmp_ge_u64_e32 vcc_lo, v[3:4], v[28:29]
	s_orn2_b32 s78, vcc_lo, exec_lo
	s_branch .LBB4_4593
.LBB4_4598:                             ;   in Loop: Header=BB4_1856 Depth=3
	s_inst_prefetch 0x2
	s_or_b32 exec_lo, exec_lo, s72
	s_and_saveexec_b32 s72, s73
	s_xor_b32 s72, exec_lo, s72
	s_cbranch_execz .LBB4_4600
; %bb.4599:                             ;   in Loop: Header=BB4_1856 Depth=3
	ds_write_b32 v0, v99
	s_trap 2
.LBB4_4600:                             ;   in Loop: Header=BB4_1856 Depth=3
	s_or_b32 exec_lo, exec_lo, s63
	;;#ASMSTART
	s_wakeup
	;;#ASMEND
.LBB4_4601:                             ;   in Loop: Header=BB4_1856 Depth=3
	s_or_b32 exec_lo, exec_lo, s62
.LBB4_4602:                             ;   in Loop: Header=BB4_1856 Depth=3
	s_andn2_saveexec_b32 s61, s61
	s_cbranch_execz .LBB4_4604
; %bb.4603:                             ;   in Loop: Header=BB4_1856 Depth=3
	s_waitcnt vmcnt(0) lgkmcnt(0)
	s_waitcnt_vscnt null, 0x0
	buffer_gl1_inv
	buffer_gl0_inv
	s_barrier
.LBB4_4604:                             ;   in Loop: Header=BB4_1856 Depth=3
	s_or_b32 exec_lo, exec_lo, s61
	s_or_b32 exec_lo, exec_lo, s17
                                        ; implicit-def: $vgpr1
	s_and_saveexec_b32 s17, s15
	s_xor_b32 s17, exec_lo, s17
	s_cbranch_execnz .LBB4_1932
.LBB4_4605:                             ;   in Loop: Header=BB4_1856 Depth=3
	s_andn2_saveexec_b32 s16, s17
	s_cbranch_execz .LBB4_4624
.LBB4_4606:                             ;   in Loop: Header=BB4_1856 Depth=3
	s_and_saveexec_b32 s17, s29
	s_xor_b32 s17, exec_lo, s17
	s_cbranch_execz .LBB4_4621
; %bb.4607:                             ;   in Loop: Header=BB4_1856 Depth=3
	s_and_saveexec_b32 s61, s11
	s_cbranch_execz .LBB4_4620
; %bb.4608:                             ;   in Loop: Header=BB4_1856 Depth=3
	s_mov_b32 s63, exec_lo
	s_mov_b32 s62, exec_lo
	v_mbcnt_lo_u32_b32 v1, s63, 0
	;;#ASMSTART
	s_waitcnt lgkmcnt(0) vmcnt(0)
	;;#ASMEND
	v_cmpx_eq_u32_e32 0, v1
	s_cbranch_execz .LBB4_4610
; %bb.4609:                             ;   in Loop: Header=BB4_1856 Depth=3
	s_bcnt1_i32_b32 s63, s63
	v_mov_b32_e32 v4, v2
	v_mov_b32_e32 v3, s63
	s_waitcnt vmcnt(0) lgkmcnt(0)
	s_waitcnt_vscnt null, 0x0
	ds_add_u64 v0, v[3:4]
	s_trap 2
.LBB4_4610:                             ;   in Loop: Header=BB4_1856 Depth=3
	s_or_b32 exec_lo, exec_lo, s62
	s_trap 2
	ds_read_b64 v[3:4], v0
	s_waitcnt vmcnt(0) lgkmcnt(0)
	buffer_gl0_inv
	v_add_co_u32 v28, vcc_lo, v28, v87
	v_add_co_ci_u32_e64 v29, null, 0, v29, vcc_lo
	s_mov_b32 s62, exec_lo
	v_cmpx_lt_u64_e64 v[3:4], v[28:29]
	s_cbranch_execz .LBB4_4619
; %bb.4611:                             ;   in Loop: Header=BB4_1856 Depth=3
	s_mov_b32 s63, 0
	s_mov_b32 s74, 0
                                        ; implicit-def: $sgpr72
                                        ; implicit-def: $sgpr73
	s_inst_prefetch 0x1
	s_branch .LBB4_4613
	.p2align	6
.LBB4_4612:                             ;   in Loop: Header=BB4_4613 Depth=4
	s_or_b32 exec_lo, exec_lo, s76
	s_and_b32 s75, exec_lo, s77
	s_or_b32 s63, s75, s63
	s_andn2_b32 s72, s72, exec_lo
	s_and_b32 s75, s73, exec_lo
	s_or_b32 s72, s72, s75
	s_andn2_b32 exec_lo, exec_lo, s63
	s_cbranch_execz .LBB4_4617
.LBB4_4613:                             ;   Parent Loop BB4_47 Depth=1
                                        ;     Parent Loop BB4_1853 Depth=2
                                        ;       Parent Loop BB4_1856 Depth=3
                                        ; =>      This Inner Loop Header: Depth=4
	s_add_i32 s74, s74, 1
	s_cmpk_lg_i32 s74, 0x2710
	s_cselect_b32 s75, -1, 0
	s_and_b32 vcc_lo, exec_lo, s75
	s_cbranch_vccz .LBB4_4615
; %bb.4614:                             ;   in Loop: Header=BB4_4613 Depth=4
	s_mov_b32 s77, -1
	s_or_b32 s73, s73, exec_lo
	s_and_saveexec_b32 s76, s75
	s_cbranch_execz .LBB4_4612
	s_branch .LBB4_4616
	.p2align	6
.LBB4_4615:                             ;   in Loop: Header=BB4_4613 Depth=4
	s_trap 2
	ds_read_b64 v[3:4], v0
	s_andn2_b32 s75, s75, exec_lo
	s_mov_b32 s74, 0
	s_waitcnt lgkmcnt(0)
	s_waitcnt_vscnt null, 0x0
	flat_load_dword v1, v[3:4] glc dlc
	s_waitcnt vmcnt(0) lgkmcnt(0)
	buffer_gl1_inv
	buffer_gl0_inv
	v_cmp_eq_u32_e32 vcc_lo, 0, v1
	s_and_b32 s76, vcc_lo, exec_lo
	s_or_b32 s75, s75, s76
	s_mov_b32 s77, -1
	s_or_b32 s73, s73, exec_lo
	s_and_saveexec_b32 s76, s75
	s_cbranch_execz .LBB4_4612
.LBB4_4616:                             ;   in Loop: Header=BB4_4613 Depth=4
	s_sleep 1
	s_trap 2
	ds_read_b64 v[3:4], v0
	s_waitcnt lgkmcnt(0)
	buffer_gl0_inv
	s_andn2_b32 s73, s73, exec_lo
	v_cmp_ge_u64_e32 vcc_lo, v[3:4], v[28:29]
	s_orn2_b32 s77, vcc_lo, exec_lo
	s_branch .LBB4_4612
.LBB4_4617:                             ;   in Loop: Header=BB4_1856 Depth=3
	s_inst_prefetch 0x2
	s_or_b32 exec_lo, exec_lo, s63
	s_and_saveexec_b32 s63, s72
	s_xor_b32 s63, exec_lo, s63
	s_cbranch_execz .LBB4_4619
; %bb.4618:                             ;   in Loop: Header=BB4_1856 Depth=3
	ds_write_b32 v0, v99
	s_trap 2
.LBB4_4619:                             ;   in Loop: Header=BB4_1856 Depth=3
	s_or_b32 exec_lo, exec_lo, s62
	;;#ASMSTART
	s_wakeup
	;;#ASMEND
.LBB4_4620:                             ;   in Loop: Header=BB4_1856 Depth=3
	s_or_b32 exec_lo, exec_lo, s61
.LBB4_4621:                             ;   in Loop: Header=BB4_1856 Depth=3
	s_andn2_saveexec_b32 s17, s17
	s_cbranch_execz .LBB4_4623
; %bb.4622:                             ;   in Loop: Header=BB4_1856 Depth=3
	;;#ASMSTART
	s_waitcnt lgkmcnt(0) vmcnt(0)
	;;#ASMEND
	s_barrier
.LBB4_4623:                             ;   in Loop: Header=BB4_1856 Depth=3
	s_or_b32 exec_lo, exec_lo, s17
	v_and_b32_e32 v1, 16, v84
.LBB4_4624:                             ;   in Loop: Header=BB4_1856 Depth=3
	s_or_b32 exec_lo, exec_lo, s16
	v_cmp_ne_u32_e32 vcc_lo, 0, v1
	s_xor_b32 s16, s7, -1
	s_and_b32 s17, vcc_lo, s16
	s_and_saveexec_b32 s16, s17
	s_cbranch_execz .LBB4_4626
; %bb.4625:                             ;   in Loop: Header=BB4_1856 Depth=3
	s_waitcnt vmcnt(0) lgkmcnt(0)
	s_waitcnt_vscnt null, 0x0
	flat_store_dword v[26:27], v99
.LBB4_4626:                             ;   in Loop: Header=BB4_1856 Depth=3
	s_or_b32 exec_lo, exec_lo, s16
	v_and_b32_e32 v1, 48, v84
	s_mov_b32 s16, exec_lo
	v_cmpx_ne_u32_e32 0, v1
	s_cbranch_execz .LBB4_1855
; %bb.4627:                             ;   in Loop: Header=BB4_1856 Depth=3
	v_add_co_u32 v48, vcc_lo, v48, 2
	v_add_co_ci_u32_e64 v49, null, 0, v49, vcc_lo
	s_waitcnt vmcnt(0) lgkmcnt(0)
	s_waitcnt_vscnt null, 0x0
	flat_store_dwordx2 v[22:23], v[48:49]
	s_branch .LBB4_1855
.LBB4_4628:                             ;   in Loop: Header=BB4_1853 Depth=2
	s_or_b32 exec_lo, exec_lo, s21
.LBB4_4629:                             ;   in Loop: Header=BB4_1853 Depth=2
	s_or_b32 exec_lo, exec_lo, s19
	s_mov_b32 s17, exec_lo
	v_cmpx_gt_i32_e32 2, v1
	s_cbranch_execz .LBB4_1852
; %bb.4630:                             ;   in Loop: Header=BB4_1853 Depth=2
	v_cmp_eq_u32_e64 s21, 0, v1
	s_mov_b32 s19, 0
	s_branch .LBB4_4632
.LBB4_4631:                             ;   in Loop: Header=BB4_4632 Depth=3
	s_or_b32 exec_lo, exec_lo, s16
	v_add_nc_u32_e32 v83, v52, v83
	s_mov_b32 s21, 0
	s_andn2_b32 exec_lo, exec_lo, s19
	s_cbranch_execz .LBB4_1851
.LBB4_4632:                             ;   Parent Loop BB4_47 Depth=1
                                        ;     Parent Loop BB4_1853 Depth=2
                                        ; =>    This Loop Header: Depth=3
                                        ;         Child Loop BB4_4638 Depth 4
                                        ;         Child Loop BB4_4666 Depth 4
	;; [unrolled: 1-line block ×3, first 2 shown]
	v_sub_nc_u32_e32 v1, v82, v83
	v_and_b32_e32 v3, 12, v84
	s_mov_b32 s22, exec_lo
	v_min_i32_e32 v52, v52, v1
	v_cmpx_ne_u32_e32 0, v3
	s_cbranch_execz .LBB4_4658
; %bb.4633:                             ;   in Loop: Header=BB4_4632 Depth=3
	v_and_b32_e32 v1, 8, v84
	s_mov_b32 s23, exec_lo
	s_waitcnt vmcnt(0) lgkmcnt(1)
	v_add_co_u32 v3, vcc_lo, v32, v1
	v_add_co_ci_u32_e64 v4, null, 0, v33, vcc_lo
	v_add_co_u32 v8, vcc_lo, v48, 2
	v_add_co_ci_u32_e64 v9, null, 0, v49, vcc_lo
	v_cmpx_lt_u64_e64 v[3:4], v[8:9]
	s_cbranch_execz .LBB4_4645
; %bb.4634:                             ;   in Loop: Header=BB4_4632 Depth=3
	v_and_b32_e32 v3, 64, v84
	s_mov_b32 s61, 0
	s_mov_b32 s73, 0
                                        ; implicit-def: $sgpr62
                                        ; implicit-def: $sgpr63
                                        ; implicit-def: $sgpr72
	v_cmp_eq_u32_e32 vcc_lo, 0, v3
	s_branch .LBB4_4638
.LBB4_4635:                             ;   in Loop: Header=BB4_4638 Depth=4
	s_waitcnt vmcnt(0) lgkmcnt(0)
	v_add_co_u32 v4, s16, v32, v1
	v_add_co_ci_u32_e64 v5, null, 0, v33, s16
	s_or_b32 s76, s76, exec_lo
	v_cmp_ge_u64_e64 s16, v[4:5], v[8:9]
	s_orn2_b32 s75, s16, exec_lo
.LBB4_4636:                             ;   in Loop: Header=BB4_4638 Depth=4
	s_or_b32 exec_lo, exec_lo, s78
	s_andn2_b32 s16, s72, exec_lo
	s_and_b32 s72, s76, exec_lo
	s_andn2_b32 s63, s63, exec_lo
	s_and_b32 s75, s75, exec_lo
	s_or_b32 s72, s16, s72
	s_or_b32 s63, s63, s75
.LBB4_4637:                             ;   in Loop: Header=BB4_4638 Depth=4
	s_or_b32 exec_lo, exec_lo, s74
	s_and_b32 s16, exec_lo, s63
	s_or_b32 s61, s16, s61
	s_andn2_b32 s16, s62, exec_lo
	s_and_b32 s62, s72, exec_lo
	s_or_b32 s62, s16, s62
	s_andn2_b32 exec_lo, exec_lo, s61
	s_cbranch_execz .LBB4_4642
.LBB4_4638:                             ;   Parent Loop BB4_47 Depth=1
                                        ;     Parent Loop BB4_1853 Depth=2
                                        ;       Parent Loop BB4_4632 Depth=3
                                        ; =>      This Inner Loop Header: Depth=4
	s_sleep 1
	s_waitcnt vmcnt(0) lgkmcnt(0)
	flat_load_dwordx2 v[32:33], v[22:23] glc dlc
	s_or_b32 s72, s72, exec_lo
	s_or_b32 s63, s63, exec_lo
                                        ; implicit-def: $vgpr3
	s_and_saveexec_b32 s74, vcc_lo
	s_cbranch_execz .LBB4_4637
; %bb.4639:                             ;   in Loop: Header=BB4_4638 Depth=4
	s_cmpk_lt_i32 s73, 0x270f
	s_mov_b32 s75, -1
	s_cselect_b32 s77, -1, 0
	s_cmpk_gt_i32 s73, 0x270e
	s_cbranch_scc0 .LBB4_4641
; %bb.4640:                             ;   in Loop: Header=BB4_4638 Depth=4
	s_trap 2
	ds_read_b64 v[3:4], v0
	s_andn2_b32 s73, s77, exec_lo
	s_mov_b32 s76, 0
	s_waitcnt vmcnt(0) lgkmcnt(0)
	s_waitcnt_vscnt null, 0x0
	flat_load_dword v3, v[3:4] glc dlc
	s_waitcnt vmcnt(0) lgkmcnt(0)
	buffer_gl1_inv
	buffer_gl0_inv
	v_cmp_eq_u32_e64 s16, 0, v3
	s_and_b32 s16, s16, exec_lo
	s_or_b32 s77, s73, s16
	s_mov_b32 s73, 0
	s_and_saveexec_b32 s78, s77
	s_cbranch_execz .LBB4_4636
	s_branch .LBB4_4635
.LBB4_4641:                             ;   in Loop: Header=BB4_4638 Depth=4
	s_add_i32 s73, s73, 1
	s_mov_b32 s76, -1
                                        ; implicit-def: $vgpr3
	s_and_saveexec_b32 s78, s77
	s_cbranch_execz .LBB4_4636
	s_branch .LBB4_4635
.LBB4_4642:                             ;   in Loop: Header=BB4_4632 Depth=3
	s_or_b32 exec_lo, exec_lo, s61
	s_xor_b32 s16, s62, -1
	s_and_saveexec_b32 s61, s16
	s_xor_b32 s16, exec_lo, s61
	s_cbranch_execz .LBB4_4644
; %bb.4643:                             ;   in Loop: Header=BB4_4632 Depth=3
	v_or_b32_e32 v84, 64, v84
	s_waitcnt vmcnt(0) lgkmcnt(0)
	s_waitcnt_vscnt null, 0x0
	ds_write_b32 v0, v3
	s_trap 2
.LBB4_4644:                             ;   in Loop: Header=BB4_4632 Depth=3
	s_or_b32 exec_lo, exec_lo, s16
.LBB4_4645:                             ;   in Loop: Header=BB4_4632 Depth=3
	s_or_b32 exec_lo, exec_lo, s23
	v_and_b32_e32 v3, 0x108, v84
	s_mov_b32 s16, exec_lo
	;;#ASMSTART
	s_wakeup
	;;#ASMEND
                                        ; implicit-def: $vgpr10_vgpr11
	v_cmpx_ne_u32_e32 0x108, v3
	s_xor_b32 s16, exec_lo, s16
; %bb.4646:                             ;   in Loop: Header=BB4_4632 Depth=3
	v_and_b32_e32 v10, 7, v48
	v_mov_b32_e32 v11, v2
                                        ; implicit-def: $vgpr48_vgpr49
; %bb.4647:                             ;   in Loop: Header=BB4_4632 Depth=3
	s_andn2_saveexec_b32 s16, s16
	s_cbranch_execz .LBB4_4649
; %bb.4648:                             ;   in Loop: Header=BB4_4632 Depth=3
	v_and_b32_e32 v10, 7, v48
	v_ashrrev_i32_e32 v53, 31, v52
	v_mov_b32_e32 v11, v2
	v_mad_u64_u32 v[3:4], null, v10, 24, v[6:7]
	flat_store_dwordx2 v[3:4], v[52:53] offset:8
.LBB4_4649:                             ;   in Loop: Header=BB4_4632 Depth=3
	s_or_b32 exec_lo, exec_lo, s16
	v_and_b32_e32 v3, 0x100, v84
	s_mov_b32 s16, -1
	s_mov_b32 s23, exec_lo
                                        ; implicit-def: $vgpr12_vgpr13
	v_cmpx_ne_u32_e32 0, v3
	s_cbranch_execz .LBB4_4653
; %bb.4650:                             ;   in Loop: Header=BB4_4632 Depth=3
	v_mad_u64_u32 v[14:15], null, v10, 24, v[6:7]
	s_mov_b32 s61, exec_lo
                                        ; implicit-def: $vgpr12_vgpr13
	v_mov_b32_e32 v3, v15
	v_mad_u64_u32 v[3:4], null, v11, 24, v[3:4]
	v_mov_b32_e32 v15, v3
	flat_load_dword v3, v[14:15]
	s_waitcnt vmcnt(0) lgkmcnt(0)
	v_cmp_ne_u32_e32 vcc_lo, 1, v3
	v_cmpx_eq_u32_e32 1, v3
	s_cbranch_execz .LBB4_4652
; %bb.4651:                             ;   in Loop: Header=BB4_4632 Depth=3
	flat_load_dword v12, v[14:15] offset:4 glc dlc
	s_waitcnt vmcnt(0) lgkmcnt(0)
	v_ashrrev_i32_e32 v13, 31, v12
.LBB4_4652:                             ;   in Loop: Header=BB4_4632 Depth=3
	s_or_b32 exec_lo, exec_lo, s61
	s_orn2_b32 s16, vcc_lo, exec_lo
.LBB4_4653:                             ;   in Loop: Header=BB4_4632 Depth=3
	s_or_b32 exec_lo, exec_lo, s23
	s_and_saveexec_b32 s23, s16
; %bb.4654:                             ;   in Loop: Header=BB4_4632 Depth=3
	v_mul_lo_u32 v3, v11, v85
	v_mul_lo_u32 v4, v10, v86
	v_mad_u64_u32 v[12:13], null, v10, v85, 0
	v_add3_u32 v13, v13, v4, v3
; %bb.4655:                             ;   in Loop: Header=BB4_4632 Depth=3
	s_or_b32 exec_lo, exec_lo, s23
	v_cmp_eq_u32_e32 vcc_lo, 0, v1
	v_and_b32_e32 v5, 0x2000, v84
	s_mov_b32 s16, exec_lo
	v_cndmask_b32_e32 v1, 0xc8, v113, vcc_lo
	v_add_co_u32 v3, vcc_lo, v24, v12
	v_add_co_ci_u32_e64 v4, null, v25, v13, vcc_lo
	v_add_nc_u32_e32 v1, v0, v1
	ds_write_b64 v1, v[3:4] offset:584
	v_cmpx_ne_u32_e32 0, v5
	s_cbranch_execz .LBB4_4657
; %bb.4656:                             ;   in Loop: Header=BB4_4632 Depth=3
	ds_read_b64 v[3:4], v0 offset:872
	s_waitcnt lgkmcnt(0)
	v_add_co_u32 v3, vcc_lo, v3, 1
	v_add_co_ci_u32_e64 v4, null, 0, v4, vcc_lo
	ds_write_b64 v0, v[3:4] offset:872
.LBB4_4657:                             ;   in Loop: Header=BB4_4632 Depth=3
	s_or_b32 exec_lo, exec_lo, s16
	v_mov_b32_e32 v49, v9
	v_mov_b32_e32 v48, v8
.LBB4_4658:                             ;   in Loop: Header=BB4_4632 Depth=3
	s_or_b32 exec_lo, exec_lo, s22
	s_xor_b32 s16, s21, -1
	s_and_b32 s16, exec_lo, s16
	s_or_b32 s19, s16, s19
	s_and_saveexec_b32 s16, s6
	s_cbranch_execz .LBB4_4677
; %bb.4659:                             ;   in Loop: Header=BB4_4632 Depth=3
	s_and_saveexec_b32 s21, s29
	s_xor_b32 s21, exec_lo, s21
	s_cbranch_execz .LBB4_4674
; %bb.4660:                             ;   in Loop: Header=BB4_4632 Depth=3
	s_and_saveexec_b32 s22, s11
	s_cbranch_execz .LBB4_4673
; %bb.4661:                             ;   in Loop: Header=BB4_4632 Depth=3
	s_mov_b32 s61, exec_lo
	s_mov_b32 s23, exec_lo
	v_mbcnt_lo_u32_b32 v1, s61, 0
	s_waitcnt vmcnt(0) lgkmcnt(0)
	s_waitcnt_vscnt null, 0x0
	buffer_gl1_inv
	buffer_gl0_inv
	v_cmpx_eq_u32_e32 0, v1
	s_cbranch_execz .LBB4_4663
; %bb.4662:                             ;   in Loop: Header=BB4_4632 Depth=3
	s_bcnt1_i32_b32 s61, s61
	v_mov_b32_e32 v4, v2
	v_mov_b32_e32 v3, s61
	ds_add_u64 v0, v[3:4]
	s_trap 2
.LBB4_4663:                             ;   in Loop: Header=BB4_4632 Depth=3
	s_or_b32 exec_lo, exec_lo, s23
	s_trap 2
	ds_read_b64 v[3:4], v0
	s_waitcnt lgkmcnt(0)
	buffer_gl0_inv
	v_add_co_u32 v28, vcc_lo, v28, v87
	v_add_co_ci_u32_e64 v29, null, 0, v29, vcc_lo
	s_mov_b32 s23, exec_lo
	v_cmpx_lt_u64_e64 v[3:4], v[28:29]
	s_cbranch_execz .LBB4_4672
; %bb.4664:                             ;   in Loop: Header=BB4_4632 Depth=3
	s_mov_b32 s61, 0
	s_mov_b32 s72, 0
                                        ; implicit-def: $sgpr62
                                        ; implicit-def: $sgpr63
	s_inst_prefetch 0x1
	s_branch .LBB4_4666
	.p2align	6
.LBB4_4665:                             ;   in Loop: Header=BB4_4666 Depth=4
	s_or_b32 exec_lo, exec_lo, s74
	s_and_b32 s73, exec_lo, s75
	s_or_b32 s61, s73, s61
	s_andn2_b32 s62, s62, exec_lo
	s_and_b32 s73, s63, exec_lo
	s_or_b32 s62, s62, s73
	s_andn2_b32 exec_lo, exec_lo, s61
	s_cbranch_execz .LBB4_4670
.LBB4_4666:                             ;   Parent Loop BB4_47 Depth=1
                                        ;     Parent Loop BB4_1853 Depth=2
                                        ;       Parent Loop BB4_4632 Depth=3
                                        ; =>      This Inner Loop Header: Depth=4
	s_add_i32 s72, s72, 1
	s_cmpk_lg_i32 s72, 0x2710
	s_cselect_b32 s73, -1, 0
	s_and_b32 vcc_lo, exec_lo, s73
	s_cbranch_vccz .LBB4_4668
; %bb.4667:                             ;   in Loop: Header=BB4_4666 Depth=4
	s_mov_b32 s75, -1
	s_or_b32 s63, s63, exec_lo
	s_and_saveexec_b32 s74, s73
	s_cbranch_execz .LBB4_4665
	s_branch .LBB4_4669
	.p2align	6
.LBB4_4668:                             ;   in Loop: Header=BB4_4666 Depth=4
	s_trap 2
	ds_read_b64 v[3:4], v0
	s_andn2_b32 s73, s73, exec_lo
	s_mov_b32 s72, 0
	s_waitcnt lgkmcnt(0)
	flat_load_dword v1, v[3:4] glc dlc
	s_waitcnt vmcnt(0) lgkmcnt(0)
	buffer_gl1_inv
	buffer_gl0_inv
	v_cmp_eq_u32_e32 vcc_lo, 0, v1
	s_and_b32 s74, vcc_lo, exec_lo
	s_or_b32 s73, s73, s74
	s_mov_b32 s75, -1
	s_or_b32 s63, s63, exec_lo
	s_and_saveexec_b32 s74, s73
	s_cbranch_execz .LBB4_4665
.LBB4_4669:                             ;   in Loop: Header=BB4_4666 Depth=4
	s_sleep 1
	s_trap 2
	ds_read_b64 v[3:4], v0
	s_waitcnt lgkmcnt(0)
	buffer_gl0_inv
	s_andn2_b32 s63, s63, exec_lo
	v_cmp_ge_u64_e32 vcc_lo, v[3:4], v[28:29]
	s_orn2_b32 s75, vcc_lo, exec_lo
	s_branch .LBB4_4665
.LBB4_4670:                             ;   in Loop: Header=BB4_4632 Depth=3
	s_inst_prefetch 0x2
	s_or_b32 exec_lo, exec_lo, s61
	s_and_saveexec_b32 s61, s62
	s_xor_b32 s61, exec_lo, s61
	s_cbranch_execz .LBB4_4672
; %bb.4671:                             ;   in Loop: Header=BB4_4632 Depth=3
	ds_write_b32 v0, v99
	s_trap 2
.LBB4_4672:                             ;   in Loop: Header=BB4_4632 Depth=3
	s_or_b32 exec_lo, exec_lo, s23
	;;#ASMSTART
	s_wakeup
	;;#ASMEND
.LBB4_4673:                             ;   in Loop: Header=BB4_4632 Depth=3
	s_or_b32 exec_lo, exec_lo, s22
.LBB4_4674:                             ;   in Loop: Header=BB4_4632 Depth=3
	s_andn2_saveexec_b32 s21, s21
	s_cbranch_execz .LBB4_4676
; %bb.4675:                             ;   in Loop: Header=BB4_4632 Depth=3
	s_waitcnt vmcnt(0) lgkmcnt(0)
	s_waitcnt_vscnt null, 0x0
	buffer_gl1_inv
	buffer_gl0_inv
	s_barrier
.LBB4_4676:                             ;   in Loop: Header=BB4_4632 Depth=3
	s_or_b32 exec_lo, exec_lo, s21
.LBB4_4677:                             ;   in Loop: Header=BB4_4632 Depth=3
	s_or_b32 exec_lo, exec_lo, s16
                                        ; implicit-def: $vgpr1
	s_and_saveexec_b32 s16, s47
	s_xor_b32 s16, exec_lo, s16
	s_cbranch_execz .LBB4_4689
; %bb.4678:                             ;   in Loop: Header=BB4_4632 Depth=3
	s_and_saveexec_b32 s21, s29
	s_xor_b32 s21, exec_lo, s21
	s_cbranch_execz .LBB4_4694
; %bb.4679:                             ;   in Loop: Header=BB4_4632 Depth=3
	s_and_saveexec_b32 s22, s11
	s_cbranch_execz .LBB4_4693
; %bb.4680:                             ;   in Loop: Header=BB4_4632 Depth=3
	s_mov_b32 s61, exec_lo
	s_mov_b32 s23, exec_lo
	v_mbcnt_lo_u32_b32 v1, s61, 0
	;;#ASMSTART
	s_waitcnt lgkmcnt(0) vmcnt(0)
	;;#ASMEND
	v_cmpx_eq_u32_e32 0, v1
	s_cbranch_execz .LBB4_4682
; %bb.4681:                             ;   in Loop: Header=BB4_4632 Depth=3
	s_bcnt1_i32_b32 s61, s61
	v_mov_b32_e32 v4, v2
	v_mov_b32_e32 v3, s61
	s_waitcnt vmcnt(0) lgkmcnt(0)
	s_waitcnt_vscnt null, 0x0
	ds_add_u64 v0, v[3:4]
	s_trap 2
.LBB4_4682:                             ;   in Loop: Header=BB4_4632 Depth=3
	s_or_b32 exec_lo, exec_lo, s23
	s_trap 2
	ds_read_b64 v[3:4], v0
	s_waitcnt vmcnt(0) lgkmcnt(0)
	buffer_gl0_inv
	v_add_co_u32 v28, vcc_lo, v28, v87
	v_add_co_ci_u32_e64 v29, null, 0, v29, vcc_lo
	s_mov_b32 s23, exec_lo
	v_cmpx_lt_u64_e64 v[3:4], v[28:29]
	s_cbranch_execz .LBB4_4692
; %bb.4683:                             ;   in Loop: Header=BB4_4632 Depth=3
	s_mov_b32 s61, 0
	s_mov_b32 s72, 0
                                        ; implicit-def: $sgpr62
                                        ; implicit-def: $sgpr63
	s_inst_prefetch 0x1
	s_branch .LBB4_4685
	.p2align	6
.LBB4_4684:                             ;   in Loop: Header=BB4_4685 Depth=4
	s_or_b32 exec_lo, exec_lo, s74
	s_and_b32 s73, exec_lo, s75
	s_or_b32 s61, s73, s61
	s_andn2_b32 s62, s62, exec_lo
	s_and_b32 s73, s63, exec_lo
	s_or_b32 s62, s62, s73
	s_andn2_b32 exec_lo, exec_lo, s61
	s_cbranch_execz .LBB4_4690
.LBB4_4685:                             ;   Parent Loop BB4_47 Depth=1
                                        ;     Parent Loop BB4_1853 Depth=2
                                        ;       Parent Loop BB4_4632 Depth=3
                                        ; =>      This Inner Loop Header: Depth=4
	s_add_i32 s72, s72, 1
	s_cmpk_lg_i32 s72, 0x2710
	s_cselect_b32 s73, -1, 0
	s_and_b32 vcc_lo, exec_lo, s73
	s_cbranch_vccz .LBB4_4687
; %bb.4686:                             ;   in Loop: Header=BB4_4685 Depth=4
	s_mov_b32 s75, -1
	s_or_b32 s63, s63, exec_lo
	s_and_saveexec_b32 s74, s73
	s_cbranch_execz .LBB4_4684
	s_branch .LBB4_4688
	.p2align	6
.LBB4_4687:                             ;   in Loop: Header=BB4_4685 Depth=4
	s_trap 2
	ds_read_b64 v[3:4], v0
	s_andn2_b32 s73, s73, exec_lo
	s_mov_b32 s72, 0
	s_waitcnt lgkmcnt(0)
	s_waitcnt_vscnt null, 0x0
	flat_load_dword v1, v[3:4] glc dlc
	s_waitcnt vmcnt(0) lgkmcnt(0)
	buffer_gl1_inv
	buffer_gl0_inv
	v_cmp_eq_u32_e32 vcc_lo, 0, v1
	s_and_b32 s74, vcc_lo, exec_lo
	s_or_b32 s73, s73, s74
	s_mov_b32 s75, -1
	s_or_b32 s63, s63, exec_lo
	s_and_saveexec_b32 s74, s73
	s_cbranch_execz .LBB4_4684
.LBB4_4688:                             ;   in Loop: Header=BB4_4685 Depth=4
	s_sleep 1
	s_trap 2
	ds_read_b64 v[3:4], v0
	s_waitcnt lgkmcnt(0)
	buffer_gl0_inv
	s_andn2_b32 s63, s63, exec_lo
	v_cmp_ge_u64_e32 vcc_lo, v[3:4], v[28:29]
	s_orn2_b32 s75, vcc_lo, exec_lo
	s_branch .LBB4_4684
.LBB4_4689:                             ;   in Loop: Header=BB4_4632 Depth=3
	s_andn2_saveexec_b32 s21, s16
	s_cbranch_execnz .LBB4_4697
	s_branch .LBB4_4700
.LBB4_4690:                             ;   in Loop: Header=BB4_4632 Depth=3
	s_inst_prefetch 0x2
	s_or_b32 exec_lo, exec_lo, s61
	s_and_saveexec_b32 s61, s62
	s_xor_b32 s61, exec_lo, s61
	s_cbranch_execz .LBB4_4692
; %bb.4691:                             ;   in Loop: Header=BB4_4632 Depth=3
	ds_write_b32 v0, v99
	s_trap 2
.LBB4_4692:                             ;   in Loop: Header=BB4_4632 Depth=3
	s_or_b32 exec_lo, exec_lo, s23
	;;#ASMSTART
	s_wakeup
	;;#ASMEND
.LBB4_4693:                             ;   in Loop: Header=BB4_4632 Depth=3
	s_or_b32 exec_lo, exec_lo, s22
.LBB4_4694:                             ;   in Loop: Header=BB4_4632 Depth=3
	s_andn2_saveexec_b32 s21, s21
	s_cbranch_execz .LBB4_4696
; %bb.4695:                             ;   in Loop: Header=BB4_4632 Depth=3
	;;#ASMSTART
	s_waitcnt lgkmcnt(0) vmcnt(0)
	;;#ASMEND
	s_barrier
.LBB4_4696:                             ;   in Loop: Header=BB4_4632 Depth=3
	s_or_b32 exec_lo, exec_lo, s21
	v_and_b32_e32 v1, 16, v84
	s_andn2_saveexec_b32 s21, s16
	s_cbranch_execz .LBB4_4700
.LBB4_4697:                             ;   in Loop: Header=BB4_4632 Depth=3
	s_trap 2
	ds_read_b32 v1, v0
	v_cmp_lt_i32_e32 vcc_lo, 0, v52
	s_waitcnt lgkmcnt(0)
	v_readfirstlane_b32 s16, v1
	v_and_b32_e32 v1, 16, v84
	s_cmp_eq_u32 s16, 0
	v_cmp_ne_u32_e64 s16, 0, v1
	s_cselect_b32 s22, -1, 0
	v_and_b32_e32 v1, 16, v84
	s_and_b32 s22, vcc_lo, s22
	s_and_b32 s22, s16, s22
	s_and_saveexec_b32 s16, s22
	s_cbranch_execz .LBB4_4699
; %bb.4698:                             ;   in Loop: Header=BB4_4632 Depth=3
	v_mov_b32_e32 v1, 1
	s_waitcnt vmcnt(0)
	s_waitcnt_vscnt null, 0x0
	buffer_gl1_inv
	buffer_gl0_inv
.LBB4_4699:                             ;   in Loop: Header=BB4_4632 Depth=3
	s_or_b32 exec_lo, exec_lo, s16
.LBB4_4700:                             ;   in Loop: Header=BB4_4632 Depth=3
	s_or_b32 exec_lo, exec_lo, s21
	v_cmp_ne_u32_e32 vcc_lo, 0, v1
	s_xor_b32 s16, s7, -1
	s_and_b32 s21, vcc_lo, s16
	s_and_saveexec_b32 s16, s21
	s_cbranch_execz .LBB4_4702
; %bb.4701:                             ;   in Loop: Header=BB4_4632 Depth=3
	s_waitcnt vmcnt(0) lgkmcnt(0)
	s_waitcnt_vscnt null, 0x0
	flat_store_dword v[26:27], v99
.LBB4_4702:                             ;   in Loop: Header=BB4_4632 Depth=3
	s_or_b32 exec_lo, exec_lo, s16
	v_and_b32_e32 v1, 48, v84
	s_mov_b32 s16, exec_lo
	v_cmpx_ne_u32_e32 0, v1
	s_cbranch_execz .LBB4_4631
; %bb.4703:                             ;   in Loop: Header=BB4_4632 Depth=3
	v_add_co_u32 v48, vcc_lo, v48, 2
	v_add_co_ci_u32_e64 v49, null, 0, v49, vcc_lo
	s_waitcnt vmcnt(0) lgkmcnt(0)
	s_waitcnt_vscnt null, 0x0
	flat_store_dwordx2 v[22:23], v[48:49]
	s_branch .LBB4_4631
.LBB4_4704:                             ;   in Loop: Header=BB4_47 Depth=1
	v_mul_lo_u32 v1, v39, s25
	v_mul_lo_u32 v3, v38, s28
	v_mad_u64_u32 v[8:9], null, v38, s25, 0
	v_mov_b32_e32 v55, 0
	v_add3_u32 v9, v9, v3, v1
	s_clause 0x1
	buffer_load_dword v3, off, s[0:3], s33 offset:188
	buffer_load_dword v4, off, s[0:3], s33 offset:192
	s_waitcnt vmcnt(1)
	v_sub_co_u32 v3, vcc_lo, v3, v8
	s_waitcnt vmcnt(0)
	v_sub_co_ci_u32_e64 v4, null, v4, v9, vcc_lo
	v_cmp_lt_i64_e32 vcc_lo, v[38:39], v[3:4]
	v_cndmask_b32_e32 v4, v3, v38, vcc_lo
	v_max_i32_e32 v3, 0, v4
	v_cmp_lt_i32_e32 vcc_lo, 0, v4
	v_add_nc_u32_e32 v1, 31, v3
	s_and_b32 s16, s57, vcc_lo
	v_lshrrev_b32_e32 v1, 1, v1
	v_and_b32_e32 v5, 0x3ffffff0, v1
	v_mov_b32_e32 v1, 0
	v_max_i32_e32 v52, s45, v5
	s_and_saveexec_b32 s21, s16
	s_cbranch_execnz .LBB4_4705
; %bb.10733:                            ;   in Loop: Header=BB4_47 Depth=1
	s_getpc_b64 s[34:35]
.Lpost_getpc10:
	s_add_u32 s34, s34, (.LBB4_10145-.Lpost_getpc10)&4294967295
	s_addc_u32 s35, s35, (.LBB4_10145-.Lpost_getpc10)>>32
	s_setpc_b64 s[34:35]
.LBB4_4705:                             ;   in Loop: Header=BB4_47 Depth=1
	v_add_co_u32 v59, vcc_lo, v8, v57
	v_add_co_ci_u32_e64 v60, null, v9, v58, vcc_lo
	v_mov_b32_e32 v55, 0
	s_mov_b32 s63, 1
	s_mov_b32 s62, -1
	s_mov_b32 s61, 0
	s_branch .LBB4_4707
.LBB4_4706:                             ;   in Loop: Header=BB4_4707 Depth=2
	s_or_b32 exec_lo, exec_lo, s16
	v_add_nc_u32_e32 v55, v52, v55
	s_xor_b32 s16, s62, -1
	v_mov_b32_e32 v1, s63
	s_mov_b32 s62, 0
	s_mov_b32 s63, 2
	v_cmp_ge_i32_e32 vcc_lo, v55, v3
	s_or_b32 s16, s16, vcc_lo
	s_and_b32 s16, exec_lo, s16
	s_or_b32 s61, s16, s61
	s_andn2_b32 exec_lo, exec_lo, s61
	s_cbranch_execnz .LBB4_4707
; %bb.10735:                            ;   in Loop: Header=BB4_47 Depth=1
	s_getpc_b64 s[34:35]
.Lpost_getpc11:
	s_add_u32 s34, s34, (.LBB4_10144-.Lpost_getpc11)&4294967295
	s_addc_u32 s35, s35, (.LBB4_10144-.Lpost_getpc11)>>32
	s_setpc_b64 s[34:35]
.LBB4_4707:                             ;   Parent Loop BB4_47 Depth=1
                                        ; =>  This Loop Header: Depth=2
                                        ;       Child Loop BB4_4715 Depth 3
                                        ;       Child Loop BB4_4743 Depth 3
	;; [unrolled: 1-line block ×5, first 2 shown]
                                        ;         Child Loop BB4_6635 Depth 4
                                        ;       Child Loop BB4_6741 Depth 3
                                        ;       Child Loop BB4_7391 Depth 3
                                        ;         Child Loop BB4_7434 Depth 4
                                        ;       Child Loop BB4_7456 Depth 3
                                        ;       Child Loop BB4_8749 Depth 3
	;; [unrolled: 1-line block ×6, first 2 shown]
	s_and_saveexec_b32 s17, s4
	s_cbranch_execz .LBB4_4709
; %bb.4708:                             ;   in Loop: Header=BB4_4707 Depth=2
	s_trap 2
	ds_read2_b64 v[8:11], v0 offset1:1
	ds_read_b64 v[4:5], v0
	v_ashrrev_i32_e32 v1, 31, v55
	s_waitcnt lgkmcnt(1)
	v_add_co_u32 v8, vcc_lo, v8, v59
	v_add_co_ci_u32_e64 v9, null, v9, v60, vcc_lo
	v_add_co_u32 v10, vcc_lo, v10, v59
	v_add_co_ci_u32_e64 v11, null, v11, v60, vcc_lo
	s_waitcnt lgkmcnt(0)
	v_add_co_u32 v12, vcc_lo, v4, v59
	v_add_co_ci_u32_e64 v13, null, v5, v60, vcc_lo
	v_add_co_u32 v8, vcc_lo, v8, v55
	v_add_co_ci_u32_e64 v9, null, v9, v1, vcc_lo
	;; [unrolled: 2-line block ×3, first 2 shown]
	v_cmp_ne_u64_e32 vcc_lo, 0, v[4:5]
	v_add_co_u32 v4, s16, v10, v55
	v_add_co_ci_u32_e64 v5, null, v11, v1, s16
	v_cndmask_b32_e32 v11, 0, v13, vcc_lo
	v_cndmask_b32_e32 v10, 0, v12, vcc_lo
	ds_write_b64 v0, v[8:9]
	ds_write_b64 v0, v[4:5]
	;; [unrolled: 1-line block ×3, first 2 shown]
.LBB4_4709:                             ;   in Loop: Header=BB4_4707 Depth=2
	s_or_b32 exec_lo, exec_lo, s17
	v_sub_nc_u32_e32 v1, v3, v55
	v_and_b32_e32 v4, 12, v84
	s_mov_b32 s17, exec_lo
	v_min_i32_e32 v52, v52, v1
	v_cmpx_ne_u32_e32 0, v4
	s_cbranch_execz .LBB4_4735
; %bb.4710:                             ;   in Loop: Header=BB4_4707 Depth=2
	v_and_b32_e32 v1, 8, v84
	s_mov_b32 s18, exec_lo
	s_waitcnt vmcnt(0) lgkmcnt(1)
	v_add_co_u32 v4, vcc_lo, v32, v1
	v_add_co_ci_u32_e64 v5, null, 0, v33, vcc_lo
	v_add_co_u32 v8, vcc_lo, v48, 2
	v_add_co_ci_u32_e64 v9, null, 0, v49, vcc_lo
	v_cmpx_lt_u64_e64 v[4:5], v[8:9]
	s_cbranch_execz .LBB4_4722
; %bb.4711:                             ;   in Loop: Header=BB4_4707 Depth=2
	v_and_b32_e32 v4, 64, v84
	s_mov_b32 s19, 0
	s_mov_b32 s73, 0
                                        ; implicit-def: $sgpr22
                                        ; implicit-def: $sgpr23
                                        ; implicit-def: $sgpr72
	v_cmp_eq_u32_e32 vcc_lo, 0, v4
	s_branch .LBB4_4715
.LBB4_4712:                             ;   in Loop: Header=BB4_4715 Depth=3
	s_waitcnt vmcnt(0) lgkmcnt(0)
	v_add_co_u32 v10, s16, v32, v1
	v_add_co_ci_u32_e64 v11, null, 0, v33, s16
	s_or_b32 s76, s76, exec_lo
	v_cmp_ge_u64_e64 s16, v[10:11], v[8:9]
	s_orn2_b32 s75, s16, exec_lo
.LBB4_4713:                             ;   in Loop: Header=BB4_4715 Depth=3
	s_or_b32 exec_lo, exec_lo, s78
	s_andn2_b32 s16, s72, exec_lo
	s_and_b32 s72, s76, exec_lo
	s_andn2_b32 s23, s23, exec_lo
	s_and_b32 s75, s75, exec_lo
	s_or_b32 s72, s16, s72
	s_or_b32 s23, s23, s75
.LBB4_4714:                             ;   in Loop: Header=BB4_4715 Depth=3
	s_or_b32 exec_lo, exec_lo, s74
	s_and_b32 s16, exec_lo, s23
	s_or_b32 s19, s16, s19
	s_andn2_b32 s16, s22, exec_lo
	s_and_b32 s22, s72, exec_lo
	s_or_b32 s22, s16, s22
	s_andn2_b32 exec_lo, exec_lo, s19
	s_cbranch_execz .LBB4_4719
.LBB4_4715:                             ;   Parent Loop BB4_47 Depth=1
                                        ;     Parent Loop BB4_4707 Depth=2
                                        ; =>    This Inner Loop Header: Depth=3
	s_sleep 1
	s_waitcnt vmcnt(0) lgkmcnt(0)
	flat_load_dwordx2 v[32:33], v[22:23] glc dlc
	s_or_b32 s72, s72, exec_lo
	s_or_b32 s23, s23, exec_lo
                                        ; implicit-def: $vgpr4
	s_and_saveexec_b32 s74, vcc_lo
	s_cbranch_execz .LBB4_4714
; %bb.4716:                             ;   in Loop: Header=BB4_4715 Depth=3
	s_cmpk_lt_i32 s73, 0x270f
	s_mov_b32 s75, -1
	s_cselect_b32 s77, -1, 0
	s_cmpk_gt_i32 s73, 0x270e
	s_cbranch_scc0 .LBB4_4718
; %bb.4717:                             ;   in Loop: Header=BB4_4715 Depth=3
	s_trap 2
	ds_read_b64 v[4:5], v0
	s_andn2_b32 s73, s77, exec_lo
	s_mov_b32 s76, 0
	s_waitcnt vmcnt(0) lgkmcnt(0)
	s_waitcnt_vscnt null, 0x0
	flat_load_dword v4, v[4:5] glc dlc
	s_waitcnt vmcnt(0) lgkmcnt(0)
	buffer_gl1_inv
	buffer_gl0_inv
	v_cmp_eq_u32_e64 s16, 0, v4
	s_and_b32 s16, s16, exec_lo
	s_or_b32 s77, s73, s16
	s_mov_b32 s73, 0
	s_and_saveexec_b32 s78, s77
	s_cbranch_execz .LBB4_4713
	s_branch .LBB4_4712
.LBB4_4718:                             ;   in Loop: Header=BB4_4715 Depth=3
	s_add_i32 s73, s73, 1
	s_mov_b32 s76, -1
                                        ; implicit-def: $vgpr4
	s_and_saveexec_b32 s78, s77
	s_cbranch_execz .LBB4_4713
	s_branch .LBB4_4712
.LBB4_4719:                             ;   in Loop: Header=BB4_4707 Depth=2
	s_or_b32 exec_lo, exec_lo, s19
	s_xor_b32 s16, s22, -1
	s_and_saveexec_b32 s19, s16
	s_xor_b32 s16, exec_lo, s19
	s_cbranch_execz .LBB4_4721
; %bb.4720:                             ;   in Loop: Header=BB4_4707 Depth=2
	v_or_b32_e32 v84, 64, v84
	s_waitcnt vmcnt(0) lgkmcnt(0)
	s_waitcnt_vscnt null, 0x0
	ds_write_b32 v0, v4
	s_trap 2
.LBB4_4721:                             ;   in Loop: Header=BB4_4707 Depth=2
	s_or_b32 exec_lo, exec_lo, s16
.LBB4_4722:                             ;   in Loop: Header=BB4_4707 Depth=2
	s_or_b32 exec_lo, exec_lo, s18
	v_and_b32_e32 v4, 0x108, v84
	s_mov_b32 s16, exec_lo
	;;#ASMSTART
	s_wakeup
	;;#ASMEND
                                        ; implicit-def: $vgpr10_vgpr11
	v_cmpx_ne_u32_e32 0x108, v4
	s_xor_b32 s16, exec_lo, s16
; %bb.4723:                             ;   in Loop: Header=BB4_4707 Depth=2
	v_and_b32_e32 v10, 7, v48
	v_mov_b32_e32 v11, v2
                                        ; implicit-def: $vgpr48_vgpr49
; %bb.4724:                             ;   in Loop: Header=BB4_4707 Depth=2
	s_andn2_saveexec_b32 s16, s16
	s_cbranch_execz .LBB4_4726
; %bb.4725:                             ;   in Loop: Header=BB4_4707 Depth=2
	v_and_b32_e32 v10, 7, v48
	v_ashrrev_i32_e32 v53, 31, v52
	v_mov_b32_e32 v11, v2
	v_mad_u64_u32 v[4:5], null, v10, 24, v[6:7]
	flat_store_dwordx2 v[4:5], v[52:53] offset:8
.LBB4_4726:                             ;   in Loop: Header=BB4_4707 Depth=2
	s_or_b32 exec_lo, exec_lo, s16
	v_and_b32_e32 v4, 0x100, v84
	s_mov_b32 s16, -1
	s_mov_b32 s18, exec_lo
                                        ; implicit-def: $vgpr12_vgpr13
	v_cmpx_ne_u32_e32 0, v4
	s_cbranch_execz .LBB4_4730
; %bb.4727:                             ;   in Loop: Header=BB4_4707 Depth=2
	v_mad_u64_u32 v[14:15], null, v10, 24, v[6:7]
	s_mov_b32 s19, exec_lo
                                        ; implicit-def: $vgpr12_vgpr13
	v_mov_b32_e32 v4, v15
	v_mad_u64_u32 v[4:5], null, v11, 24, v[4:5]
	v_mov_b32_e32 v15, v4
	flat_load_dword v4, v[14:15]
	s_waitcnt vmcnt(0) lgkmcnt(0)
	v_cmp_ne_u32_e32 vcc_lo, 1, v4
	v_cmpx_eq_u32_e32 1, v4
	s_cbranch_execz .LBB4_4729
; %bb.4728:                             ;   in Loop: Header=BB4_4707 Depth=2
	flat_load_dword v12, v[14:15] offset:4 glc dlc
	s_waitcnt vmcnt(0) lgkmcnt(0)
	v_ashrrev_i32_e32 v13, 31, v12
.LBB4_4729:                             ;   in Loop: Header=BB4_4707 Depth=2
	s_or_b32 exec_lo, exec_lo, s19
	s_orn2_b32 s16, vcc_lo, exec_lo
.LBB4_4730:                             ;   in Loop: Header=BB4_4707 Depth=2
	s_or_b32 exec_lo, exec_lo, s18
	s_and_saveexec_b32 s18, s16
; %bb.4731:                             ;   in Loop: Header=BB4_4707 Depth=2
	v_mul_lo_u32 v4, v11, v85
	v_mul_lo_u32 v5, v10, v86
	v_mad_u64_u32 v[12:13], null, v10, v85, 0
	v_add3_u32 v13, v13, v5, v4
; %bb.4732:                             ;   in Loop: Header=BB4_4707 Depth=2
	s_or_b32 exec_lo, exec_lo, s18
	v_cmp_eq_u32_e32 vcc_lo, 0, v1
	v_and_b32_e32 v10, 0x2000, v84
	s_mov_b32 s16, exec_lo
	v_cndmask_b32_e32 v1, 0xd0, v113, vcc_lo
	v_add_co_u32 v4, vcc_lo, v24, v12
	v_add_co_ci_u32_e64 v5, null, v25, v13, vcc_lo
	v_add_nc_u32_e32 v1, v0, v1
	ds_write_b64 v1, v[4:5] offset:584
	v_cmpx_ne_u32_e32 0, v10
	s_cbranch_execz .LBB4_4734
; %bb.4733:                             ;   in Loop: Header=BB4_4707 Depth=2
	ds_read_b64 v[4:5], v0 offset:872
	s_waitcnt lgkmcnt(0)
	v_add_co_u32 v4, vcc_lo, v4, 1
	v_add_co_ci_u32_e64 v5, null, 0, v5, vcc_lo
	ds_write_b64 v0, v[4:5] offset:872
.LBB4_4734:                             ;   in Loop: Header=BB4_4707 Depth=2
	s_or_b32 exec_lo, exec_lo, s16
	v_mov_b32_e32 v49, v9
	v_mov_b32_e32 v48, v8
.LBB4_4735:                             ;   in Loop: Header=BB4_4707 Depth=2
	s_or_b32 exec_lo, exec_lo, s17
	s_and_saveexec_b32 s16, s6
	s_cbranch_execz .LBB4_4754
; %bb.4736:                             ;   in Loop: Header=BB4_4707 Depth=2
	s_and_saveexec_b32 s17, s29
	s_xor_b32 s17, exec_lo, s17
	s_cbranch_execz .LBB4_4751
; %bb.4737:                             ;   in Loop: Header=BB4_4707 Depth=2
	s_and_saveexec_b32 s18, s11
	s_cbranch_execz .LBB4_4750
; %bb.4738:                             ;   in Loop: Header=BB4_4707 Depth=2
	s_mov_b32 s22, exec_lo
	s_mov_b32 s19, exec_lo
	v_mbcnt_lo_u32_b32 v1, s22, 0
	s_waitcnt vmcnt(0) lgkmcnt(0)
	s_waitcnt_vscnt null, 0x0
	buffer_gl1_inv
	buffer_gl0_inv
	v_cmpx_eq_u32_e32 0, v1
	s_cbranch_execz .LBB4_4740
; %bb.4739:                             ;   in Loop: Header=BB4_4707 Depth=2
	s_bcnt1_i32_b32 s22, s22
	v_mov_b32_e32 v5, v2
	v_mov_b32_e32 v4, s22
	ds_add_u64 v0, v[4:5]
	s_trap 2
.LBB4_4740:                             ;   in Loop: Header=BB4_4707 Depth=2
	s_or_b32 exec_lo, exec_lo, s19
	s_trap 2
	ds_read_b64 v[4:5], v0
	s_waitcnt lgkmcnt(0)
	buffer_gl0_inv
	v_add_co_u32 v28, vcc_lo, v28, v87
	v_add_co_ci_u32_e64 v29, null, 0, v29, vcc_lo
	s_mov_b32 s19, exec_lo
	v_cmpx_lt_u64_e64 v[4:5], v[28:29]
	s_cbranch_execz .LBB4_4749
; %bb.4741:                             ;   in Loop: Header=BB4_4707 Depth=2
	s_mov_b32 s22, 0
	s_mov_b32 s73, 0
                                        ; implicit-def: $sgpr23
                                        ; implicit-def: $sgpr72
	s_inst_prefetch 0x1
	s_branch .LBB4_4743
	.p2align	6
.LBB4_4742:                             ;   in Loop: Header=BB4_4743 Depth=3
	s_or_b32 exec_lo, exec_lo, s75
	s_and_b32 s74, exec_lo, s76
	s_or_b32 s22, s74, s22
	s_andn2_b32 s23, s23, exec_lo
	s_and_b32 s74, s72, exec_lo
	s_or_b32 s23, s23, s74
	s_andn2_b32 exec_lo, exec_lo, s22
	s_cbranch_execz .LBB4_4747
.LBB4_4743:                             ;   Parent Loop BB4_47 Depth=1
                                        ;     Parent Loop BB4_4707 Depth=2
                                        ; =>    This Inner Loop Header: Depth=3
	s_add_i32 s73, s73, 1
	s_cmpk_lg_i32 s73, 0x2710
	s_cselect_b32 s74, -1, 0
	s_and_b32 vcc_lo, exec_lo, s74
	s_cbranch_vccz .LBB4_4745
; %bb.4744:                             ;   in Loop: Header=BB4_4743 Depth=3
	s_mov_b32 s76, -1
	s_or_b32 s72, s72, exec_lo
	s_and_saveexec_b32 s75, s74
	s_cbranch_execz .LBB4_4742
	s_branch .LBB4_4746
	.p2align	6
.LBB4_4745:                             ;   in Loop: Header=BB4_4743 Depth=3
	s_trap 2
	ds_read_b64 v[4:5], v0
	s_andn2_b32 s74, s74, exec_lo
	s_mov_b32 s73, 0
	s_waitcnt lgkmcnt(0)
	flat_load_dword v1, v[4:5] glc dlc
	s_waitcnt vmcnt(0) lgkmcnt(0)
	buffer_gl1_inv
	buffer_gl0_inv
	v_cmp_eq_u32_e32 vcc_lo, 0, v1
	s_and_b32 s75, vcc_lo, exec_lo
	s_or_b32 s74, s74, s75
	s_mov_b32 s76, -1
	s_or_b32 s72, s72, exec_lo
	s_and_saveexec_b32 s75, s74
	s_cbranch_execz .LBB4_4742
.LBB4_4746:                             ;   in Loop: Header=BB4_4743 Depth=3
	s_sleep 1
	s_trap 2
	ds_read_b64 v[4:5], v0
	s_waitcnt lgkmcnt(0)
	buffer_gl0_inv
	s_andn2_b32 s72, s72, exec_lo
	v_cmp_ge_u64_e32 vcc_lo, v[4:5], v[28:29]
	s_orn2_b32 s76, vcc_lo, exec_lo
	s_branch .LBB4_4742
.LBB4_4747:                             ;   in Loop: Header=BB4_4707 Depth=2
	s_inst_prefetch 0x2
	s_or_b32 exec_lo, exec_lo, s22
	s_and_saveexec_b32 s22, s23
	s_xor_b32 s22, exec_lo, s22
	s_cbranch_execz .LBB4_4749
; %bb.4748:                             ;   in Loop: Header=BB4_4707 Depth=2
	ds_write_b32 v0, v99
	s_trap 2
.LBB4_4749:                             ;   in Loop: Header=BB4_4707 Depth=2
	s_or_b32 exec_lo, exec_lo, s19
	;;#ASMSTART
	s_wakeup
	;;#ASMEND
.LBB4_4750:                             ;   in Loop: Header=BB4_4707 Depth=2
	s_or_b32 exec_lo, exec_lo, s18
.LBB4_4751:                             ;   in Loop: Header=BB4_4707 Depth=2
	s_andn2_saveexec_b32 s17, s17
	s_cbranch_execz .LBB4_4753
; %bb.4752:                             ;   in Loop: Header=BB4_4707 Depth=2
	s_waitcnt vmcnt(0) lgkmcnt(0)
	s_waitcnt_vscnt null, 0x0
	buffer_gl1_inv
	buffer_gl0_inv
	s_barrier
.LBB4_4753:                             ;   in Loop: Header=BB4_4707 Depth=2
	s_or_b32 exec_lo, exec_lo, s17
.LBB4_4754:                             ;   in Loop: Header=BB4_4707 Depth=2
	s_or_b32 exec_lo, exec_lo, s16
	s_trap 2
	ds_read_b32 v1, v0
	v_and_b32_e32 v4, 0x4000, v84
	s_xor_b32 s16, s5, -1
	v_cmp_ne_u32_e32 vcc_lo, 0, v4
	s_and_b32 s17, s16, vcc_lo
	s_and_saveexec_b32 s16, s17
	s_cbranch_execz .LBB4_4773
; %bb.4755:                             ;   in Loop: Header=BB4_4707 Depth=2
	s_and_saveexec_b32 s17, s29
	s_xor_b32 s17, exec_lo, s17
	s_cbranch_execz .LBB4_4770
; %bb.4756:                             ;   in Loop: Header=BB4_4707 Depth=2
	s_and_saveexec_b32 s18, s11
	s_cbranch_execz .LBB4_4769
; %bb.4757:                             ;   in Loop: Header=BB4_4707 Depth=2
	s_mov_b32 s22, exec_lo
	s_mov_b32 s19, exec_lo
	v_mbcnt_lo_u32_b32 v4, s22, 0
	s_waitcnt vmcnt(0) lgkmcnt(0)
	s_waitcnt_vscnt null, 0x0
	buffer_gl1_inv
	buffer_gl0_inv
	v_cmpx_eq_u32_e32 0, v4
	s_cbranch_execz .LBB4_4759
; %bb.4758:                             ;   in Loop: Header=BB4_4707 Depth=2
	s_bcnt1_i32_b32 s22, s22
	v_mov_b32_e32 v5, v2
	v_mov_b32_e32 v4, s22
	ds_add_u64 v0, v[4:5]
	s_trap 2
.LBB4_4759:                             ;   in Loop: Header=BB4_4707 Depth=2
	s_or_b32 exec_lo, exec_lo, s19
	s_trap 2
	ds_read_b64 v[4:5], v0
	s_waitcnt lgkmcnt(0)
	buffer_gl0_inv
	v_add_co_u32 v28, vcc_lo, v28, v87
	v_add_co_ci_u32_e64 v29, null, 0, v29, vcc_lo
	s_mov_b32 s19, exec_lo
	v_cmpx_lt_u64_e64 v[4:5], v[28:29]
	s_cbranch_execz .LBB4_4768
; %bb.4760:                             ;   in Loop: Header=BB4_4707 Depth=2
	s_mov_b32 s22, 0
	s_mov_b32 s73, 0
                                        ; implicit-def: $sgpr23
                                        ; implicit-def: $sgpr72
	s_inst_prefetch 0x1
	s_branch .LBB4_4762
	.p2align	6
.LBB4_4761:                             ;   in Loop: Header=BB4_4762 Depth=3
	s_or_b32 exec_lo, exec_lo, s75
	s_and_b32 s74, exec_lo, s76
	s_or_b32 s22, s74, s22
	s_andn2_b32 s23, s23, exec_lo
	s_and_b32 s74, s72, exec_lo
	s_or_b32 s23, s23, s74
	s_andn2_b32 exec_lo, exec_lo, s22
	s_cbranch_execz .LBB4_4766
.LBB4_4762:                             ;   Parent Loop BB4_47 Depth=1
                                        ;     Parent Loop BB4_4707 Depth=2
                                        ; =>    This Inner Loop Header: Depth=3
	s_add_i32 s73, s73, 1
	s_cmpk_lg_i32 s73, 0x2710
	s_cselect_b32 s74, -1, 0
	s_and_b32 vcc_lo, exec_lo, s74
	s_cbranch_vccz .LBB4_4764
; %bb.4763:                             ;   in Loop: Header=BB4_4762 Depth=3
	s_mov_b32 s76, -1
	s_or_b32 s72, s72, exec_lo
	s_and_saveexec_b32 s75, s74
	s_cbranch_execz .LBB4_4761
	s_branch .LBB4_4765
	.p2align	6
.LBB4_4764:                             ;   in Loop: Header=BB4_4762 Depth=3
	s_trap 2
	ds_read_b64 v[4:5], v0
	s_andn2_b32 s74, s74, exec_lo
	s_mov_b32 s73, 0
	s_waitcnt lgkmcnt(0)
	flat_load_dword v4, v[4:5] glc dlc
	s_waitcnt vmcnt(0) lgkmcnt(0)
	buffer_gl1_inv
	buffer_gl0_inv
	v_cmp_eq_u32_e32 vcc_lo, 0, v4
	s_and_b32 s75, vcc_lo, exec_lo
	s_or_b32 s74, s74, s75
	s_mov_b32 s76, -1
	s_or_b32 s72, s72, exec_lo
	s_and_saveexec_b32 s75, s74
	s_cbranch_execz .LBB4_4761
.LBB4_4765:                             ;   in Loop: Header=BB4_4762 Depth=3
	s_sleep 1
	s_trap 2
	ds_read_b64 v[4:5], v0
	s_waitcnt lgkmcnt(0)
	buffer_gl0_inv
	s_andn2_b32 s72, s72, exec_lo
	v_cmp_ge_u64_e32 vcc_lo, v[4:5], v[28:29]
	s_orn2_b32 s76, vcc_lo, exec_lo
	s_branch .LBB4_4761
.LBB4_4766:                             ;   in Loop: Header=BB4_4707 Depth=2
	s_inst_prefetch 0x2
	s_or_b32 exec_lo, exec_lo, s22
	s_and_saveexec_b32 s22, s23
	s_xor_b32 s22, exec_lo, s22
	s_cbranch_execz .LBB4_4768
; %bb.4767:                             ;   in Loop: Header=BB4_4707 Depth=2
	ds_write_b32 v0, v99
	s_trap 2
.LBB4_4768:                             ;   in Loop: Header=BB4_4707 Depth=2
	s_or_b32 exec_lo, exec_lo, s19
	;;#ASMSTART
	s_wakeup
	;;#ASMEND
.LBB4_4769:                             ;   in Loop: Header=BB4_4707 Depth=2
	s_or_b32 exec_lo, exec_lo, s18
.LBB4_4770:                             ;   in Loop: Header=BB4_4707 Depth=2
	s_andn2_saveexec_b32 s17, s17
	s_cbranch_execz .LBB4_4772
; %bb.4771:                             ;   in Loop: Header=BB4_4707 Depth=2
	s_waitcnt vmcnt(0) lgkmcnt(0)
	s_waitcnt_vscnt null, 0x0
	buffer_gl1_inv
	buffer_gl0_inv
	s_barrier
.LBB4_4772:                             ;   in Loop: Header=BB4_4707 Depth=2
	s_or_b32 exec_lo, exec_lo, s17
.LBB4_4773:                             ;   in Loop: Header=BB4_4707 Depth=2
	s_or_b32 exec_lo, exec_lo, s16
	s_trap 2
	ds_read_b64 v[53:54], v0
	s_waitcnt lgkmcnt(0)
	v_cmp_eq_u64_e32 vcc_lo, 0, v[53:54]
	s_cbranch_vccnz .LBB4_4782
; %bb.4774:                             ;   in Loop: Header=BB4_4707 Depth=2
	s_trap 2
	ds_read_b64 v[64:65], v0
	s_waitcnt lgkmcnt(0)
	v_cmp_eq_u64_e32 vcc_lo, 0, v[64:65]
	s_cbranch_vccnz .LBB4_4782
; %bb.4775:                             ;   in Loop: Header=BB4_4707 Depth=2
	s_trap 2
	ds_read_b64 v[66:67], v0
	v_cmp_eq_u32_e64 s16, 0, v1
	v_cndmask_b32_e64 v61, 0, v52, s16
	s_mov_b32 s16, -1
	s_waitcnt lgkmcnt(0)
	v_cmp_ne_u64_e32 vcc_lo, 0, v[66:67]
	s_cbranch_vccz .LBB4_7443
; %bb.4776:                             ;   in Loop: Header=BB4_4707 Depth=2
	s_and_saveexec_b32 s17, s14
	s_cbranch_execz .LBB4_4778
; %bb.4777:                             ;   in Loop: Header=BB4_4707 Depth=2
	ds_read_b32 v1, v0 offset:720
	s_waitcnt lgkmcnt(0)
	v_and_b32_e32 v1, 15, v1
	v_cmp_eq_u32_e32 vcc_lo, 0, v1
	s_orn2_b32 s16, vcc_lo, exec_lo
.LBB4_4778:                             ;   in Loop: Header=BB4_4707 Depth=2
	s_or_b32 exec_lo, exec_lo, s17
	s_and_saveexec_b32 s17, s14
	s_cbranch_execz .LBB4_4780
; %bb.4779:                             ;   in Loop: Header=BB4_4707 Depth=2
	ds_read_b32 v1, v0 offset:784
	s_waitcnt lgkmcnt(0)
	v_and_b32_e32 v1, 15, v1
	v_cmp_eq_u32_e32 vcc_lo, 0, v1
	s_and_b32 s18, s16, vcc_lo
	s_andn2_b32 s16, s16, exec_lo
	s_and_b32 s18, s18, exec_lo
	s_or_b32 s16, s16, s18
.LBB4_4780:                             ;   in Loop: Header=BB4_4707 Depth=2
	s_or_b32 exec_lo, exec_lo, s17
	s_xor_b32 s16, s16, -1
	v_mov_b32_e32 v68, 0
	v_cndmask_b32_e64 v1, 0, 1, s16
	v_mov_b32_e32 v69, v61
	v_mov_b32_e32 v70, v0
	s_mov_b32 s16, -1
	v_cmp_ne_u32_e32 vcc_lo, 0, v1
	s_cbranch_vccz .LBB4_4787
; %bb.4781:                             ;   in Loop: Header=BB4_4707 Depth=2
	s_and_saveexec_b32 s22, s16
	s_cbranch_execz .LBB4_7442
	s_branch .LBB4_6736
.LBB4_4782:                             ;   in Loop: Header=BB4_4707 Depth=2
	s_mov_b32 s16, 0
	s_and_saveexec_b32 s17, s6
	s_cbranch_execz .LBB4_4783
; %bb.10737:                            ;   in Loop: Header=BB4_4707 Depth=2
	s_getpc_b64 s[34:35]
.Lpost_getpc12:
	s_add_u32 s34, s34, (.LBB4_10103-.Lpost_getpc12)&4294967295
	s_addc_u32 s35, s35, (.LBB4_10103-.Lpost_getpc12)>>32
	s_setpc_b64 s[34:35]
.LBB4_4783:                             ;   in Loop: Header=BB4_4707 Depth=2
	s_or_b32 exec_lo, exec_lo, s17
                                        ; implicit-def: $vgpr1
	s_and_saveexec_b32 s17, s15
	s_xor_b32 s17, exec_lo, s17
	s_cbranch_execnz .LBB4_4784
; %bb.10739:                            ;   in Loop: Header=BB4_4707 Depth=2
	s_getpc_b64 s[34:35]
.Lpost_getpc13:
	s_add_u32 s34, s34, (.LBB4_10121-.Lpost_getpc13)&4294967295
	s_addc_u32 s35, s35, (.LBB4_10121-.Lpost_getpc13)>>32
	s_setpc_b64 s[34:35]
.LBB4_4784:                             ;   in Loop: Header=BB4_4707 Depth=2
	v_and_b32_e32 v1, 16, v84
	v_cmp_ne_u32_e32 vcc_lo, 0, v1
	v_and_b32_e32 v1, 16, v84
	s_and_b32 s18, vcc_lo, s16
	s_and_saveexec_b32 s16, s18
	s_cbranch_execz .LBB4_4786
; %bb.4785:                             ;   in Loop: Header=BB4_4707 Depth=2
	v_mov_b32_e32 v1, 1
	s_waitcnt vmcnt(0) lgkmcnt(0)
	s_waitcnt_vscnt null, 0x0
	buffer_gl1_inv
	buffer_gl0_inv
.LBB4_4786:                             ;   in Loop: Header=BB4_4707 Depth=2
	s_or_b32 exec_lo, exec_lo, s16
	s_andn2_saveexec_b32 s16, s17
	s_cbranch_execnz .LBB4_10723
; %bb.10741:                            ;   in Loop: Header=BB4_4707 Depth=2
	s_getpc_b64 s[34:35]
.Lpost_getpc14:
	s_add_u32 s34, s34, (.LBB4_10140-.Lpost_getpc14)&4294967295
	s_addc_u32 s35, s35, (.LBB4_10140-.Lpost_getpc14)>>32
	s_setpc_b64 s[34:35]
.LBB4_10723:                            ;   in Loop: Header=BB4_4707 Depth=2
	s_getpc_b64 s[34:35]
.Lpost_getpc5:
	s_add_u32 s34, s34, (.LBB4_10122-.Lpost_getpc5)&4294967295
	s_addc_u32 s35, s35, (.LBB4_10122-.Lpost_getpc5)>>32
	s_setpc_b64 s[34:35]
.LBB4_4787:                             ;   in Loop: Header=BB4_4707 Depth=2
	v_ashrrev_i32_e32 v1, 31, v61
	s_mov_b32 s17, exec_lo
	v_lshrrev_b32_e32 v1, 22, v1
	v_add_nc_u32_e32 v1, v61, v1
	v_ashrrev_i32_e32 v63, 10, v1
	v_lshrrev_b32_e32 v1, 5, v0
	v_sub_nc_u32_e32 v62, v63, v1
	v_cmpx_lt_i32_e32 0, v62
	s_cbranch_execz .LBB4_6079
; %bb.4788:                             ;   in Loop: Header=BB4_4707 Depth=2
	s_trap 2
	buffer_load_dword v1, off, s[0:3], s33 offset:196 ; 4-byte Folded Reload
	ds_read_b64 v[4:5], v0
	s_waitcnt lgkmcnt(0)
	v_readfirstlane_b32 s16, v4
	s_and_b32 s18, s16, 3
	s_bfe_u32 s23, s16, 0x50002
	s_flbit_i32_b32 s19, s18
	s_min_u32 s19, s19, 32
	s_sub_i32 s22, s19, 29
	s_sub_i32 s19, 30, s19
	s_lshl_b32 s22, s16, s22
	s_and_b32 s22, s22, 3
	s_cmp_eq_u32 s23, 0
	s_cselect_b32 s19, s19, s23
	s_cselect_b32 s18, s22, s18
	s_lshl_b32 s22, s16, 24
	s_lshl_b32 s19, s19, 23
	s_and_b32 s22, s22, 0x80000000
	s_add_i32 s19, s19, 0x37800000
	s_lshl_b32 s23, s18, 21
	s_or_b32 s19, s22, s19
	s_mov_b32 s18, 0
	s_or_b32 s19, s19, s23
	s_and_b32 s22, s16, 0xff
	s_waitcnt vmcnt(0)
	v_add_co_u32 v68, vcc_lo, v64, v1
	v_add_co_ci_u32_e64 v69, null, 0, v65, vcc_lo
	v_add_co_u32 v70, vcc_lo, v66, v1
	v_add_co_ci_u32_e64 v71, null, 0, v67, vcc_lo
	;; [unrolled: 2-line block ×4, first 2 shown]
	s_branch .LBB4_4792
.LBB4_4789:                             ;   in Loop: Header=BB4_4792 Depth=3
	s_or_b32 exec_lo, exec_lo, s16
	v_lshrrev_b32_e32 v50, 21, v97
	v_min_i32_e32 v51, 31, v96
	v_cmp_gt_i32_e32 vcc_lo, 32, v96
	v_and_b32_sdwa v11, v11, v101 dst_sel:DWORD dst_unused:UNUSED_PAD src0_sel:BYTE_3 src1_sel:DWORD
	v_lshlrev_b32_e32 v51, 2, v51
	v_cndmask_b32_e32 v50, 3, v50, vcc_lo
	v_and_b32_e32 v51, 0xfc, v51
	v_and_b32_e32 v97, 3, v50
	v_or_b32_e32 v50, v96, v50
	v_or3_b32 v11, v11, v51, v97
	v_cmp_ne_u32_e32 vcc_lo, 0, v50
	v_lshlrev_b32_e32 v11, 8, v11
	v_cndmask_b32_e32 v50, 0, v11, vcc_lo
.LBB4_4790:                             ;   in Loop: Header=BB4_4792 Depth=3
	s_or_b32 exec_lo, exec_lo, s72
.LBB4_4791:                             ;   in Loop: Header=BB4_4792 Depth=3
	s_or_b32 exec_lo, exec_lo, s23
	v_or_b32_sdwa v11, v13, v107 dst_sel:WORD_1 dst_unused:UNUSED_PAD src0_sel:DWORD src1_sel:DWORD
	v_or_b32_sdwa v13, v12, v88 dst_sel:WORD_1 dst_unused:UNUSED_PAD src0_sel:DWORD src1_sel:DWORD
	;; [unrolled: 1-line block ×5, first 2 shown]
	v_or3_b32 v12, v104, v93, v11
	v_or3_b32 v11, v76, v72, v13
	;; [unrolled: 1-line block ×3, first 2 shown]
	v_or_b32_sdwa v14, v15, v30 dst_sel:WORD_1 dst_unused:UNUSED_PAD src0_sel:DWORD src1_sel:DWORD
	v_or_b32_sdwa v1, v1, v31 dst_sel:WORD_1 dst_unused:UNUSED_PAD src0_sel:DWORD src1_sel:DWORD
	;; [unrolled: 1-line block ×3, first 2 shown]
	v_or3_b32 v17, v17, v16, v8
	v_add_co_u32 v80, vcc_lo, v80, v118
	v_or3_b32 v14, v19, v18, v14
	v_or3_b32 v18, v4, v21, v5
	;; [unrolled: 1-line block ×4, first 2 shown]
	v_sub_nc_u32_e32 v62, v62, v87
	v_add_co_ci_u32_e64 v81, null, 0, v81, vcc_lo
	v_add_co_u32 v82, vcc_lo, v82, v118
	global_store_dwordx4 v[68:69], v[11:14], off glc slc
	global_store_dwordx4 v[68:69], v[17:20], off offset:512 glc slc
	global_store_dwordx4 v[70:71], v[11:14], off glc slc
	global_store_dwordx4 v[70:71], v[17:20], off offset:512 glc slc
	v_add_co_ci_u32_e64 v83, null, 0, v83, vcc_lo
	v_add_co_u32 v68, vcc_lo, v68, v118
	v_add_co_ci_u32_e64 v69, null, 0, v69, vcc_lo
	v_cmp_gt_i32_e32 vcc_lo, 1, v62
	v_add_co_u32 v70, s16, v70, v118
	v_add_co_ci_u32_e64 v71, null, 0, v71, s16
	s_or_b32 s18, vcc_lo, s18
	s_andn2_b32 exec_lo, exec_lo, s18
	s_cbranch_execz .LBB4_6078
.LBB4_4792:                             ;   Parent Loop BB4_47 Depth=1
                                        ;     Parent Loop BB4_4707 Depth=2
                                        ; =>    This Inner Loop Header: Depth=3
	s_cmpk_lt_i32 s22, 0x80
	s_cbranch_scc1 .LBB4_4796
; %bb.4793:                             ;   in Loop: Header=BB4_4792 Depth=3
	s_and_b32 s16, 0xffff, s22
	s_cmpk_eq_i32 s16, 0x80
	s_mov_b32 s16, -1
	s_cbranch_scc0 .LBB4_4795
; %bb.4794:                             ;   in Loop: Header=BB4_4792 Depth=3
	s_mov_b32 s16, 0
.LBB4_4795:                             ;   in Loop: Header=BB4_4792 Depth=3
	s_mov_b32 s23, 0x7f800001
	s_branch .LBB4_4798
.LBB4_4796:                             ;   in Loop: Header=BB4_4792 Depth=3
	s_mov_b32 s16, 0
	s_mov_b32 s23, 0x7f800001
	s_cbranch_execz .LBB4_4798
; %bb.4797:                             ;   in Loop: Header=BB4_4792 Depth=3
	s_and_b32 s16, 0xffff, s22
	s_mov_b32 s23, 0
	s_cmp_lg_u32 s16, 0
	s_cselect_b32 s16, -1, 0
.LBB4_4798:                             ;   in Loop: Header=BB4_4792 Depth=3
	s_andn2_b32 vcc_lo, exec_lo, s16
	s_cbranch_vccnz .LBB4_4800
; %bb.4799:                             ;   in Loop: Header=BB4_4792 Depth=3
	s_mov_b32 s23, s19
.LBB4_4800:                             ;   in Loop: Header=BB4_4792 Depth=3
	global_load_dwordx4 v[8:11], v[80:81], off slc
	s_mov_b32 s16, 0
	s_waitcnt vmcnt(0)
	v_cmp_gt_i16_sdwa s72, v8, v100 src0_sel:BYTE_0 src1_sel:DWORD
	s_and_saveexec_b32 s73, s72
	s_xor_b32 s72, exec_lo, s73
	s_cbranch_execz .LBB4_5886
; %bb.4801:                             ;   in Loop: Header=BB4_4792 Depth=3
	v_cmp_eq_u16_sdwa s74, v8, v101 src0_sel:BYTE_0 src1_sel:DWORD
	s_mov_b32 s16, -1
	s_and_saveexec_b32 s73, s74
; %bb.4802:                             ;   in Loop: Header=BB4_4792 Depth=3
	s_xor_b32 s16, exec_lo, -1
; %bb.4803:                             ;   in Loop: Header=BB4_4792 Depth=3
	s_or_b32 exec_lo, exec_lo, s73
	s_and_b32 s16, s16, exec_lo
	s_or_saveexec_b32 s72, s72
	v_mov_b32_e32 v1, 0x7f800001
	s_xor_b32 exec_lo, exec_lo, s72
	s_cbranch_execnz .LBB4_5887
.LBB4_4804:                             ;   in Loop: Header=BB4_4792 Depth=3
	s_or_b32 exec_lo, exec_lo, s72
	s_and_saveexec_b32 s72, s16
	s_cbranch_execz .LBB4_4806
.LBB4_4805:                             ;   in Loop: Header=BB4_4792 Depth=3
	v_and_b32_e32 v1, 3, v8
	v_bfe_u32 v12, v8, 2, 5
	v_lshlrev_b32_e32 v13, 24, v8
	v_ffbh_u32_e32 v4, v1
	v_cmp_eq_u32_e32 vcc_lo, 0, v12
	v_min_u32_e32 v4, 32, v4
	v_subrev_nc_u32_e32 v5, 29, v4
	v_sub_nc_u32_e32 v4, 30, v4
	v_lshlrev_b32_e32 v5, v5, v8
	v_cndmask_b32_e32 v4, v12, v4, vcc_lo
	v_and_b32_e32 v5, 3, v5
	v_lshl_add_u32 v4, v4, 23, 0x37800000
	v_cndmask_b32_e32 v1, v1, v5, vcc_lo
	v_and_b32_e32 v5, 0x80000000, v13
	v_lshlrev_b32_e32 v1, 21, v1
	v_or3_b32 v1, v5, v4, v1
.LBB4_4806:                             ;   in Loop: Header=BB4_4792 Depth=3
	s_or_b32 exec_lo, exec_lo, s72
	v_mul_f32_e32 v1, s23, v1
	v_mov_b32_e32 v12, 0x80
	s_mov_b32 s72, exec_lo
	v_and_b32_e32 v4, 0x7f800000, v1
	v_cmpx_ne_u32_e32 0x7f800000, v4
	s_cbranch_execz .LBB4_4814
; %bb.4807:                             ;   in Loop: Header=BB4_4792 Depth=3
	v_mov_b32_e32 v12, 0
	s_mov_b32 s73, exec_lo
	v_cmpx_ne_u32_e32 0, v1
	s_cbranch_execz .LBB4_4813
; %bb.4808:                             ;   in Loop: Header=BB4_4792 Depth=3
	v_bfe_u32 v4, v1, 23, 8
	v_and_b32_e32 v5, 0x7fffff, v1
	v_sub_nc_u32_e32 v12, 0x70, v4
	v_cmp_gt_u32_e32 vcc_lo, 0x71, v4
	v_or_b32_e32 v13, 0x800000, v5
	v_cndmask_b32_e32 v12, 0, v12, vcc_lo
	v_cmp_eq_u32_e32 vcc_lo, 0, v4
	v_add_nc_u32_e32 v4, 0xffffff91, v4
	v_cndmask_b32_e64 v12, v12, 0x6f, vcc_lo
	v_cndmask_b32_e32 v5, v13, v5, vcc_lo
	v_cndmask_b32_e64 v4, v4, 0xffffff92, vcc_lo
	v_lshl_add_u32 v13, 0x200000, v12, -1
	v_lshrrev_b32_e32 v14, v12, v5
	v_lshlrev_b32_e64 v16, v12, 0x100000
	v_add_nc_u32_e32 v12, v12, v4
	v_and_b32_e32 v5, v13, v5
	v_bfe_u32 v15, v14, 21, 1
	v_cmp_eq_u32_e64 s16, v5, v16
	v_add_nc_u32_e32 v13, -1, v15
	v_cndmask_b32_e64 v5, 0, v13, s16
	v_lshrrev_b32_e32 v13, 23, v14
	s_mov_b32 s16, exec_lo
	v_add_nc_u32_e32 v5, v5, v14
	v_xor_b32_e32 v13, 1, v13
	v_and_b32_e32 v4, 0x1fffff, v5
	v_add_nc_u32_e32 v5, v4, v14
                                        ; implicit-def: $vgpr4
	v_cmpx_ne_u32_e64 v12, v13
	s_xor_b32 s16, exec_lo, s16
; %bb.4809:                             ;   in Loop: Header=BB4_4792 Depth=3
	v_cmp_lt_u32_e32 vcc_lo, 0xffffff, v5
	v_sub_nc_u32_e32 v4, v12, v13
	v_cndmask_b32_e64 v12, 0, 1, vcc_lo
	v_add_co_ci_u32_e64 v4, null, 0, v4, vcc_lo
	v_lshrrev_b32_e32 v5, v12, v5
; %bb.4810:                             ;   in Loop: Header=BB4_4792 Depth=3
	s_andn2_saveexec_b32 s16, s16
; %bb.4811:                             ;   in Loop: Header=BB4_4792 Depth=3
	v_bfe_u32 v4, v5, 23, 1
; %bb.4812:                             ;   in Loop: Header=BB4_4792 Depth=3
	s_or_b32 exec_lo, exec_lo, s16
	v_lshrrev_b32_e32 v5, 21, v5
	v_min_i32_e32 v12, 31, v4
	v_cmp_gt_i32_e32 vcc_lo, 32, v4
	v_and_b32_sdwa v1, v1, v101 dst_sel:DWORD dst_unused:UNUSED_PAD src0_sel:BYTE_3 src1_sel:DWORD
	v_lshlrev_b32_e32 v12, 2, v12
	v_cndmask_b32_e32 v5, 3, v5, vcc_lo
	v_and_b32_e32 v12, 0xfc, v12
	v_and_b32_e32 v13, 3, v5
	v_or_b32_e32 v4, v4, v5
	v_or3_b32 v1, v12, v1, v13
	v_cmp_ne_u32_e32 vcc_lo, 0, v4
	v_cndmask_b32_e32 v12, 0, v1, vcc_lo
.LBB4_4813:                             ;   in Loop: Header=BB4_4792 Depth=3
	s_or_b32 exec_lo, exec_lo, s73
.LBB4_4814:                             ;   in Loop: Header=BB4_4792 Depth=3
	s_or_b32 exec_lo, exec_lo, s72
	v_cmp_gt_i16_sdwa s72, v8, v100 src0_sel:BYTE_1 src1_sel:DWORD
	s_mov_b32 s16, 0
	s_and_saveexec_b32 s73, s72
	s_xor_b32 s72, exec_lo, s73
	s_cbranch_execz .LBB4_5888
; %bb.4815:                             ;   in Loop: Header=BB4_4792 Depth=3
	v_cmp_eq_u16_sdwa s74, v8, v101 src0_sel:BYTE_1 src1_sel:DWORD
	s_mov_b32 s16, -1
	s_and_saveexec_b32 s73, s74
; %bb.4816:                             ;   in Loop: Header=BB4_4792 Depth=3
	s_xor_b32 s16, exec_lo, -1
; %bb.4817:                             ;   in Loop: Header=BB4_4792 Depth=3
	s_or_b32 exec_lo, exec_lo, s73
	s_and_b32 s16, s16, exec_lo
	s_or_saveexec_b32 s72, s72
	v_mov_b32_e32 v1, 0x7f800001
	s_xor_b32 exec_lo, exec_lo, s72
	s_cbranch_execnz .LBB4_5889
.LBB4_4818:                             ;   in Loop: Header=BB4_4792 Depth=3
	s_or_b32 exec_lo, exec_lo, s72
	s_and_saveexec_b32 s72, s16
	s_cbranch_execz .LBB4_4820
.LBB4_4819:                             ;   in Loop: Header=BB4_4792 Depth=3
	v_and_b32_sdwa v1, v102, v8 dst_sel:DWORD dst_unused:UNUSED_PAD src0_sel:DWORD src1_sel:BYTE_1
	v_and_b32_e32 v4, 3, v1
	v_bfe_u32 v14, v1, 2, 5
	v_ffbh_u32_e32 v5, v4
	v_cmp_eq_u32_e32 vcc_lo, 0, v14
	v_min_u32_e32 v5, 32, v5
	v_subrev_nc_u32_e32 v13, 29, v5
	v_sub_nc_u32_e32 v5, 30, v5
	v_lshlrev_b32_e32 v1, v13, v1
	v_lshlrev_b32_sdwa v13, v103, v8 dst_sel:DWORD dst_unused:UNUSED_PAD src0_sel:DWORD src1_sel:BYTE_1
	v_cndmask_b32_e32 v5, v14, v5, vcc_lo
	v_and_b32_e32 v1, 3, v1
	v_lshl_add_u32 v5, v5, 23, 0x37800000
	v_cndmask_b32_e32 v1, v4, v1, vcc_lo
	v_and_b32_e32 v4, 0x80000000, v13
	v_lshlrev_b32_e32 v1, 21, v1
	v_or3_b32 v1, v4, v5, v1
.LBB4_4820:                             ;   in Loop: Header=BB4_4792 Depth=3
	s_or_b32 exec_lo, exec_lo, s72
	v_mul_f32_e32 v1, s23, v1
	v_mov_b32_e32 v13, 0x8000
	s_mov_b32 s72, exec_lo
	v_and_b32_e32 v4, 0x7f800000, v1
	v_cmpx_ne_u32_e32 0x7f800000, v4
	s_cbranch_execz .LBB4_4828
; %bb.4821:                             ;   in Loop: Header=BB4_4792 Depth=3
	v_mov_b32_e32 v13, 0
	s_mov_b32 s73, exec_lo
	v_cmpx_ne_u32_e32 0, v1
	s_cbranch_execz .LBB4_4827
; %bb.4822:                             ;   in Loop: Header=BB4_4792 Depth=3
	v_bfe_u32 v4, v1, 23, 8
	v_and_b32_e32 v5, 0x7fffff, v1
	v_sub_nc_u32_e32 v13, 0x70, v4
	v_cmp_gt_u32_e32 vcc_lo, 0x71, v4
	v_or_b32_e32 v14, 0x800000, v5
	v_cndmask_b32_e32 v13, 0, v13, vcc_lo
	v_cmp_eq_u32_e32 vcc_lo, 0, v4
	v_add_nc_u32_e32 v4, 0xffffff91, v4
	v_cndmask_b32_e64 v13, v13, 0x6f, vcc_lo
	v_cndmask_b32_e32 v5, v14, v5, vcc_lo
	v_cndmask_b32_e64 v4, v4, 0xffffff92, vcc_lo
	v_lshl_add_u32 v14, 0x200000, v13, -1
	v_lshrrev_b32_e32 v15, v13, v5
	v_lshlrev_b32_e64 v17, v13, 0x100000
	v_add_nc_u32_e32 v13, v13, v4
	v_and_b32_e32 v5, v14, v5
	v_bfe_u32 v16, v15, 21, 1
	v_cmp_eq_u32_e64 s16, v5, v17
	v_add_nc_u32_e32 v14, -1, v16
	v_cndmask_b32_e64 v5, 0, v14, s16
	v_lshrrev_b32_e32 v14, 23, v15
	s_mov_b32 s16, exec_lo
	v_add_nc_u32_e32 v5, v5, v15
	v_xor_b32_e32 v14, 1, v14
	v_and_b32_e32 v4, 0x1fffff, v5
	v_add_nc_u32_e32 v5, v4, v15
                                        ; implicit-def: $vgpr4
	v_cmpx_ne_u32_e64 v13, v14
	s_xor_b32 s16, exec_lo, s16
; %bb.4823:                             ;   in Loop: Header=BB4_4792 Depth=3
	v_cmp_lt_u32_e32 vcc_lo, 0xffffff, v5
	v_sub_nc_u32_e32 v4, v13, v14
	v_cndmask_b32_e64 v13, 0, 1, vcc_lo
	v_add_co_ci_u32_e64 v4, null, 0, v4, vcc_lo
	v_lshrrev_b32_e32 v5, v13, v5
; %bb.4824:                             ;   in Loop: Header=BB4_4792 Depth=3
	s_andn2_saveexec_b32 s16, s16
; %bb.4825:                             ;   in Loop: Header=BB4_4792 Depth=3
	v_bfe_u32 v4, v5, 23, 1
; %bb.4826:                             ;   in Loop: Header=BB4_4792 Depth=3
	s_or_b32 exec_lo, exec_lo, s16
	v_lshrrev_b32_e32 v5, 21, v5
	v_min_i32_e32 v13, 31, v4
	v_cmp_gt_i32_e32 vcc_lo, 32, v4
	v_and_b32_sdwa v1, v1, v101 dst_sel:DWORD dst_unused:UNUSED_PAD src0_sel:BYTE_3 src1_sel:DWORD
	v_lshlrev_b32_e32 v13, 2, v13
	v_cndmask_b32_e32 v5, 3, v5, vcc_lo
	v_and_b32_e32 v13, 0xfc, v13
	v_and_b32_e32 v14, 3, v5
	v_or_b32_e32 v4, v4, v5
	v_or3_b32 v1, v1, v13, v14
	v_cmp_ne_u32_e32 vcc_lo, 0, v4
	v_lshlrev_b32_e32 v1, 8, v1
	v_cndmask_b32_e32 v13, 0, v1, vcc_lo
.LBB4_4827:                             ;   in Loop: Header=BB4_4792 Depth=3
	s_or_b32 exec_lo, exec_lo, s73
.LBB4_4828:                             ;   in Loop: Header=BB4_4792 Depth=3
	s_or_b32 exec_lo, exec_lo, s72
	v_and_b32_sdwa v4, v8, v112 dst_sel:DWORD dst_unused:UNUSED_PAD src0_sel:WORD_1 src1_sel:DWORD
	s_mov_b32 s16, 0
	s_mov_b32 s72, exec_lo
	v_cmpx_lt_i16_e32 0x7f, v4
	s_xor_b32 s72, exec_lo, s72
	s_cbranch_execz .LBB4_5890
; %bb.4829:                             ;   in Loop: Header=BB4_4792 Depth=3
	s_mov_b32 s16, -1
	s_mov_b32 s73, exec_lo
	v_cmpx_eq_u16_e32 0x80, v4
; %bb.4830:                             ;   in Loop: Header=BB4_4792 Depth=3
	s_xor_b32 s16, exec_lo, -1
; %bb.4831:                             ;   in Loop: Header=BB4_4792 Depth=3
	s_or_b32 exec_lo, exec_lo, s73
	s_and_b32 s16, s16, exec_lo
                                        ; implicit-def: $vgpr4
	s_or_saveexec_b32 s72, s72
	v_mov_b32_e32 v1, 0x7f800001
	s_xor_b32 exec_lo, exec_lo, s72
	s_cbranch_execnz .LBB4_5891
.LBB4_4832:                             ;   in Loop: Header=BB4_4792 Depth=3
	s_or_b32 exec_lo, exec_lo, s72
	s_and_saveexec_b32 s72, s16
	s_cbranch_execz .LBB4_4834
.LBB4_4833:                             ;   in Loop: Header=BB4_4792 Depth=3
	v_bfe_u32 v1, v8, 16, 2
	v_bfe_u32 v14, v8, 18, 5
	v_lshlrev_b32_e32 v15, 8, v8
	v_ffbh_u32_e32 v4, v1
	v_cmp_eq_u32_e32 vcc_lo, 0, v14
	v_min_u32_e32 v4, 32, v4
	v_subrev_nc_u32_e32 v5, 29, v4
	v_sub_nc_u32_e32 v4, 30, v4
	v_lshlrev_b32_sdwa v5, v5, v8 dst_sel:DWORD dst_unused:UNUSED_PAD src0_sel:DWORD src1_sel:WORD_1
	v_cndmask_b32_e32 v4, v14, v4, vcc_lo
	v_and_b32_e32 v5, 3, v5
	v_lshl_add_u32 v4, v4, 23, 0x37800000
	v_cndmask_b32_e32 v1, v1, v5, vcc_lo
	v_and_b32_e32 v5, 0x80000000, v15
	v_lshlrev_b32_e32 v1, 21, v1
	v_or3_b32 v1, v5, v4, v1
.LBB4_4834:                             ;   in Loop: Header=BB4_4792 Depth=3
	s_or_b32 exec_lo, exec_lo, s72
	v_mul_f32_e32 v1, s23, v1
	v_mov_b32_e32 v19, 0x80
	s_mov_b32 s72, exec_lo
	v_and_b32_e32 v4, 0x7f800000, v1
	v_cmpx_ne_u32_e32 0x7f800000, v4
	s_cbranch_execz .LBB4_4842
; %bb.4835:                             ;   in Loop: Header=BB4_4792 Depth=3
	v_mov_b32_e32 v19, 0
	s_mov_b32 s73, exec_lo
	v_cmpx_ne_u32_e32 0, v1
	s_cbranch_execz .LBB4_4841
; %bb.4836:                             ;   in Loop: Header=BB4_4792 Depth=3
	v_bfe_u32 v4, v1, 23, 8
	v_and_b32_e32 v5, 0x7fffff, v1
	v_sub_nc_u32_e32 v14, 0x70, v4
	v_cmp_gt_u32_e32 vcc_lo, 0x71, v4
	v_or_b32_e32 v15, 0x800000, v5
	v_cndmask_b32_e32 v14, 0, v14, vcc_lo
	v_cmp_eq_u32_e32 vcc_lo, 0, v4
	v_add_nc_u32_e32 v4, 0xffffff91, v4
	v_cndmask_b32_e64 v14, v14, 0x6f, vcc_lo
	v_cndmask_b32_e32 v5, v15, v5, vcc_lo
	v_cndmask_b32_e64 v4, v4, 0xffffff92, vcc_lo
	v_lshl_add_u32 v15, 0x200000, v14, -1
	v_lshrrev_b32_e32 v16, v14, v5
	v_lshlrev_b32_e64 v18, v14, 0x100000
	v_add_nc_u32_e32 v14, v14, v4
	v_and_b32_e32 v5, v15, v5
	v_bfe_u32 v17, v16, 21, 1
	v_cmp_eq_u32_e64 s16, v5, v18
	v_add_nc_u32_e32 v15, -1, v17
	v_cndmask_b32_e64 v5, 0, v15, s16
	v_lshrrev_b32_e32 v15, 23, v16
	s_mov_b32 s16, exec_lo
	v_add_nc_u32_e32 v5, v5, v16
	v_xor_b32_e32 v15, 1, v15
	v_and_b32_e32 v4, 0x1fffff, v5
	v_add_nc_u32_e32 v5, v4, v16
                                        ; implicit-def: $vgpr4
	v_cmpx_ne_u32_e64 v14, v15
	s_xor_b32 s16, exec_lo, s16
; %bb.4837:                             ;   in Loop: Header=BB4_4792 Depth=3
	v_cmp_lt_u32_e32 vcc_lo, 0xffffff, v5
	v_sub_nc_u32_e32 v4, v14, v15
	v_cndmask_b32_e64 v14, 0, 1, vcc_lo
	v_add_co_ci_u32_e64 v4, null, 0, v4, vcc_lo
	v_lshrrev_b32_e32 v5, v14, v5
; %bb.4838:                             ;   in Loop: Header=BB4_4792 Depth=3
	s_andn2_saveexec_b32 s16, s16
; %bb.4839:                             ;   in Loop: Header=BB4_4792 Depth=3
	v_bfe_u32 v4, v5, 23, 1
; %bb.4840:                             ;   in Loop: Header=BB4_4792 Depth=3
	s_or_b32 exec_lo, exec_lo, s16
	v_lshrrev_b32_e32 v5, 21, v5
	v_min_i32_e32 v14, 31, v4
	v_cmp_gt_i32_e32 vcc_lo, 32, v4
	v_and_b32_sdwa v1, v1, v101 dst_sel:DWORD dst_unused:UNUSED_PAD src0_sel:BYTE_3 src1_sel:DWORD
	v_lshlrev_b32_e32 v14, 2, v14
	v_cndmask_b32_e32 v5, 3, v5, vcc_lo
	v_and_b32_e32 v14, 0xfc, v14
	v_and_b32_e32 v15, 3, v5
	v_or_b32_e32 v4, v4, v5
	v_or3_b32 v1, v14, v1, v15
	v_cmp_ne_u32_e32 vcc_lo, 0, v4
	v_cndmask_b32_e32 v19, 0, v1, vcc_lo
.LBB4_4841:                             ;   in Loop: Header=BB4_4792 Depth=3
	s_or_b32 exec_lo, exec_lo, s73
.LBB4_4842:                             ;   in Loop: Header=BB4_4792 Depth=3
	s_or_b32 exec_lo, exec_lo, s72
	v_cmp_gt_i16_sdwa s72, v8, v100 src0_sel:BYTE_3 src1_sel:DWORD
	s_mov_b32 s16, 0
	s_and_saveexec_b32 s73, s72
	s_xor_b32 s72, exec_lo, s73
	s_cbranch_execz .LBB4_5892
; %bb.4843:                             ;   in Loop: Header=BB4_4792 Depth=3
	v_cmp_eq_u16_sdwa s74, v8, v101 src0_sel:BYTE_3 src1_sel:DWORD
	s_mov_b32 s16, -1
	s_and_saveexec_b32 s73, s74
; %bb.4844:                             ;   in Loop: Header=BB4_4792 Depth=3
	s_xor_b32 s16, exec_lo, -1
; %bb.4845:                             ;   in Loop: Header=BB4_4792 Depth=3
	s_or_b32 exec_lo, exec_lo, s73
	s_and_b32 s16, s16, exec_lo
	s_or_saveexec_b32 s72, s72
	v_mov_b32_e32 v1, 0x7f800001
	s_xor_b32 exec_lo, exec_lo, s72
	s_cbranch_execnz .LBB4_5893
.LBB4_4846:                             ;   in Loop: Header=BB4_4792 Depth=3
	s_or_b32 exec_lo, exec_lo, s72
	s_and_saveexec_b32 s72, s16
	s_cbranch_execz .LBB4_4848
.LBB4_4847:                             ;   in Loop: Header=BB4_4792 Depth=3
	v_bfe_u32 v1, v8, 24, 2
	v_bfe_u32 v14, v8, 26, 5
	v_ffbh_u32_e32 v4, v1
	v_cmp_eq_u32_e32 vcc_lo, 0, v14
	v_min_u32_e32 v4, 32, v4
	v_subrev_nc_u32_e32 v5, 29, v4
	v_sub_nc_u32_e32 v4, 30, v4
	v_lshlrev_b32_sdwa v5, v5, v8 dst_sel:DWORD dst_unused:UNUSED_PAD src0_sel:DWORD src1_sel:BYTE_3
	v_cndmask_b32_e32 v4, v14, v4, vcc_lo
	v_and_b32_e32 v5, 3, v5
	v_lshl_add_u32 v4, v4, 23, 0x37800000
	v_cndmask_b32_e32 v1, v1, v5, vcc_lo
	v_and_b32_e32 v5, 0x80000000, v8
	v_lshlrev_b32_e32 v1, 21, v1
	v_or3_b32 v1, v5, v4, v1
.LBB4_4848:                             ;   in Loop: Header=BB4_4792 Depth=3
	s_or_b32 exec_lo, exec_lo, s72
	v_mul_f32_e32 v1, s23, v1
	v_mov_b32_e32 v88, 0x8000
	s_mov_b32 s72, exec_lo
	v_and_b32_e32 v4, 0x7f800000, v1
	v_cmpx_ne_u32_e32 0x7f800000, v4
	s_cbranch_execz .LBB4_4856
; %bb.4849:                             ;   in Loop: Header=BB4_4792 Depth=3
	v_mov_b32_e32 v88, 0
	s_mov_b32 s73, exec_lo
	v_cmpx_ne_u32_e32 0, v1
	s_cbranch_execz .LBB4_4855
; %bb.4850:                             ;   in Loop: Header=BB4_4792 Depth=3
	v_bfe_u32 v4, v1, 23, 8
	v_and_b32_e32 v5, 0x7fffff, v1
	v_sub_nc_u32_e32 v8, 0x70, v4
	v_cmp_gt_u32_e32 vcc_lo, 0x71, v4
	v_or_b32_e32 v14, 0x800000, v5
	v_cndmask_b32_e32 v8, 0, v8, vcc_lo
	v_cmp_eq_u32_e32 vcc_lo, 0, v4
	v_add_nc_u32_e32 v4, 0xffffff91, v4
	v_cndmask_b32_e64 v8, v8, 0x6f, vcc_lo
	v_cndmask_b32_e32 v5, v14, v5, vcc_lo
	v_cndmask_b32_e64 v4, v4, 0xffffff92, vcc_lo
	v_lshl_add_u32 v14, 0x200000, v8, -1
	v_lshrrev_b32_e32 v15, v8, v5
	v_lshlrev_b32_e64 v17, v8, 0x100000
	v_add_nc_u32_e32 v8, v8, v4
	v_and_b32_e32 v5, v14, v5
	v_bfe_u32 v16, v15, 21, 1
	v_cmp_eq_u32_e64 s16, v5, v17
	v_add_nc_u32_e32 v14, -1, v16
	v_cndmask_b32_e64 v5, 0, v14, s16
	v_lshrrev_b32_e32 v14, 23, v15
	s_mov_b32 s16, exec_lo
	v_add_nc_u32_e32 v5, v5, v15
	v_xor_b32_e32 v14, 1, v14
	v_and_b32_e32 v4, 0x1fffff, v5
	v_add_nc_u32_e32 v5, v4, v15
                                        ; implicit-def: $vgpr4
	v_cmpx_ne_u32_e64 v8, v14
	s_xor_b32 s16, exec_lo, s16
; %bb.4851:                             ;   in Loop: Header=BB4_4792 Depth=3
	v_cmp_lt_u32_e32 vcc_lo, 0xffffff, v5
	v_sub_nc_u32_e32 v4, v8, v14
	v_cndmask_b32_e64 v8, 0, 1, vcc_lo
	v_add_co_ci_u32_e64 v4, null, 0, v4, vcc_lo
	v_lshrrev_b32_e32 v5, v8, v5
; %bb.4852:                             ;   in Loop: Header=BB4_4792 Depth=3
	s_andn2_saveexec_b32 s16, s16
; %bb.4853:                             ;   in Loop: Header=BB4_4792 Depth=3
	v_bfe_u32 v4, v5, 23, 1
; %bb.4854:                             ;   in Loop: Header=BB4_4792 Depth=3
	s_or_b32 exec_lo, exec_lo, s16
	v_lshrrev_b32_e32 v5, 21, v5
	v_min_i32_e32 v8, 31, v4
	v_cmp_gt_i32_e32 vcc_lo, 32, v4
	v_and_b32_sdwa v1, v1, v101 dst_sel:DWORD dst_unused:UNUSED_PAD src0_sel:BYTE_3 src1_sel:DWORD
	v_lshlrev_b32_e32 v8, 2, v8
	v_cndmask_b32_e32 v5, 3, v5, vcc_lo
	v_and_b32_e32 v8, 0xfc, v8
	v_and_b32_e32 v14, 3, v5
	v_or_b32_e32 v4, v4, v5
	v_or3_b32 v1, v1, v8, v14
	v_cmp_ne_u32_e32 vcc_lo, 0, v4
	v_lshlrev_b32_e32 v1, 8, v1
	v_cndmask_b32_e32 v88, 0, v1, vcc_lo
.LBB4_4855:                             ;   in Loop: Header=BB4_4792 Depth=3
	s_or_b32 exec_lo, exec_lo, s73
.LBB4_4856:                             ;   in Loop: Header=BB4_4792 Depth=3
	s_or_b32 exec_lo, exec_lo, s72
	v_cmp_gt_i16_sdwa s72, v9, v100 src0_sel:BYTE_0 src1_sel:DWORD
	s_mov_b32 s16, 0
	s_and_saveexec_b32 s73, s72
	s_xor_b32 s72, exec_lo, s73
	s_cbranch_execz .LBB4_5894
; %bb.4857:                             ;   in Loop: Header=BB4_4792 Depth=3
	v_cmp_eq_u16_sdwa s74, v9, v101 src0_sel:BYTE_0 src1_sel:DWORD
	s_mov_b32 s16, -1
	s_and_saveexec_b32 s73, s74
; %bb.4858:                             ;   in Loop: Header=BB4_4792 Depth=3
	s_xor_b32 s16, exec_lo, -1
; %bb.4859:                             ;   in Loop: Header=BB4_4792 Depth=3
	s_or_b32 exec_lo, exec_lo, s73
	s_and_b32 s16, s16, exec_lo
	s_or_saveexec_b32 s72, s72
	v_mov_b32_e32 v1, 0x7f800001
	s_xor_b32 exec_lo, exec_lo, s72
	s_cbranch_execnz .LBB4_5895
.LBB4_4860:                             ;   in Loop: Header=BB4_4792 Depth=3
	s_or_b32 exec_lo, exec_lo, s72
	s_and_saveexec_b32 s72, s16
	s_cbranch_execz .LBB4_4862
.LBB4_4861:                             ;   in Loop: Header=BB4_4792 Depth=3
	v_and_b32_e32 v1, 3, v9
	v_bfe_u32 v8, v9, 2, 5
	v_lshlrev_b32_e32 v14, 24, v9
	v_ffbh_u32_e32 v4, v1
	v_cmp_eq_u32_e32 vcc_lo, 0, v8
	v_min_u32_e32 v4, 32, v4
	v_subrev_nc_u32_e32 v5, 29, v4
	v_sub_nc_u32_e32 v4, 30, v4
	v_lshlrev_b32_e32 v5, v5, v9
	v_cndmask_b32_e32 v4, v8, v4, vcc_lo
	v_and_b32_e32 v5, 3, v5
	v_lshl_add_u32 v4, v4, 23, 0x37800000
	v_cndmask_b32_e32 v1, v1, v5, vcc_lo
	v_and_b32_e32 v5, 0x80000000, v14
	v_lshlrev_b32_e32 v1, 21, v1
	v_or3_b32 v1, v5, v4, v1
.LBB4_4862:                             ;   in Loop: Header=BB4_4792 Depth=3
	s_or_b32 exec_lo, exec_lo, s72
	v_mul_f32_e32 v1, s23, v1
	v_mov_b32_e32 v93, 0x80
	s_mov_b32 s72, exec_lo
	v_and_b32_e32 v4, 0x7f800000, v1
	v_cmpx_ne_u32_e32 0x7f800000, v4
	s_cbranch_execz .LBB4_4870
; %bb.4863:                             ;   in Loop: Header=BB4_4792 Depth=3
	v_mov_b32_e32 v93, 0
	s_mov_b32 s73, exec_lo
	v_cmpx_ne_u32_e32 0, v1
	s_cbranch_execz .LBB4_4869
; %bb.4864:                             ;   in Loop: Header=BB4_4792 Depth=3
	v_bfe_u32 v4, v1, 23, 8
	v_and_b32_e32 v5, 0x7fffff, v1
	v_sub_nc_u32_e32 v8, 0x70, v4
	v_cmp_gt_u32_e32 vcc_lo, 0x71, v4
	v_or_b32_e32 v14, 0x800000, v5
	v_cndmask_b32_e32 v8, 0, v8, vcc_lo
	v_cmp_eq_u32_e32 vcc_lo, 0, v4
	v_add_nc_u32_e32 v4, 0xffffff91, v4
	v_cndmask_b32_e64 v8, v8, 0x6f, vcc_lo
	v_cndmask_b32_e32 v5, v14, v5, vcc_lo
	v_cndmask_b32_e64 v4, v4, 0xffffff92, vcc_lo
	v_lshl_add_u32 v14, 0x200000, v8, -1
	v_lshrrev_b32_e32 v15, v8, v5
	v_lshlrev_b32_e64 v17, v8, 0x100000
	v_add_nc_u32_e32 v8, v8, v4
	v_and_b32_e32 v5, v14, v5
	v_bfe_u32 v16, v15, 21, 1
	v_cmp_eq_u32_e64 s16, v5, v17
	v_add_nc_u32_e32 v14, -1, v16
	v_cndmask_b32_e64 v5, 0, v14, s16
	v_lshrrev_b32_e32 v14, 23, v15
	s_mov_b32 s16, exec_lo
	v_add_nc_u32_e32 v5, v5, v15
	v_xor_b32_e32 v14, 1, v14
	v_and_b32_e32 v4, 0x1fffff, v5
	v_add_nc_u32_e32 v5, v4, v15
                                        ; implicit-def: $vgpr4
	v_cmpx_ne_u32_e64 v8, v14
	s_xor_b32 s16, exec_lo, s16
; %bb.4865:                             ;   in Loop: Header=BB4_4792 Depth=3
	v_cmp_lt_u32_e32 vcc_lo, 0xffffff, v5
	v_sub_nc_u32_e32 v4, v8, v14
	v_cndmask_b32_e64 v8, 0, 1, vcc_lo
	v_add_co_ci_u32_e64 v4, null, 0, v4, vcc_lo
	v_lshrrev_b32_e32 v5, v8, v5
; %bb.4866:                             ;   in Loop: Header=BB4_4792 Depth=3
	s_andn2_saveexec_b32 s16, s16
; %bb.4867:                             ;   in Loop: Header=BB4_4792 Depth=3
	v_bfe_u32 v4, v5, 23, 1
; %bb.4868:                             ;   in Loop: Header=BB4_4792 Depth=3
	s_or_b32 exec_lo, exec_lo, s16
	v_lshrrev_b32_e32 v5, 21, v5
	v_min_i32_e32 v8, 31, v4
	v_cmp_gt_i32_e32 vcc_lo, 32, v4
	v_and_b32_sdwa v1, v1, v101 dst_sel:DWORD dst_unused:UNUSED_PAD src0_sel:BYTE_3 src1_sel:DWORD
	v_lshlrev_b32_e32 v8, 2, v8
	v_cndmask_b32_e32 v5, 3, v5, vcc_lo
	v_and_b32_e32 v8, 0xfc, v8
	v_and_b32_e32 v14, 3, v5
	v_or_b32_e32 v4, v4, v5
	v_or3_b32 v1, v8, v1, v14
	v_cmp_ne_u32_e32 vcc_lo, 0, v4
	v_cndmask_b32_e32 v93, 0, v1, vcc_lo
.LBB4_4869:                             ;   in Loop: Header=BB4_4792 Depth=3
	s_or_b32 exec_lo, exec_lo, s73
.LBB4_4870:                             ;   in Loop: Header=BB4_4792 Depth=3
	s_or_b32 exec_lo, exec_lo, s72
	v_cmp_gt_i16_sdwa s72, v9, v100 src0_sel:BYTE_1 src1_sel:DWORD
	s_mov_b32 s16, 0
	s_and_saveexec_b32 s73, s72
	s_xor_b32 s72, exec_lo, s73
	s_cbranch_execz .LBB4_5896
; %bb.4871:                             ;   in Loop: Header=BB4_4792 Depth=3
	v_cmp_eq_u16_sdwa s74, v9, v101 src0_sel:BYTE_1 src1_sel:DWORD
	s_mov_b32 s16, -1
	s_and_saveexec_b32 s73, s74
; %bb.4872:                             ;   in Loop: Header=BB4_4792 Depth=3
	s_xor_b32 s16, exec_lo, -1
; %bb.4873:                             ;   in Loop: Header=BB4_4792 Depth=3
	s_or_b32 exec_lo, exec_lo, s73
	s_and_b32 s16, s16, exec_lo
	s_or_saveexec_b32 s72, s72
	v_mov_b32_e32 v1, 0x7f800001
	s_xor_b32 exec_lo, exec_lo, s72
	s_cbranch_execnz .LBB4_5897
.LBB4_4874:                             ;   in Loop: Header=BB4_4792 Depth=3
	s_or_b32 exec_lo, exec_lo, s72
	s_and_saveexec_b32 s72, s16
	s_cbranch_execz .LBB4_4876
.LBB4_4875:                             ;   in Loop: Header=BB4_4792 Depth=3
	v_and_b32_sdwa v1, v102, v9 dst_sel:DWORD dst_unused:UNUSED_PAD src0_sel:DWORD src1_sel:BYTE_1
	v_and_b32_e32 v4, 3, v1
	v_bfe_u32 v14, v1, 2, 5
	v_ffbh_u32_e32 v5, v4
	v_cmp_eq_u32_e32 vcc_lo, 0, v14
	v_min_u32_e32 v5, 32, v5
	v_subrev_nc_u32_e32 v8, 29, v5
	v_sub_nc_u32_e32 v5, 30, v5
	v_lshlrev_b32_e32 v1, v8, v1
	v_lshlrev_b32_sdwa v8, v103, v9 dst_sel:DWORD dst_unused:UNUSED_PAD src0_sel:DWORD src1_sel:BYTE_1
	v_cndmask_b32_e32 v5, v14, v5, vcc_lo
	v_and_b32_e32 v1, 3, v1
	v_lshl_add_u32 v5, v5, 23, 0x37800000
	v_cndmask_b32_e32 v1, v4, v1, vcc_lo
	v_and_b32_e32 v4, 0x80000000, v8
	v_lshlrev_b32_e32 v1, 21, v1
	v_or3_b32 v1, v4, v5, v1
.LBB4_4876:                             ;   in Loop: Header=BB4_4792 Depth=3
	s_or_b32 exec_lo, exec_lo, s72
	v_mul_f32_e32 v1, s23, v1
	v_mov_b32_e32 v18, 0x8000
	s_mov_b32 s72, exec_lo
	v_and_b32_e32 v4, 0x7f800000, v1
	v_cmpx_ne_u32_e32 0x7f800000, v4
	s_cbranch_execz .LBB4_4884
; %bb.4877:                             ;   in Loop: Header=BB4_4792 Depth=3
	v_mov_b32_e32 v18, 0
	s_mov_b32 s73, exec_lo
	v_cmpx_ne_u32_e32 0, v1
	s_cbranch_execz .LBB4_4883
; %bb.4878:                             ;   in Loop: Header=BB4_4792 Depth=3
	v_bfe_u32 v4, v1, 23, 8
	v_and_b32_e32 v5, 0x7fffff, v1
	v_sub_nc_u32_e32 v8, 0x70, v4
	v_cmp_gt_u32_e32 vcc_lo, 0x71, v4
	v_or_b32_e32 v14, 0x800000, v5
	v_cndmask_b32_e32 v8, 0, v8, vcc_lo
	v_cmp_eq_u32_e32 vcc_lo, 0, v4
	v_add_nc_u32_e32 v4, 0xffffff91, v4
	v_cndmask_b32_e64 v8, v8, 0x6f, vcc_lo
	v_cndmask_b32_e32 v5, v14, v5, vcc_lo
	v_cndmask_b32_e64 v4, v4, 0xffffff92, vcc_lo
	v_lshl_add_u32 v14, 0x200000, v8, -1
	v_lshrrev_b32_e32 v15, v8, v5
	v_lshlrev_b32_e64 v17, v8, 0x100000
	v_add_nc_u32_e32 v8, v8, v4
	v_and_b32_e32 v5, v14, v5
	v_bfe_u32 v16, v15, 21, 1
	v_cmp_eq_u32_e64 s16, v5, v17
	v_add_nc_u32_e32 v14, -1, v16
	v_cndmask_b32_e64 v5, 0, v14, s16
	v_lshrrev_b32_e32 v14, 23, v15
	s_mov_b32 s16, exec_lo
	v_add_nc_u32_e32 v5, v5, v15
	v_xor_b32_e32 v14, 1, v14
	v_and_b32_e32 v4, 0x1fffff, v5
	v_add_nc_u32_e32 v5, v4, v15
                                        ; implicit-def: $vgpr4
	v_cmpx_ne_u32_e64 v8, v14
	s_xor_b32 s16, exec_lo, s16
; %bb.4879:                             ;   in Loop: Header=BB4_4792 Depth=3
	v_cmp_lt_u32_e32 vcc_lo, 0xffffff, v5
	v_sub_nc_u32_e32 v4, v8, v14
	v_cndmask_b32_e64 v8, 0, 1, vcc_lo
	v_add_co_ci_u32_e64 v4, null, 0, v4, vcc_lo
	v_lshrrev_b32_e32 v5, v8, v5
; %bb.4880:                             ;   in Loop: Header=BB4_4792 Depth=3
	s_andn2_saveexec_b32 s16, s16
; %bb.4881:                             ;   in Loop: Header=BB4_4792 Depth=3
	v_bfe_u32 v4, v5, 23, 1
; %bb.4882:                             ;   in Loop: Header=BB4_4792 Depth=3
	s_or_b32 exec_lo, exec_lo, s16
	v_lshrrev_b32_e32 v5, 21, v5
	v_min_i32_e32 v8, 31, v4
	v_cmp_gt_i32_e32 vcc_lo, 32, v4
	v_and_b32_sdwa v1, v1, v101 dst_sel:DWORD dst_unused:UNUSED_PAD src0_sel:BYTE_3 src1_sel:DWORD
	v_lshlrev_b32_e32 v8, 2, v8
	v_cndmask_b32_e32 v5, 3, v5, vcc_lo
	v_and_b32_e32 v8, 0xfc, v8
	v_and_b32_e32 v14, 3, v5
	v_or_b32_e32 v4, v4, v5
	v_or3_b32 v1, v1, v8, v14
	v_cmp_ne_u32_e32 vcc_lo, 0, v4
	v_lshlrev_b32_e32 v1, 8, v1
	v_cndmask_b32_e32 v18, 0, v1, vcc_lo
.LBB4_4883:                             ;   in Loop: Header=BB4_4792 Depth=3
	s_or_b32 exec_lo, exec_lo, s73
.LBB4_4884:                             ;   in Loop: Header=BB4_4792 Depth=3
	s_or_b32 exec_lo, exec_lo, s72
	v_and_b32_sdwa v4, v9, v112 dst_sel:DWORD dst_unused:UNUSED_PAD src0_sel:WORD_1 src1_sel:DWORD
	s_mov_b32 s16, 0
	s_mov_b32 s72, exec_lo
	v_cmpx_lt_i16_e32 0x7f, v4
	s_xor_b32 s72, exec_lo, s72
	s_cbranch_execz .LBB4_5898
; %bb.4885:                             ;   in Loop: Header=BB4_4792 Depth=3
	s_mov_b32 s16, -1
	s_mov_b32 s73, exec_lo
	v_cmpx_eq_u16_e32 0x80, v4
; %bb.4886:                             ;   in Loop: Header=BB4_4792 Depth=3
	s_xor_b32 s16, exec_lo, -1
; %bb.4887:                             ;   in Loop: Header=BB4_4792 Depth=3
	s_or_b32 exec_lo, exec_lo, s73
	s_and_b32 s16, s16, exec_lo
                                        ; implicit-def: $vgpr4
	s_or_saveexec_b32 s72, s72
	v_mov_b32_e32 v1, 0x7f800001
	s_xor_b32 exec_lo, exec_lo, s72
	s_cbranch_execnz .LBB4_5899
.LBB4_4888:                             ;   in Loop: Header=BB4_4792 Depth=3
	s_or_b32 exec_lo, exec_lo, s72
	s_and_saveexec_b32 s72, s16
	s_cbranch_execz .LBB4_4890
.LBB4_4889:                             ;   in Loop: Header=BB4_4792 Depth=3
	v_bfe_u32 v1, v9, 16, 2
	v_bfe_u32 v8, v9, 18, 5
	v_lshlrev_b32_e32 v14, 8, v9
	v_ffbh_u32_e32 v4, v1
	v_cmp_eq_u32_e32 vcc_lo, 0, v8
	v_min_u32_e32 v4, 32, v4
	v_subrev_nc_u32_e32 v5, 29, v4
	v_sub_nc_u32_e32 v4, 30, v4
	v_lshlrev_b32_sdwa v5, v5, v9 dst_sel:DWORD dst_unused:UNUSED_PAD src0_sel:DWORD src1_sel:WORD_1
	v_cndmask_b32_e32 v4, v8, v4, vcc_lo
	v_and_b32_e32 v5, 3, v5
	v_lshl_add_u32 v4, v4, 23, 0x37800000
	v_cndmask_b32_e32 v1, v1, v5, vcc_lo
	v_and_b32_e32 v5, 0x80000000, v14
	v_lshlrev_b32_e32 v1, 21, v1
	v_or3_b32 v1, v5, v4, v1
.LBB4_4890:                             ;   in Loop: Header=BB4_4792 Depth=3
	s_or_b32 exec_lo, exec_lo, s72
	v_mul_f32_e32 v1, s23, v1
	v_mov_b32_e32 v107, 0x80
	s_mov_b32 s72, exec_lo
	v_and_b32_e32 v4, 0x7f800000, v1
	v_cmpx_ne_u32_e32 0x7f800000, v4
	s_cbranch_execz .LBB4_4898
; %bb.4891:                             ;   in Loop: Header=BB4_4792 Depth=3
	v_mov_b32_e32 v107, 0
	s_mov_b32 s73, exec_lo
	v_cmpx_ne_u32_e32 0, v1
	s_cbranch_execz .LBB4_4897
; %bb.4892:                             ;   in Loop: Header=BB4_4792 Depth=3
	v_bfe_u32 v4, v1, 23, 8
	v_and_b32_e32 v5, 0x7fffff, v1
	v_sub_nc_u32_e32 v8, 0x70, v4
	v_cmp_gt_u32_e32 vcc_lo, 0x71, v4
	v_or_b32_e32 v14, 0x800000, v5
	v_cndmask_b32_e32 v8, 0, v8, vcc_lo
	v_cmp_eq_u32_e32 vcc_lo, 0, v4
	v_add_nc_u32_e32 v4, 0xffffff91, v4
	v_cndmask_b32_e64 v8, v8, 0x6f, vcc_lo
	v_cndmask_b32_e32 v5, v14, v5, vcc_lo
	v_cndmask_b32_e64 v4, v4, 0xffffff92, vcc_lo
	v_lshl_add_u32 v14, 0x200000, v8, -1
	v_lshrrev_b32_e32 v15, v8, v5
	v_lshlrev_b32_e64 v17, v8, 0x100000
	v_add_nc_u32_e32 v8, v8, v4
	v_and_b32_e32 v5, v14, v5
	v_bfe_u32 v16, v15, 21, 1
	v_cmp_eq_u32_e64 s16, v5, v17
	v_add_nc_u32_e32 v14, -1, v16
	v_cndmask_b32_e64 v5, 0, v14, s16
	v_lshrrev_b32_e32 v14, 23, v15
	s_mov_b32 s16, exec_lo
	v_add_nc_u32_e32 v5, v5, v15
	v_xor_b32_e32 v14, 1, v14
	v_and_b32_e32 v4, 0x1fffff, v5
	v_add_nc_u32_e32 v5, v4, v15
                                        ; implicit-def: $vgpr4
	v_cmpx_ne_u32_e64 v8, v14
	s_xor_b32 s16, exec_lo, s16
; %bb.4893:                             ;   in Loop: Header=BB4_4792 Depth=3
	v_cmp_lt_u32_e32 vcc_lo, 0xffffff, v5
	v_sub_nc_u32_e32 v4, v8, v14
	v_cndmask_b32_e64 v8, 0, 1, vcc_lo
	v_add_co_ci_u32_e64 v4, null, 0, v4, vcc_lo
	v_lshrrev_b32_e32 v5, v8, v5
; %bb.4894:                             ;   in Loop: Header=BB4_4792 Depth=3
	s_andn2_saveexec_b32 s16, s16
; %bb.4895:                             ;   in Loop: Header=BB4_4792 Depth=3
	v_bfe_u32 v4, v5, 23, 1
; %bb.4896:                             ;   in Loop: Header=BB4_4792 Depth=3
	s_or_b32 exec_lo, exec_lo, s16
	v_lshrrev_b32_e32 v5, 21, v5
	v_min_i32_e32 v8, 31, v4
	v_cmp_gt_i32_e32 vcc_lo, 32, v4
	v_and_b32_sdwa v1, v1, v101 dst_sel:DWORD dst_unused:UNUSED_PAD src0_sel:BYTE_3 src1_sel:DWORD
	v_lshlrev_b32_e32 v8, 2, v8
	v_cndmask_b32_e32 v5, 3, v5, vcc_lo
	v_and_b32_e32 v8, 0xfc, v8
	v_and_b32_e32 v14, 3, v5
	v_or_b32_e32 v4, v4, v5
	v_or3_b32 v1, v8, v1, v14
	v_cmp_ne_u32_e32 vcc_lo, 0, v4
	v_cndmask_b32_e32 v107, 0, v1, vcc_lo
.LBB4_4897:                             ;   in Loop: Header=BB4_4792 Depth=3
	s_or_b32 exec_lo, exec_lo, s73
.LBB4_4898:                             ;   in Loop: Header=BB4_4792 Depth=3
	s_or_b32 exec_lo, exec_lo, s72
	v_cmp_gt_i16_sdwa s72, v9, v100 src0_sel:BYTE_3 src1_sel:DWORD
	s_mov_b32 s16, 0
	s_and_saveexec_b32 s73, s72
	s_xor_b32 s72, exec_lo, s73
	s_cbranch_execz .LBB4_5900
; %bb.4899:                             ;   in Loop: Header=BB4_4792 Depth=3
	v_cmp_eq_u16_sdwa s74, v9, v101 src0_sel:BYTE_3 src1_sel:DWORD
	s_mov_b32 s16, -1
	s_and_saveexec_b32 s73, s74
; %bb.4900:                             ;   in Loop: Header=BB4_4792 Depth=3
	s_xor_b32 s16, exec_lo, -1
; %bb.4901:                             ;   in Loop: Header=BB4_4792 Depth=3
	s_or_b32 exec_lo, exec_lo, s73
	s_and_b32 s16, s16, exec_lo
	s_or_saveexec_b32 s72, s72
	v_mov_b32_e32 v1, 0x7f800001
	s_xor_b32 exec_lo, exec_lo, s72
	s_cbranch_execnz .LBB4_5901
.LBB4_4902:                             ;   in Loop: Header=BB4_4792 Depth=3
	s_or_b32 exec_lo, exec_lo, s72
	s_and_saveexec_b32 s72, s16
	s_cbranch_execz .LBB4_4904
.LBB4_4903:                             ;   in Loop: Header=BB4_4792 Depth=3
	v_bfe_u32 v1, v9, 24, 2
	v_bfe_u32 v8, v9, 26, 5
	v_ffbh_u32_e32 v4, v1
	v_cmp_eq_u32_e32 vcc_lo, 0, v8
	v_min_u32_e32 v4, 32, v4
	v_subrev_nc_u32_e32 v5, 29, v4
	v_sub_nc_u32_e32 v4, 30, v4
	v_lshlrev_b32_sdwa v5, v5, v9 dst_sel:DWORD dst_unused:UNUSED_PAD src0_sel:DWORD src1_sel:BYTE_3
	v_cndmask_b32_e32 v4, v8, v4, vcc_lo
	v_and_b32_e32 v5, 3, v5
	v_lshl_add_u32 v4, v4, 23, 0x37800000
	v_cndmask_b32_e32 v1, v1, v5, vcc_lo
	v_and_b32_e32 v5, 0x80000000, v9
	v_lshlrev_b32_e32 v1, 21, v1
	v_or3_b32 v1, v5, v4, v1
.LBB4_4904:                             ;   in Loop: Header=BB4_4792 Depth=3
	s_or_b32 exec_lo, exec_lo, s72
	v_mul_f32_e32 v1, s23, v1
	v_mov_b32_e32 v126, 0x8000
	s_mov_b32 s72, exec_lo
	v_and_b32_e32 v4, 0x7f800000, v1
	v_cmpx_ne_u32_e32 0x7f800000, v4
	s_cbranch_execz .LBB4_4912
; %bb.4905:                             ;   in Loop: Header=BB4_4792 Depth=3
	v_mov_b32_e32 v126, 0
	s_mov_b32 s73, exec_lo
	v_cmpx_ne_u32_e32 0, v1
	s_cbranch_execz .LBB4_4911
; %bb.4906:                             ;   in Loop: Header=BB4_4792 Depth=3
	v_bfe_u32 v4, v1, 23, 8
	v_and_b32_e32 v5, 0x7fffff, v1
	v_sub_nc_u32_e32 v8, 0x70, v4
	v_cmp_gt_u32_e32 vcc_lo, 0x71, v4
	v_or_b32_e32 v9, 0x800000, v5
	v_cndmask_b32_e32 v8, 0, v8, vcc_lo
	v_cmp_eq_u32_e32 vcc_lo, 0, v4
	v_add_nc_u32_e32 v4, 0xffffff91, v4
	v_cndmask_b32_e64 v8, v8, 0x6f, vcc_lo
	v_cndmask_b32_e32 v5, v9, v5, vcc_lo
	v_cndmask_b32_e64 v4, v4, 0xffffff92, vcc_lo
	v_lshl_add_u32 v9, 0x200000, v8, -1
	v_lshrrev_b32_e32 v14, v8, v5
	v_lshlrev_b32_e64 v16, v8, 0x100000
	v_add_nc_u32_e32 v8, v8, v4
	v_and_b32_e32 v5, v9, v5
	v_bfe_u32 v15, v14, 21, 1
	v_cmp_eq_u32_e64 s16, v5, v16
	v_add_nc_u32_e32 v9, -1, v15
	v_cndmask_b32_e64 v5, 0, v9, s16
	v_lshrrev_b32_e32 v9, 23, v14
	s_mov_b32 s16, exec_lo
	v_add_nc_u32_e32 v5, v5, v14
	v_xor_b32_e32 v9, 1, v9
	v_and_b32_e32 v4, 0x1fffff, v5
	v_add_nc_u32_e32 v5, v4, v14
                                        ; implicit-def: $vgpr4
	v_cmpx_ne_u32_e64 v8, v9
	s_xor_b32 s16, exec_lo, s16
; %bb.4907:                             ;   in Loop: Header=BB4_4792 Depth=3
	v_cmp_lt_u32_e32 vcc_lo, 0xffffff, v5
	v_sub_nc_u32_e32 v4, v8, v9
	v_cndmask_b32_e64 v8, 0, 1, vcc_lo
	v_add_co_ci_u32_e64 v4, null, 0, v4, vcc_lo
	v_lshrrev_b32_e32 v5, v8, v5
; %bb.4908:                             ;   in Loop: Header=BB4_4792 Depth=3
	s_andn2_saveexec_b32 s16, s16
; %bb.4909:                             ;   in Loop: Header=BB4_4792 Depth=3
	v_bfe_u32 v4, v5, 23, 1
; %bb.4910:                             ;   in Loop: Header=BB4_4792 Depth=3
	s_or_b32 exec_lo, exec_lo, s16
	v_lshrrev_b32_e32 v5, 21, v5
	v_min_i32_e32 v8, 31, v4
	v_cmp_gt_i32_e32 vcc_lo, 32, v4
	v_and_b32_sdwa v1, v1, v101 dst_sel:DWORD dst_unused:UNUSED_PAD src0_sel:BYTE_3 src1_sel:DWORD
	v_lshlrev_b32_e32 v8, 2, v8
	v_cndmask_b32_e32 v5, 3, v5, vcc_lo
	v_and_b32_e32 v8, 0xfc, v8
	v_and_b32_e32 v9, 3, v5
	v_or_b32_e32 v4, v4, v5
	v_or3_b32 v1, v1, v8, v9
	v_cmp_ne_u32_e32 vcc_lo, 0, v4
	v_lshlrev_b32_e32 v1, 8, v1
	v_cndmask_b32_e32 v126, 0, v1, vcc_lo
.LBB4_4911:                             ;   in Loop: Header=BB4_4792 Depth=3
	s_or_b32 exec_lo, exec_lo, s73
.LBB4_4912:                             ;   in Loop: Header=BB4_4792 Depth=3
	s_or_b32 exec_lo, exec_lo, s72
	v_cmp_gt_i16_sdwa s72, v10, v100 src0_sel:BYTE_0 src1_sel:DWORD
	s_mov_b32 s16, 0
	s_and_saveexec_b32 s73, s72
	s_xor_b32 s72, exec_lo, s73
	s_cbranch_execz .LBB4_5902
; %bb.4913:                             ;   in Loop: Header=BB4_4792 Depth=3
	v_cmp_eq_u16_sdwa s74, v10, v101 src0_sel:BYTE_0 src1_sel:DWORD
	s_mov_b32 s16, -1
	s_and_saveexec_b32 s73, s74
; %bb.4914:                             ;   in Loop: Header=BB4_4792 Depth=3
	s_xor_b32 s16, exec_lo, -1
; %bb.4915:                             ;   in Loop: Header=BB4_4792 Depth=3
	s_or_b32 exec_lo, exec_lo, s73
	s_and_b32 s16, s16, exec_lo
	s_or_saveexec_b32 s72, s72
	v_mov_b32_e32 v1, 0x7f800001
	s_xor_b32 exec_lo, exec_lo, s72
	s_cbranch_execnz .LBB4_5903
.LBB4_4916:                             ;   in Loop: Header=BB4_4792 Depth=3
	s_or_b32 exec_lo, exec_lo, s72
	s_and_saveexec_b32 s72, s16
	s_cbranch_execz .LBB4_4918
.LBB4_4917:                             ;   in Loop: Header=BB4_4792 Depth=3
	v_and_b32_e32 v1, 3, v10
	v_bfe_u32 v8, v10, 2, 5
	v_lshlrev_b32_e32 v9, 24, v10
	v_ffbh_u32_e32 v4, v1
	v_cmp_eq_u32_e32 vcc_lo, 0, v8
	v_min_u32_e32 v4, 32, v4
	v_subrev_nc_u32_e32 v5, 29, v4
	v_sub_nc_u32_e32 v4, 30, v4
	v_lshlrev_b32_e32 v5, v5, v10
	v_cndmask_b32_e32 v4, v8, v4, vcc_lo
	v_and_b32_e32 v5, 3, v5
	v_lshl_add_u32 v4, v4, 23, 0x37800000
	v_cndmask_b32_e32 v1, v1, v5, vcc_lo
	v_and_b32_e32 v5, 0x80000000, v9
	v_lshlrev_b32_e32 v1, 21, v1
	v_or3_b32 v1, v5, v4, v1
.LBB4_4918:                             ;   in Loop: Header=BB4_4792 Depth=3
	s_or_b32 exec_lo, exec_lo, s72
	v_mul_f32_e32 v1, s23, v1
	v_mov_b32_e32 v121, 0x80
	s_mov_b32 s72, exec_lo
	v_and_b32_e32 v4, 0x7f800000, v1
	v_cmpx_ne_u32_e32 0x7f800000, v4
	s_cbranch_execz .LBB4_4926
; %bb.4919:                             ;   in Loop: Header=BB4_4792 Depth=3
	v_mov_b32_e32 v121, 0
	s_mov_b32 s73, exec_lo
	v_cmpx_ne_u32_e32 0, v1
	s_cbranch_execz .LBB4_4925
; %bb.4920:                             ;   in Loop: Header=BB4_4792 Depth=3
	v_bfe_u32 v4, v1, 23, 8
	v_and_b32_e32 v5, 0x7fffff, v1
	v_sub_nc_u32_e32 v8, 0x70, v4
	v_cmp_gt_u32_e32 vcc_lo, 0x71, v4
	v_or_b32_e32 v9, 0x800000, v5
	v_cndmask_b32_e32 v8, 0, v8, vcc_lo
	v_cmp_eq_u32_e32 vcc_lo, 0, v4
	v_add_nc_u32_e32 v4, 0xffffff91, v4
	v_cndmask_b32_e64 v8, v8, 0x6f, vcc_lo
	v_cndmask_b32_e32 v5, v9, v5, vcc_lo
	v_cndmask_b32_e64 v4, v4, 0xffffff92, vcc_lo
	v_lshl_add_u32 v9, 0x200000, v8, -1
	v_lshrrev_b32_e32 v14, v8, v5
	v_lshlrev_b32_e64 v16, v8, 0x100000
	v_add_nc_u32_e32 v8, v8, v4
	v_and_b32_e32 v5, v9, v5
	v_bfe_u32 v15, v14, 21, 1
	v_cmp_eq_u32_e64 s16, v5, v16
	v_add_nc_u32_e32 v9, -1, v15
	v_cndmask_b32_e64 v5, 0, v9, s16
	v_lshrrev_b32_e32 v9, 23, v14
	s_mov_b32 s16, exec_lo
	v_add_nc_u32_e32 v5, v5, v14
	v_xor_b32_e32 v9, 1, v9
	v_and_b32_e32 v4, 0x1fffff, v5
	v_add_nc_u32_e32 v5, v4, v14
                                        ; implicit-def: $vgpr4
	v_cmpx_ne_u32_e64 v8, v9
	s_xor_b32 s16, exec_lo, s16
; %bb.4921:                             ;   in Loop: Header=BB4_4792 Depth=3
	v_cmp_lt_u32_e32 vcc_lo, 0xffffff, v5
	v_sub_nc_u32_e32 v4, v8, v9
	v_cndmask_b32_e64 v8, 0, 1, vcc_lo
	v_add_co_ci_u32_e64 v4, null, 0, v4, vcc_lo
	v_lshrrev_b32_e32 v5, v8, v5
; %bb.4922:                             ;   in Loop: Header=BB4_4792 Depth=3
	s_andn2_saveexec_b32 s16, s16
; %bb.4923:                             ;   in Loop: Header=BB4_4792 Depth=3
	v_bfe_u32 v4, v5, 23, 1
; %bb.4924:                             ;   in Loop: Header=BB4_4792 Depth=3
	s_or_b32 exec_lo, exec_lo, s16
	v_lshrrev_b32_e32 v5, 21, v5
	v_min_i32_e32 v8, 31, v4
	v_cmp_gt_i32_e32 vcc_lo, 32, v4
	v_and_b32_sdwa v1, v1, v101 dst_sel:DWORD dst_unused:UNUSED_PAD src0_sel:BYTE_3 src1_sel:DWORD
	v_lshlrev_b32_e32 v8, 2, v8
	v_cndmask_b32_e32 v5, 3, v5, vcc_lo
	v_and_b32_e32 v8, 0xfc, v8
	v_and_b32_e32 v9, 3, v5
	v_or_b32_e32 v4, v4, v5
	v_or3_b32 v1, v8, v1, v9
	v_cmp_ne_u32_e32 vcc_lo, 0, v4
	v_cndmask_b32_e32 v121, 0, v1, vcc_lo
.LBB4_4925:                             ;   in Loop: Header=BB4_4792 Depth=3
	s_or_b32 exec_lo, exec_lo, s73
.LBB4_4926:                             ;   in Loop: Header=BB4_4792 Depth=3
	s_or_b32 exec_lo, exec_lo, s72
	v_cmp_gt_i16_sdwa s72, v10, v100 src0_sel:BYTE_1 src1_sel:DWORD
	s_mov_b32 s16, 0
	s_and_saveexec_b32 s73, s72
	s_xor_b32 s72, exec_lo, s73
	s_cbranch_execz .LBB4_5904
; %bb.4927:                             ;   in Loop: Header=BB4_4792 Depth=3
	v_cmp_eq_u16_sdwa s74, v10, v101 src0_sel:BYTE_1 src1_sel:DWORD
	s_mov_b32 s16, -1
	s_and_saveexec_b32 s73, s74
; %bb.4928:                             ;   in Loop: Header=BB4_4792 Depth=3
	s_xor_b32 s16, exec_lo, -1
; %bb.4929:                             ;   in Loop: Header=BB4_4792 Depth=3
	s_or_b32 exec_lo, exec_lo, s73
	s_and_b32 s16, s16, exec_lo
	s_or_saveexec_b32 s72, s72
	v_mov_b32_e32 v1, 0x7f800001
	s_xor_b32 exec_lo, exec_lo, s72
	s_cbranch_execnz .LBB4_5905
.LBB4_4930:                             ;   in Loop: Header=BB4_4792 Depth=3
	s_or_b32 exec_lo, exec_lo, s72
	s_and_saveexec_b32 s72, s16
	s_cbranch_execz .LBB4_4932
.LBB4_4931:                             ;   in Loop: Header=BB4_4792 Depth=3
	v_and_b32_sdwa v1, v102, v10 dst_sel:DWORD dst_unused:UNUSED_PAD src0_sel:DWORD src1_sel:BYTE_1
	v_and_b32_e32 v4, 3, v1
	v_bfe_u32 v9, v1, 2, 5
	v_ffbh_u32_e32 v5, v4
	v_cmp_eq_u32_e32 vcc_lo, 0, v9
	v_min_u32_e32 v5, 32, v5
	v_subrev_nc_u32_e32 v8, 29, v5
	v_sub_nc_u32_e32 v5, 30, v5
	v_lshlrev_b32_e32 v1, v8, v1
	v_lshlrev_b32_sdwa v8, v103, v10 dst_sel:DWORD dst_unused:UNUSED_PAD src0_sel:DWORD src1_sel:BYTE_1
	v_cndmask_b32_e32 v5, v9, v5, vcc_lo
	v_and_b32_e32 v1, 3, v1
	v_lshl_add_u32 v5, v5, 23, 0x37800000
	v_cndmask_b32_e32 v1, v4, v1, vcc_lo
	v_and_b32_e32 v4, 0x80000000, v8
	v_lshlrev_b32_e32 v1, 21, v1
	v_or3_b32 v1, v4, v5, v1
.LBB4_4932:                             ;   in Loop: Header=BB4_4792 Depth=3
	s_or_b32 exec_lo, exec_lo, s72
	v_mul_f32_e32 v1, s23, v1
	v_mov_b32_e32 v123, 0x8000
	s_mov_b32 s72, exec_lo
	v_and_b32_e32 v4, 0x7f800000, v1
	v_cmpx_ne_u32_e32 0x7f800000, v4
	s_cbranch_execz .LBB4_4940
; %bb.4933:                             ;   in Loop: Header=BB4_4792 Depth=3
	v_mov_b32_e32 v123, 0
	s_mov_b32 s73, exec_lo
	v_cmpx_ne_u32_e32 0, v1
	s_cbranch_execz .LBB4_4939
; %bb.4934:                             ;   in Loop: Header=BB4_4792 Depth=3
	v_bfe_u32 v4, v1, 23, 8
	v_and_b32_e32 v5, 0x7fffff, v1
	v_sub_nc_u32_e32 v8, 0x70, v4
	v_cmp_gt_u32_e32 vcc_lo, 0x71, v4
	v_or_b32_e32 v9, 0x800000, v5
	v_cndmask_b32_e32 v8, 0, v8, vcc_lo
	v_cmp_eq_u32_e32 vcc_lo, 0, v4
	v_add_nc_u32_e32 v4, 0xffffff91, v4
	v_cndmask_b32_e64 v8, v8, 0x6f, vcc_lo
	v_cndmask_b32_e32 v5, v9, v5, vcc_lo
	v_cndmask_b32_e64 v4, v4, 0xffffff92, vcc_lo
	v_lshl_add_u32 v9, 0x200000, v8, -1
	v_lshrrev_b32_e32 v14, v8, v5
	v_lshlrev_b32_e64 v16, v8, 0x100000
	v_add_nc_u32_e32 v8, v8, v4
	v_and_b32_e32 v5, v9, v5
	v_bfe_u32 v15, v14, 21, 1
	v_cmp_eq_u32_e64 s16, v5, v16
	v_add_nc_u32_e32 v9, -1, v15
	v_cndmask_b32_e64 v5, 0, v9, s16
	v_lshrrev_b32_e32 v9, 23, v14
	s_mov_b32 s16, exec_lo
	v_add_nc_u32_e32 v5, v5, v14
	v_xor_b32_e32 v9, 1, v9
	v_and_b32_e32 v4, 0x1fffff, v5
	v_add_nc_u32_e32 v5, v4, v14
                                        ; implicit-def: $vgpr4
	v_cmpx_ne_u32_e64 v8, v9
	s_xor_b32 s16, exec_lo, s16
; %bb.4935:                             ;   in Loop: Header=BB4_4792 Depth=3
	v_cmp_lt_u32_e32 vcc_lo, 0xffffff, v5
	v_sub_nc_u32_e32 v4, v8, v9
	v_cndmask_b32_e64 v8, 0, 1, vcc_lo
	v_add_co_ci_u32_e64 v4, null, 0, v4, vcc_lo
	v_lshrrev_b32_e32 v5, v8, v5
; %bb.4936:                             ;   in Loop: Header=BB4_4792 Depth=3
	s_andn2_saveexec_b32 s16, s16
; %bb.4937:                             ;   in Loop: Header=BB4_4792 Depth=3
	v_bfe_u32 v4, v5, 23, 1
; %bb.4938:                             ;   in Loop: Header=BB4_4792 Depth=3
	s_or_b32 exec_lo, exec_lo, s16
	v_lshrrev_b32_e32 v5, 21, v5
	v_min_i32_e32 v8, 31, v4
	v_cmp_gt_i32_e32 vcc_lo, 32, v4
	v_and_b32_sdwa v1, v1, v101 dst_sel:DWORD dst_unused:UNUSED_PAD src0_sel:BYTE_3 src1_sel:DWORD
	v_lshlrev_b32_e32 v8, 2, v8
	v_cndmask_b32_e32 v5, 3, v5, vcc_lo
	v_and_b32_e32 v8, 0xfc, v8
	v_and_b32_e32 v9, 3, v5
	v_or_b32_e32 v4, v4, v5
	v_or3_b32 v1, v1, v8, v9
	v_cmp_ne_u32_e32 vcc_lo, 0, v4
	v_lshlrev_b32_e32 v1, 8, v1
	v_cndmask_b32_e32 v123, 0, v1, vcc_lo
.LBB4_4939:                             ;   in Loop: Header=BB4_4792 Depth=3
	s_or_b32 exec_lo, exec_lo, s73
.LBB4_4940:                             ;   in Loop: Header=BB4_4792 Depth=3
	s_or_b32 exec_lo, exec_lo, s72
	v_and_b32_sdwa v4, v10, v112 dst_sel:DWORD dst_unused:UNUSED_PAD src0_sel:WORD_1 src1_sel:DWORD
	s_mov_b32 s16, 0
	s_mov_b32 s72, exec_lo
	v_cmpx_lt_i16_e32 0x7f, v4
	s_xor_b32 s72, exec_lo, s72
	s_cbranch_execz .LBB4_5906
; %bb.4941:                             ;   in Loop: Header=BB4_4792 Depth=3
	s_mov_b32 s16, -1
	s_mov_b32 s73, exec_lo
	v_cmpx_eq_u16_e32 0x80, v4
; %bb.4942:                             ;   in Loop: Header=BB4_4792 Depth=3
	s_xor_b32 s16, exec_lo, -1
; %bb.4943:                             ;   in Loop: Header=BB4_4792 Depth=3
	s_or_b32 exec_lo, exec_lo, s73
	s_and_b32 s16, s16, exec_lo
                                        ; implicit-def: $vgpr4
	s_or_saveexec_b32 s72, s72
	v_mov_b32_e32 v1, 0x7f800001
	s_xor_b32 exec_lo, exec_lo, s72
	s_cbranch_execnz .LBB4_5907
.LBB4_4944:                             ;   in Loop: Header=BB4_4792 Depth=3
	s_or_b32 exec_lo, exec_lo, s72
	s_and_saveexec_b32 s72, s16
	s_cbranch_execz .LBB4_4946
.LBB4_4945:                             ;   in Loop: Header=BB4_4792 Depth=3
	v_bfe_u32 v1, v10, 16, 2
	v_bfe_u32 v8, v10, 18, 5
	v_lshlrev_b32_e32 v9, 8, v10
	v_ffbh_u32_e32 v4, v1
	v_cmp_eq_u32_e32 vcc_lo, 0, v8
	v_min_u32_e32 v4, 32, v4
	v_subrev_nc_u32_e32 v5, 29, v4
	v_sub_nc_u32_e32 v4, 30, v4
	v_lshlrev_b32_sdwa v5, v5, v10 dst_sel:DWORD dst_unused:UNUSED_PAD src0_sel:DWORD src1_sel:WORD_1
	v_cndmask_b32_e32 v4, v8, v4, vcc_lo
	v_and_b32_e32 v5, 3, v5
	v_lshl_add_u32 v4, v4, 23, 0x37800000
	v_cndmask_b32_e32 v1, v1, v5, vcc_lo
	v_and_b32_e32 v5, 0x80000000, v9
	v_lshlrev_b32_e32 v1, 21, v1
	v_or3_b32 v1, v5, v4, v1
.LBB4_4946:                             ;   in Loop: Header=BB4_4792 Depth=3
	s_or_b32 exec_lo, exec_lo, s72
	v_mul_f32_e32 v1, s23, v1
	v_mov_b32_e32 v124, 0x80
	s_mov_b32 s72, exec_lo
	v_and_b32_e32 v4, 0x7f800000, v1
	v_cmpx_ne_u32_e32 0x7f800000, v4
	s_cbranch_execz .LBB4_4954
; %bb.4947:                             ;   in Loop: Header=BB4_4792 Depth=3
	v_mov_b32_e32 v124, 0
	s_mov_b32 s73, exec_lo
	v_cmpx_ne_u32_e32 0, v1
	s_cbranch_execz .LBB4_4953
; %bb.4948:                             ;   in Loop: Header=BB4_4792 Depth=3
	v_bfe_u32 v4, v1, 23, 8
	v_and_b32_e32 v5, 0x7fffff, v1
	v_sub_nc_u32_e32 v8, 0x70, v4
	v_cmp_gt_u32_e32 vcc_lo, 0x71, v4
	v_or_b32_e32 v9, 0x800000, v5
	v_cndmask_b32_e32 v8, 0, v8, vcc_lo
	v_cmp_eq_u32_e32 vcc_lo, 0, v4
	v_add_nc_u32_e32 v4, 0xffffff91, v4
	v_cndmask_b32_e64 v8, v8, 0x6f, vcc_lo
	v_cndmask_b32_e32 v5, v9, v5, vcc_lo
	v_cndmask_b32_e64 v4, v4, 0xffffff92, vcc_lo
	v_lshl_add_u32 v9, 0x200000, v8, -1
	v_lshrrev_b32_e32 v14, v8, v5
	v_lshlrev_b32_e64 v16, v8, 0x100000
	v_add_nc_u32_e32 v8, v8, v4
	v_and_b32_e32 v5, v9, v5
	v_bfe_u32 v15, v14, 21, 1
	v_cmp_eq_u32_e64 s16, v5, v16
	v_add_nc_u32_e32 v9, -1, v15
	v_cndmask_b32_e64 v5, 0, v9, s16
	v_lshrrev_b32_e32 v9, 23, v14
	s_mov_b32 s16, exec_lo
	v_add_nc_u32_e32 v5, v5, v14
	v_xor_b32_e32 v9, 1, v9
	v_and_b32_e32 v4, 0x1fffff, v5
	v_add_nc_u32_e32 v5, v4, v14
                                        ; implicit-def: $vgpr4
	v_cmpx_ne_u32_e64 v8, v9
	s_xor_b32 s16, exec_lo, s16
; %bb.4949:                             ;   in Loop: Header=BB4_4792 Depth=3
	v_cmp_lt_u32_e32 vcc_lo, 0xffffff, v5
	v_sub_nc_u32_e32 v4, v8, v9
	v_cndmask_b32_e64 v8, 0, 1, vcc_lo
	v_add_co_ci_u32_e64 v4, null, 0, v4, vcc_lo
	v_lshrrev_b32_e32 v5, v8, v5
; %bb.4950:                             ;   in Loop: Header=BB4_4792 Depth=3
	s_andn2_saveexec_b32 s16, s16
; %bb.4951:                             ;   in Loop: Header=BB4_4792 Depth=3
	v_bfe_u32 v4, v5, 23, 1
; %bb.4952:                             ;   in Loop: Header=BB4_4792 Depth=3
	s_or_b32 exec_lo, exec_lo, s16
	v_lshrrev_b32_e32 v5, 21, v5
	v_min_i32_e32 v8, 31, v4
	v_cmp_gt_i32_e32 vcc_lo, 32, v4
	v_and_b32_sdwa v1, v1, v101 dst_sel:DWORD dst_unused:UNUSED_PAD src0_sel:BYTE_3 src1_sel:DWORD
	v_lshlrev_b32_e32 v8, 2, v8
	v_cndmask_b32_e32 v5, 3, v5, vcc_lo
	v_and_b32_e32 v8, 0xfc, v8
	v_and_b32_e32 v9, 3, v5
	v_or_b32_e32 v4, v4, v5
	v_or3_b32 v1, v8, v1, v9
	v_cmp_ne_u32_e32 vcc_lo, 0, v4
	v_cndmask_b32_e32 v124, 0, v1, vcc_lo
.LBB4_4953:                             ;   in Loop: Header=BB4_4792 Depth=3
	s_or_b32 exec_lo, exec_lo, s73
.LBB4_4954:                             ;   in Loop: Header=BB4_4792 Depth=3
	s_or_b32 exec_lo, exec_lo, s72
	v_cmp_gt_i16_sdwa s72, v10, v100 src0_sel:BYTE_3 src1_sel:DWORD
	s_mov_b32 s16, 0
	s_and_saveexec_b32 s73, s72
	s_xor_b32 s72, exec_lo, s73
	s_cbranch_execz .LBB4_5908
; %bb.4955:                             ;   in Loop: Header=BB4_4792 Depth=3
	v_cmp_eq_u16_sdwa s74, v10, v101 src0_sel:BYTE_3 src1_sel:DWORD
	s_mov_b32 s16, -1
	s_and_saveexec_b32 s73, s74
; %bb.4956:                             ;   in Loop: Header=BB4_4792 Depth=3
	s_xor_b32 s16, exec_lo, -1
; %bb.4957:                             ;   in Loop: Header=BB4_4792 Depth=3
	s_or_b32 exec_lo, exec_lo, s73
	s_and_b32 s16, s16, exec_lo
	s_or_saveexec_b32 s72, s72
	v_mov_b32_e32 v1, 0x7f800001
	s_xor_b32 exec_lo, exec_lo, s72
	s_cbranch_execnz .LBB4_5909
.LBB4_4958:                             ;   in Loop: Header=BB4_4792 Depth=3
	s_or_b32 exec_lo, exec_lo, s72
	s_and_saveexec_b32 s72, s16
	s_cbranch_execz .LBB4_4960
.LBB4_4959:                             ;   in Loop: Header=BB4_4792 Depth=3
	v_bfe_u32 v1, v10, 24, 2
	v_bfe_u32 v8, v10, 26, 5
	v_ffbh_u32_e32 v4, v1
	v_cmp_eq_u32_e32 vcc_lo, 0, v8
	v_min_u32_e32 v4, 32, v4
	v_subrev_nc_u32_e32 v5, 29, v4
	v_sub_nc_u32_e32 v4, 30, v4
	v_lshlrev_b32_sdwa v5, v5, v10 dst_sel:DWORD dst_unused:UNUSED_PAD src0_sel:DWORD src1_sel:BYTE_3
	v_cndmask_b32_e32 v4, v8, v4, vcc_lo
	v_and_b32_e32 v5, 3, v5
	v_lshl_add_u32 v4, v4, 23, 0x37800000
	v_cndmask_b32_e32 v1, v1, v5, vcc_lo
	v_and_b32_e32 v5, 0x80000000, v10
	v_lshlrev_b32_e32 v1, 21, v1
	v_or3_b32 v1, v5, v4, v1
.LBB4_4960:                             ;   in Loop: Header=BB4_4792 Depth=3
	s_or_b32 exec_lo, exec_lo, s72
	v_mul_f32_e32 v1, s23, v1
	v_mov_b32_e32 v125, 0x8000
	s_mov_b32 s72, exec_lo
	v_and_b32_e32 v4, 0x7f800000, v1
	v_cmpx_ne_u32_e32 0x7f800000, v4
	s_cbranch_execz .LBB4_4968
; %bb.4961:                             ;   in Loop: Header=BB4_4792 Depth=3
	v_mov_b32_e32 v125, 0
	s_mov_b32 s73, exec_lo
	v_cmpx_ne_u32_e32 0, v1
	s_cbranch_execz .LBB4_4967
; %bb.4962:                             ;   in Loop: Header=BB4_4792 Depth=3
	v_bfe_u32 v4, v1, 23, 8
	v_and_b32_e32 v5, 0x7fffff, v1
	v_sub_nc_u32_e32 v8, 0x70, v4
	v_cmp_gt_u32_e32 vcc_lo, 0x71, v4
	v_or_b32_e32 v9, 0x800000, v5
	v_cndmask_b32_e32 v8, 0, v8, vcc_lo
	v_cmp_eq_u32_e32 vcc_lo, 0, v4
	v_add_nc_u32_e32 v4, 0xffffff91, v4
	v_cndmask_b32_e64 v8, v8, 0x6f, vcc_lo
	v_cndmask_b32_e32 v5, v9, v5, vcc_lo
	v_cndmask_b32_e64 v4, v4, 0xffffff92, vcc_lo
	v_lshl_add_u32 v9, 0x200000, v8, -1
	v_lshrrev_b32_e32 v10, v8, v5
	v_lshlrev_b32_e64 v15, v8, 0x100000
	v_add_nc_u32_e32 v8, v8, v4
	v_and_b32_e32 v5, v9, v5
	v_bfe_u32 v14, v10, 21, 1
	v_cmp_eq_u32_e64 s16, v5, v15
	v_add_nc_u32_e32 v9, -1, v14
	v_cndmask_b32_e64 v5, 0, v9, s16
	v_lshrrev_b32_e32 v9, 23, v10
	s_mov_b32 s16, exec_lo
	v_add_nc_u32_e32 v5, v5, v10
	v_xor_b32_e32 v9, 1, v9
	v_and_b32_e32 v4, 0x1fffff, v5
	v_add_nc_u32_e32 v5, v4, v10
                                        ; implicit-def: $vgpr4
	v_cmpx_ne_u32_e64 v8, v9
	s_xor_b32 s16, exec_lo, s16
; %bb.4963:                             ;   in Loop: Header=BB4_4792 Depth=3
	v_cmp_lt_u32_e32 vcc_lo, 0xffffff, v5
	v_sub_nc_u32_e32 v4, v8, v9
	v_cndmask_b32_e64 v8, 0, 1, vcc_lo
	v_add_co_ci_u32_e64 v4, null, 0, v4, vcc_lo
	v_lshrrev_b32_e32 v5, v8, v5
; %bb.4964:                             ;   in Loop: Header=BB4_4792 Depth=3
	s_andn2_saveexec_b32 s16, s16
; %bb.4965:                             ;   in Loop: Header=BB4_4792 Depth=3
	v_bfe_u32 v4, v5, 23, 1
; %bb.4966:                             ;   in Loop: Header=BB4_4792 Depth=3
	s_or_b32 exec_lo, exec_lo, s16
	v_lshrrev_b32_e32 v5, 21, v5
	v_min_i32_e32 v8, 31, v4
	v_cmp_gt_i32_e32 vcc_lo, 32, v4
	v_and_b32_sdwa v1, v1, v101 dst_sel:DWORD dst_unused:UNUSED_PAD src0_sel:BYTE_3 src1_sel:DWORD
	v_lshlrev_b32_e32 v8, 2, v8
	v_cndmask_b32_e32 v5, 3, v5, vcc_lo
	v_and_b32_e32 v8, 0xfc, v8
	v_and_b32_e32 v9, 3, v5
	v_or_b32_e32 v4, v4, v5
	v_or3_b32 v1, v1, v8, v9
	v_cmp_ne_u32_e32 vcc_lo, 0, v4
	v_lshlrev_b32_e32 v1, 8, v1
	v_cndmask_b32_e32 v125, 0, v1, vcc_lo
.LBB4_4967:                             ;   in Loop: Header=BB4_4792 Depth=3
	s_or_b32 exec_lo, exec_lo, s73
.LBB4_4968:                             ;   in Loop: Header=BB4_4792 Depth=3
	s_or_b32 exec_lo, exec_lo, s72
	v_cmp_gt_i16_sdwa s72, v11, v100 src0_sel:BYTE_0 src1_sel:DWORD
	s_mov_b32 s16, 0
	s_and_saveexec_b32 s73, s72
	s_xor_b32 s72, exec_lo, s73
	s_cbranch_execz .LBB4_5910
; %bb.4969:                             ;   in Loop: Header=BB4_4792 Depth=3
	v_cmp_eq_u16_sdwa s74, v11, v101 src0_sel:BYTE_0 src1_sel:DWORD
	s_mov_b32 s16, -1
	s_and_saveexec_b32 s73, s74
; %bb.4970:                             ;   in Loop: Header=BB4_4792 Depth=3
	s_xor_b32 s16, exec_lo, -1
; %bb.4971:                             ;   in Loop: Header=BB4_4792 Depth=3
	s_or_b32 exec_lo, exec_lo, s73
	s_and_b32 s16, s16, exec_lo
	s_or_saveexec_b32 s72, s72
	v_mov_b32_e32 v1, 0x7f800001
	s_xor_b32 exec_lo, exec_lo, s72
	s_cbranch_execnz .LBB4_5911
.LBB4_4972:                             ;   in Loop: Header=BB4_4792 Depth=3
	s_or_b32 exec_lo, exec_lo, s72
	s_and_saveexec_b32 s72, s16
	s_cbranch_execz .LBB4_4974
.LBB4_4973:                             ;   in Loop: Header=BB4_4792 Depth=3
	v_and_b32_e32 v1, 3, v11
	v_bfe_u32 v8, v11, 2, 5
	v_lshlrev_b32_e32 v9, 24, v11
	v_ffbh_u32_e32 v4, v1
	v_cmp_eq_u32_e32 vcc_lo, 0, v8
	v_min_u32_e32 v4, 32, v4
	v_subrev_nc_u32_e32 v5, 29, v4
	v_sub_nc_u32_e32 v4, 30, v4
	v_lshlrev_b32_e32 v5, v5, v11
	v_cndmask_b32_e32 v4, v8, v4, vcc_lo
	v_and_b32_e32 v5, 3, v5
	v_lshl_add_u32 v4, v4, 23, 0x37800000
	v_cndmask_b32_e32 v1, v1, v5, vcc_lo
	v_and_b32_e32 v5, 0x80000000, v9
	v_lshlrev_b32_e32 v1, 21, v1
	v_or3_b32 v1, v5, v4, v1
.LBB4_4974:                             ;   in Loop: Header=BB4_4792 Depth=3
	s_or_b32 exec_lo, exec_lo, s72
	v_mul_f32_e32 v1, s23, v1
	v_mov_b32_e32 v120, 0x80
	s_mov_b32 s72, exec_lo
	v_and_b32_e32 v4, 0x7f800000, v1
	v_cmpx_ne_u32_e32 0x7f800000, v4
	s_cbranch_execz .LBB4_4982
; %bb.4975:                             ;   in Loop: Header=BB4_4792 Depth=3
	v_mov_b32_e32 v120, 0
	s_mov_b32 s73, exec_lo
	v_cmpx_ne_u32_e32 0, v1
	s_cbranch_execz .LBB4_4981
; %bb.4976:                             ;   in Loop: Header=BB4_4792 Depth=3
	v_bfe_u32 v4, v1, 23, 8
	v_and_b32_e32 v5, 0x7fffff, v1
	v_sub_nc_u32_e32 v8, 0x70, v4
	v_cmp_gt_u32_e32 vcc_lo, 0x71, v4
	v_or_b32_e32 v9, 0x800000, v5
	v_cndmask_b32_e32 v8, 0, v8, vcc_lo
	v_cmp_eq_u32_e32 vcc_lo, 0, v4
	v_add_nc_u32_e32 v4, 0xffffff91, v4
	v_cndmask_b32_e64 v8, v8, 0x6f, vcc_lo
	v_cndmask_b32_e32 v5, v9, v5, vcc_lo
	v_cndmask_b32_e64 v4, v4, 0xffffff92, vcc_lo
	v_lshl_add_u32 v9, 0x200000, v8, -1
	v_lshrrev_b32_e32 v10, v8, v5
	v_lshlrev_b32_e64 v15, v8, 0x100000
	v_add_nc_u32_e32 v8, v8, v4
	v_and_b32_e32 v5, v9, v5
	v_bfe_u32 v14, v10, 21, 1
	v_cmp_eq_u32_e64 s16, v5, v15
	v_add_nc_u32_e32 v9, -1, v14
	v_cndmask_b32_e64 v5, 0, v9, s16
	v_lshrrev_b32_e32 v9, 23, v10
	s_mov_b32 s16, exec_lo
	v_add_nc_u32_e32 v5, v5, v10
	v_xor_b32_e32 v9, 1, v9
	v_and_b32_e32 v4, 0x1fffff, v5
	v_add_nc_u32_e32 v5, v4, v10
                                        ; implicit-def: $vgpr4
	v_cmpx_ne_u32_e64 v8, v9
	s_xor_b32 s16, exec_lo, s16
; %bb.4977:                             ;   in Loop: Header=BB4_4792 Depth=3
	v_cmp_lt_u32_e32 vcc_lo, 0xffffff, v5
	v_sub_nc_u32_e32 v4, v8, v9
	v_cndmask_b32_e64 v8, 0, 1, vcc_lo
	v_add_co_ci_u32_e64 v4, null, 0, v4, vcc_lo
	v_lshrrev_b32_e32 v5, v8, v5
; %bb.4978:                             ;   in Loop: Header=BB4_4792 Depth=3
	s_andn2_saveexec_b32 s16, s16
; %bb.4979:                             ;   in Loop: Header=BB4_4792 Depth=3
	v_bfe_u32 v4, v5, 23, 1
; %bb.4980:                             ;   in Loop: Header=BB4_4792 Depth=3
	s_or_b32 exec_lo, exec_lo, s16
	v_lshrrev_b32_e32 v5, 21, v5
	v_min_i32_e32 v8, 31, v4
	v_cmp_gt_i32_e32 vcc_lo, 32, v4
	v_and_b32_sdwa v1, v1, v101 dst_sel:DWORD dst_unused:UNUSED_PAD src0_sel:BYTE_3 src1_sel:DWORD
	v_lshlrev_b32_e32 v8, 2, v8
	v_cndmask_b32_e32 v5, 3, v5, vcc_lo
	v_and_b32_e32 v8, 0xfc, v8
	v_and_b32_e32 v9, 3, v5
	v_or_b32_e32 v4, v4, v5
	v_or3_b32 v1, v8, v1, v9
	v_cmp_ne_u32_e32 vcc_lo, 0, v4
	v_cndmask_b32_e32 v120, 0, v1, vcc_lo
.LBB4_4981:                             ;   in Loop: Header=BB4_4792 Depth=3
	s_or_b32 exec_lo, exec_lo, s73
.LBB4_4982:                             ;   in Loop: Header=BB4_4792 Depth=3
	s_or_b32 exec_lo, exec_lo, s72
	v_cmp_gt_i16_sdwa s72, v11, v100 src0_sel:BYTE_1 src1_sel:DWORD
	s_mov_b32 s16, 0
	s_and_saveexec_b32 s73, s72
	s_xor_b32 s72, exec_lo, s73
	s_cbranch_execz .LBB4_5912
; %bb.4983:                             ;   in Loop: Header=BB4_4792 Depth=3
	v_cmp_eq_u16_sdwa s74, v11, v101 src0_sel:BYTE_1 src1_sel:DWORD
	s_mov_b32 s16, -1
	s_and_saveexec_b32 s73, s74
; %bb.4984:                             ;   in Loop: Header=BB4_4792 Depth=3
	s_xor_b32 s16, exec_lo, -1
; %bb.4985:                             ;   in Loop: Header=BB4_4792 Depth=3
	s_or_b32 exec_lo, exec_lo, s73
	s_and_b32 s16, s16, exec_lo
	s_or_saveexec_b32 s72, s72
	v_mov_b32_e32 v1, 0x7f800001
	s_xor_b32 exec_lo, exec_lo, s72
	s_cbranch_execnz .LBB4_5913
.LBB4_4986:                             ;   in Loop: Header=BB4_4792 Depth=3
	s_or_b32 exec_lo, exec_lo, s72
	s_and_saveexec_b32 s72, s16
	s_cbranch_execz .LBB4_4988
.LBB4_4987:                             ;   in Loop: Header=BB4_4792 Depth=3
	v_and_b32_sdwa v1, v102, v11 dst_sel:DWORD dst_unused:UNUSED_PAD src0_sel:DWORD src1_sel:BYTE_1
	v_and_b32_e32 v4, 3, v1
	v_bfe_u32 v9, v1, 2, 5
	v_ffbh_u32_e32 v5, v4
	v_cmp_eq_u32_e32 vcc_lo, 0, v9
	v_min_u32_e32 v5, 32, v5
	v_subrev_nc_u32_e32 v8, 29, v5
	v_sub_nc_u32_e32 v5, 30, v5
	v_lshlrev_b32_e32 v1, v8, v1
	v_lshlrev_b32_sdwa v8, v103, v11 dst_sel:DWORD dst_unused:UNUSED_PAD src0_sel:DWORD src1_sel:BYTE_1
	v_cndmask_b32_e32 v5, v9, v5, vcc_lo
	v_and_b32_e32 v1, 3, v1
	v_lshl_add_u32 v5, v5, 23, 0x37800000
	v_cndmask_b32_e32 v1, v4, v1, vcc_lo
	v_and_b32_e32 v4, 0x80000000, v8
	v_lshlrev_b32_e32 v1, 21, v1
	v_or3_b32 v1, v4, v5, v1
.LBB4_4988:                             ;   in Loop: Header=BB4_4792 Depth=3
	s_or_b32 exec_lo, exec_lo, s72
	v_mul_f32_e32 v1, s23, v1
	v_mov_b32_e32 v122, 0x8000
	s_mov_b32 s72, exec_lo
	v_and_b32_e32 v4, 0x7f800000, v1
	v_cmpx_ne_u32_e32 0x7f800000, v4
	s_cbranch_execz .LBB4_4996
; %bb.4989:                             ;   in Loop: Header=BB4_4792 Depth=3
	v_mov_b32_e32 v122, 0
	s_mov_b32 s73, exec_lo
	v_cmpx_ne_u32_e32 0, v1
	s_cbranch_execz .LBB4_4995
; %bb.4990:                             ;   in Loop: Header=BB4_4792 Depth=3
	v_bfe_u32 v4, v1, 23, 8
	v_and_b32_e32 v5, 0x7fffff, v1
	v_sub_nc_u32_e32 v8, 0x70, v4
	v_cmp_gt_u32_e32 vcc_lo, 0x71, v4
	v_or_b32_e32 v9, 0x800000, v5
	v_cndmask_b32_e32 v8, 0, v8, vcc_lo
	v_cmp_eq_u32_e32 vcc_lo, 0, v4
	v_add_nc_u32_e32 v4, 0xffffff91, v4
	v_cndmask_b32_e64 v8, v8, 0x6f, vcc_lo
	v_cndmask_b32_e32 v5, v9, v5, vcc_lo
	v_cndmask_b32_e64 v4, v4, 0xffffff92, vcc_lo
	v_lshl_add_u32 v9, 0x200000, v8, -1
	v_lshrrev_b32_e32 v10, v8, v5
	v_lshlrev_b32_e64 v15, v8, 0x100000
	v_add_nc_u32_e32 v8, v8, v4
	v_and_b32_e32 v5, v9, v5
	v_bfe_u32 v14, v10, 21, 1
	v_cmp_eq_u32_e64 s16, v5, v15
	v_add_nc_u32_e32 v9, -1, v14
	v_cndmask_b32_e64 v5, 0, v9, s16
	v_lshrrev_b32_e32 v9, 23, v10
	s_mov_b32 s16, exec_lo
	v_add_nc_u32_e32 v5, v5, v10
	v_xor_b32_e32 v9, 1, v9
	v_and_b32_e32 v4, 0x1fffff, v5
	v_add_nc_u32_e32 v5, v4, v10
                                        ; implicit-def: $vgpr4
	v_cmpx_ne_u32_e64 v8, v9
	s_xor_b32 s16, exec_lo, s16
; %bb.4991:                             ;   in Loop: Header=BB4_4792 Depth=3
	v_cmp_lt_u32_e32 vcc_lo, 0xffffff, v5
	v_sub_nc_u32_e32 v4, v8, v9
	v_cndmask_b32_e64 v8, 0, 1, vcc_lo
	v_add_co_ci_u32_e64 v4, null, 0, v4, vcc_lo
	v_lshrrev_b32_e32 v5, v8, v5
; %bb.4992:                             ;   in Loop: Header=BB4_4792 Depth=3
	s_andn2_saveexec_b32 s16, s16
; %bb.4993:                             ;   in Loop: Header=BB4_4792 Depth=3
	v_bfe_u32 v4, v5, 23, 1
; %bb.4994:                             ;   in Loop: Header=BB4_4792 Depth=3
	s_or_b32 exec_lo, exec_lo, s16
	v_lshrrev_b32_e32 v5, 21, v5
	v_min_i32_e32 v8, 31, v4
	v_cmp_gt_i32_e32 vcc_lo, 32, v4
	v_and_b32_sdwa v1, v1, v101 dst_sel:DWORD dst_unused:UNUSED_PAD src0_sel:BYTE_3 src1_sel:DWORD
	v_lshlrev_b32_e32 v8, 2, v8
	v_cndmask_b32_e32 v5, 3, v5, vcc_lo
	v_and_b32_e32 v8, 0xfc, v8
	v_and_b32_e32 v9, 3, v5
	v_or_b32_e32 v4, v4, v5
	v_or3_b32 v1, v1, v8, v9
	v_cmp_ne_u32_e32 vcc_lo, 0, v4
	v_lshlrev_b32_e32 v1, 8, v1
	v_cndmask_b32_e32 v122, 0, v1, vcc_lo
.LBB4_4995:                             ;   in Loop: Header=BB4_4792 Depth=3
	s_or_b32 exec_lo, exec_lo, s73
.LBB4_4996:                             ;   in Loop: Header=BB4_4792 Depth=3
	s_or_b32 exec_lo, exec_lo, s72
	v_and_b32_sdwa v4, v11, v112 dst_sel:DWORD dst_unused:UNUSED_PAD src0_sel:WORD_1 src1_sel:DWORD
	s_mov_b32 s16, 0
	s_mov_b32 s72, exec_lo
	v_cmpx_lt_i16_e32 0x7f, v4
	s_xor_b32 s72, exec_lo, s72
	s_cbranch_execz .LBB4_5914
; %bb.4997:                             ;   in Loop: Header=BB4_4792 Depth=3
	s_mov_b32 s16, -1
	s_mov_b32 s73, exec_lo
	v_cmpx_eq_u16_e32 0x80, v4
; %bb.4998:                             ;   in Loop: Header=BB4_4792 Depth=3
	s_xor_b32 s16, exec_lo, -1
; %bb.4999:                             ;   in Loop: Header=BB4_4792 Depth=3
	s_or_b32 exec_lo, exec_lo, s73
	s_and_b32 s16, s16, exec_lo
                                        ; implicit-def: $vgpr4
	s_or_saveexec_b32 s72, s72
	v_mov_b32_e32 v1, 0x7f800001
	s_xor_b32 exec_lo, exec_lo, s72
	s_cbranch_execnz .LBB4_5915
.LBB4_5000:                             ;   in Loop: Header=BB4_4792 Depth=3
	s_or_b32 exec_lo, exec_lo, s72
	s_and_saveexec_b32 s72, s16
	s_cbranch_execz .LBB4_5002
.LBB4_5001:                             ;   in Loop: Header=BB4_4792 Depth=3
	v_bfe_u32 v1, v11, 16, 2
	v_bfe_u32 v8, v11, 18, 5
	v_lshlrev_b32_e32 v9, 8, v11
	v_ffbh_u32_e32 v4, v1
	v_cmp_eq_u32_e32 vcc_lo, 0, v8
	v_min_u32_e32 v4, 32, v4
	v_subrev_nc_u32_e32 v5, 29, v4
	v_sub_nc_u32_e32 v4, 30, v4
	v_lshlrev_b32_sdwa v5, v5, v11 dst_sel:DWORD dst_unused:UNUSED_PAD src0_sel:DWORD src1_sel:WORD_1
	v_cndmask_b32_e32 v4, v8, v4, vcc_lo
	v_and_b32_e32 v5, 3, v5
	v_lshl_add_u32 v4, v4, 23, 0x37800000
	v_cndmask_b32_e32 v1, v1, v5, vcc_lo
	v_and_b32_e32 v5, 0x80000000, v9
	v_lshlrev_b32_e32 v1, 21, v1
	v_or3_b32 v1, v5, v4, v1
.LBB4_5002:                             ;   in Loop: Header=BB4_4792 Depth=3
	s_or_b32 exec_lo, exec_lo, s72
	v_mul_f32_e32 v1, s23, v1
	v_mov_b32_e32 v110, 0x80
	s_mov_b32 s72, exec_lo
	v_and_b32_e32 v4, 0x7f800000, v1
	v_cmpx_ne_u32_e32 0x7f800000, v4
	s_cbranch_execz .LBB4_5010
; %bb.5003:                             ;   in Loop: Header=BB4_4792 Depth=3
	v_mov_b32_e32 v110, 0
	s_mov_b32 s73, exec_lo
	v_cmpx_ne_u32_e32 0, v1
	s_cbranch_execz .LBB4_5009
; %bb.5004:                             ;   in Loop: Header=BB4_4792 Depth=3
	v_bfe_u32 v4, v1, 23, 8
	v_and_b32_e32 v5, 0x7fffff, v1
	v_sub_nc_u32_e32 v8, 0x70, v4
	v_cmp_gt_u32_e32 vcc_lo, 0x71, v4
	v_or_b32_e32 v9, 0x800000, v5
	v_cndmask_b32_e32 v8, 0, v8, vcc_lo
	v_cmp_eq_u32_e32 vcc_lo, 0, v4
	v_add_nc_u32_e32 v4, 0xffffff91, v4
	v_cndmask_b32_e64 v8, v8, 0x6f, vcc_lo
	v_cndmask_b32_e32 v5, v9, v5, vcc_lo
	v_cndmask_b32_e64 v4, v4, 0xffffff92, vcc_lo
	v_lshl_add_u32 v9, 0x200000, v8, -1
	v_lshrrev_b32_e32 v10, v8, v5
	v_lshlrev_b32_e64 v15, v8, 0x100000
	v_add_nc_u32_e32 v8, v8, v4
	v_and_b32_e32 v5, v9, v5
	v_bfe_u32 v14, v10, 21, 1
	v_cmp_eq_u32_e64 s16, v5, v15
	v_add_nc_u32_e32 v9, -1, v14
	v_cndmask_b32_e64 v5, 0, v9, s16
	v_lshrrev_b32_e32 v9, 23, v10
	s_mov_b32 s16, exec_lo
	v_add_nc_u32_e32 v5, v5, v10
	v_xor_b32_e32 v9, 1, v9
	v_and_b32_e32 v4, 0x1fffff, v5
	v_add_nc_u32_e32 v5, v4, v10
                                        ; implicit-def: $vgpr4
	v_cmpx_ne_u32_e64 v8, v9
	s_xor_b32 s16, exec_lo, s16
; %bb.5005:                             ;   in Loop: Header=BB4_4792 Depth=3
	v_cmp_lt_u32_e32 vcc_lo, 0xffffff, v5
	v_sub_nc_u32_e32 v4, v8, v9
	v_cndmask_b32_e64 v8, 0, 1, vcc_lo
	v_add_co_ci_u32_e64 v4, null, 0, v4, vcc_lo
	v_lshrrev_b32_e32 v5, v8, v5
; %bb.5006:                             ;   in Loop: Header=BB4_4792 Depth=3
	s_andn2_saveexec_b32 s16, s16
; %bb.5007:                             ;   in Loop: Header=BB4_4792 Depth=3
	v_bfe_u32 v4, v5, 23, 1
; %bb.5008:                             ;   in Loop: Header=BB4_4792 Depth=3
	s_or_b32 exec_lo, exec_lo, s16
	v_lshrrev_b32_e32 v5, 21, v5
	v_min_i32_e32 v8, 31, v4
	v_cmp_gt_i32_e32 vcc_lo, 32, v4
	v_and_b32_sdwa v1, v1, v101 dst_sel:DWORD dst_unused:UNUSED_PAD src0_sel:BYTE_3 src1_sel:DWORD
	v_lshlrev_b32_e32 v8, 2, v8
	v_cndmask_b32_e32 v5, 3, v5, vcc_lo
	v_and_b32_e32 v8, 0xfc, v8
	v_and_b32_e32 v9, 3, v5
	v_or_b32_e32 v4, v4, v5
	v_or3_b32 v1, v8, v1, v9
	v_cmp_ne_u32_e32 vcc_lo, 0, v4
	v_cndmask_b32_e32 v110, 0, v1, vcc_lo
.LBB4_5009:                             ;   in Loop: Header=BB4_4792 Depth=3
	s_or_b32 exec_lo, exec_lo, s73
.LBB4_5010:                             ;   in Loop: Header=BB4_4792 Depth=3
	s_or_b32 exec_lo, exec_lo, s72
	v_cmp_gt_i16_sdwa s72, v11, v100 src0_sel:BYTE_3 src1_sel:DWORD
	s_mov_b32 s16, 0
	s_and_saveexec_b32 s73, s72
	s_xor_b32 s72, exec_lo, s73
	s_cbranch_execz .LBB4_5916
; %bb.5011:                             ;   in Loop: Header=BB4_4792 Depth=3
	v_cmp_eq_u16_sdwa s74, v11, v101 src0_sel:BYTE_3 src1_sel:DWORD
	s_mov_b32 s16, -1
	s_and_saveexec_b32 s73, s74
; %bb.5012:                             ;   in Loop: Header=BB4_4792 Depth=3
	s_xor_b32 s16, exec_lo, -1
; %bb.5013:                             ;   in Loop: Header=BB4_4792 Depth=3
	s_or_b32 exec_lo, exec_lo, s73
	s_and_b32 s16, s16, exec_lo
	s_or_saveexec_b32 s72, s72
	v_mov_b32_e32 v1, 0x7f800001
	s_xor_b32 exec_lo, exec_lo, s72
	s_cbranch_execnz .LBB4_5917
.LBB4_5014:                             ;   in Loop: Header=BB4_4792 Depth=3
	s_or_b32 exec_lo, exec_lo, s72
	s_and_saveexec_b32 s72, s16
	s_cbranch_execz .LBB4_5016
.LBB4_5015:                             ;   in Loop: Header=BB4_4792 Depth=3
	v_bfe_u32 v1, v11, 24, 2
	v_bfe_u32 v8, v11, 26, 5
	v_ffbh_u32_e32 v4, v1
	v_cmp_eq_u32_e32 vcc_lo, 0, v8
	v_min_u32_e32 v4, 32, v4
	v_subrev_nc_u32_e32 v5, 29, v4
	v_sub_nc_u32_e32 v4, 30, v4
	v_lshlrev_b32_sdwa v5, v5, v11 dst_sel:DWORD dst_unused:UNUSED_PAD src0_sel:DWORD src1_sel:BYTE_3
	v_cndmask_b32_e32 v4, v8, v4, vcc_lo
	v_and_b32_e32 v5, 3, v5
	v_lshl_add_u32 v4, v4, 23, 0x37800000
	v_cndmask_b32_e32 v1, v1, v5, vcc_lo
	v_and_b32_e32 v5, 0x80000000, v11
	v_lshlrev_b32_e32 v1, 21, v1
	v_or3_b32 v1, v5, v4, v1
.LBB4_5016:                             ;   in Loop: Header=BB4_4792 Depth=3
	s_or_b32 exec_lo, exec_lo, s72
	v_mul_f32_e32 v1, s23, v1
	v_mov_b32_e32 v111, 0x8000
	s_mov_b32 s72, exec_lo
	v_and_b32_e32 v4, 0x7f800000, v1
	v_cmpx_ne_u32_e32 0x7f800000, v4
	s_cbranch_execz .LBB4_5024
; %bb.5017:                             ;   in Loop: Header=BB4_4792 Depth=3
	v_mov_b32_e32 v111, 0
	s_mov_b32 s73, exec_lo
	v_cmpx_ne_u32_e32 0, v1
	s_cbranch_execz .LBB4_5023
; %bb.5018:                             ;   in Loop: Header=BB4_4792 Depth=3
	v_bfe_u32 v4, v1, 23, 8
	v_and_b32_e32 v5, 0x7fffff, v1
	v_sub_nc_u32_e32 v8, 0x70, v4
	v_cmp_gt_u32_e32 vcc_lo, 0x71, v4
	v_or_b32_e32 v9, 0x800000, v5
	v_cndmask_b32_e32 v8, 0, v8, vcc_lo
	v_cmp_eq_u32_e32 vcc_lo, 0, v4
	v_add_nc_u32_e32 v4, 0xffffff91, v4
	v_cndmask_b32_e64 v8, v8, 0x6f, vcc_lo
	v_cndmask_b32_e32 v5, v9, v5, vcc_lo
	v_cndmask_b32_e64 v4, v4, 0xffffff92, vcc_lo
	v_lshl_add_u32 v9, 0x200000, v8, -1
	v_lshrrev_b32_e32 v10, v8, v5
	v_lshlrev_b32_e64 v14, v8, 0x100000
	v_add_nc_u32_e32 v8, v8, v4
	v_and_b32_e32 v5, v9, v5
	v_bfe_u32 v11, v10, 21, 1
	v_cmp_eq_u32_e64 s16, v5, v14
	v_add_nc_u32_e32 v9, -1, v11
	v_cndmask_b32_e64 v5, 0, v9, s16
	v_lshrrev_b32_e32 v9, 23, v10
	s_mov_b32 s16, exec_lo
	v_add_nc_u32_e32 v5, v5, v10
	v_xor_b32_e32 v9, 1, v9
	v_and_b32_e32 v4, 0x1fffff, v5
	v_add_nc_u32_e32 v5, v4, v10
                                        ; implicit-def: $vgpr4
	v_cmpx_ne_u32_e64 v8, v9
	s_xor_b32 s16, exec_lo, s16
; %bb.5019:                             ;   in Loop: Header=BB4_4792 Depth=3
	v_cmp_lt_u32_e32 vcc_lo, 0xffffff, v5
	v_sub_nc_u32_e32 v4, v8, v9
	v_cndmask_b32_e64 v8, 0, 1, vcc_lo
	v_add_co_ci_u32_e64 v4, null, 0, v4, vcc_lo
	v_lshrrev_b32_e32 v5, v8, v5
; %bb.5020:                             ;   in Loop: Header=BB4_4792 Depth=3
	s_andn2_saveexec_b32 s16, s16
; %bb.5021:                             ;   in Loop: Header=BB4_4792 Depth=3
	v_bfe_u32 v4, v5, 23, 1
; %bb.5022:                             ;   in Loop: Header=BB4_4792 Depth=3
	s_or_b32 exec_lo, exec_lo, s16
	v_lshrrev_b32_e32 v5, 21, v5
	v_min_i32_e32 v8, 31, v4
	v_cmp_gt_i32_e32 vcc_lo, 32, v4
	v_and_b32_sdwa v1, v1, v101 dst_sel:DWORD dst_unused:UNUSED_PAD src0_sel:BYTE_3 src1_sel:DWORD
	v_lshlrev_b32_e32 v8, 2, v8
	v_cndmask_b32_e32 v5, 3, v5, vcc_lo
	v_and_b32_e32 v8, 0xfc, v8
	v_and_b32_e32 v9, 3, v5
	v_or_b32_e32 v4, v4, v5
	v_or3_b32 v1, v1, v8, v9
	v_cmp_ne_u32_e32 vcc_lo, 0, v4
	v_lshlrev_b32_e32 v1, 8, v1
	v_cndmask_b32_e32 v111, 0, v1, vcc_lo
.LBB4_5023:                             ;   in Loop: Header=BB4_4792 Depth=3
	s_or_b32 exec_lo, exec_lo, s73
.LBB4_5024:                             ;   in Loop: Header=BB4_4792 Depth=3
	s_or_b32 exec_lo, exec_lo, s72
	global_load_dwordx4 v[8:11], v[80:81], off offset:512 slc
	s_mov_b32 s16, 0
	s_waitcnt vmcnt(0)
	v_cmp_gt_i16_sdwa s72, v8, v100 src0_sel:BYTE_0 src1_sel:DWORD
	s_and_saveexec_b32 s73, s72
	s_xor_b32 s72, exec_lo, s73
	s_cbranch_execz .LBB4_5918
; %bb.5025:                             ;   in Loop: Header=BB4_4792 Depth=3
	v_cmp_eq_u16_sdwa s74, v8, v101 src0_sel:BYTE_0 src1_sel:DWORD
	s_mov_b32 s16, -1
	s_and_saveexec_b32 s73, s74
; %bb.5026:                             ;   in Loop: Header=BB4_4792 Depth=3
	s_xor_b32 s16, exec_lo, -1
; %bb.5027:                             ;   in Loop: Header=BB4_4792 Depth=3
	s_or_b32 exec_lo, exec_lo, s73
	s_and_b32 s16, s16, exec_lo
	s_or_saveexec_b32 s72, s72
	v_mov_b32_e32 v1, 0x7f800001
	s_xor_b32 exec_lo, exec_lo, s72
	s_cbranch_execnz .LBB4_5919
.LBB4_5028:                             ;   in Loop: Header=BB4_4792 Depth=3
	s_or_b32 exec_lo, exec_lo, s72
	s_and_saveexec_b32 s72, s16
	s_cbranch_execz .LBB4_5030
.LBB4_5029:                             ;   in Loop: Header=BB4_4792 Depth=3
	v_and_b32_e32 v1, 3, v8
	v_bfe_u32 v14, v8, 2, 5
	v_lshlrev_b32_e32 v15, 24, v8
	v_ffbh_u32_e32 v4, v1
	v_cmp_eq_u32_e32 vcc_lo, 0, v14
	v_min_u32_e32 v4, 32, v4
	v_subrev_nc_u32_e32 v5, 29, v4
	v_sub_nc_u32_e32 v4, 30, v4
	v_lshlrev_b32_e32 v5, v5, v8
	v_cndmask_b32_e32 v4, v14, v4, vcc_lo
	v_and_b32_e32 v5, 3, v5
	v_lshl_add_u32 v4, v4, 23, 0x37800000
	v_cndmask_b32_e32 v1, v1, v5, vcc_lo
	v_and_b32_e32 v5, 0x80000000, v15
	v_lshlrev_b32_e32 v1, 21, v1
	v_or3_b32 v1, v5, v4, v1
.LBB4_5030:                             ;   in Loop: Header=BB4_4792 Depth=3
	s_or_b32 exec_lo, exec_lo, s72
	v_mul_f32_e32 v1, s23, v1
	v_mov_b32_e32 v108, 0x80
	s_mov_b32 s72, exec_lo
	v_and_b32_e32 v4, 0x7f800000, v1
	v_cmpx_ne_u32_e32 0x7f800000, v4
	s_cbranch_execz .LBB4_5038
; %bb.5031:                             ;   in Loop: Header=BB4_4792 Depth=3
	v_mov_b32_e32 v108, 0
	s_mov_b32 s73, exec_lo
	v_cmpx_ne_u32_e32 0, v1
	s_cbranch_execz .LBB4_5037
; %bb.5032:                             ;   in Loop: Header=BB4_4792 Depth=3
	v_bfe_u32 v4, v1, 23, 8
	v_and_b32_e32 v5, 0x7fffff, v1
	v_sub_nc_u32_e32 v14, 0x70, v4
	v_cmp_gt_u32_e32 vcc_lo, 0x71, v4
	v_or_b32_e32 v15, 0x800000, v5
	v_cndmask_b32_e32 v14, 0, v14, vcc_lo
	v_cmp_eq_u32_e32 vcc_lo, 0, v4
	v_add_nc_u32_e32 v4, 0xffffff91, v4
	v_cndmask_b32_e64 v14, v14, 0x6f, vcc_lo
	v_cndmask_b32_e32 v5, v15, v5, vcc_lo
	v_cndmask_b32_e64 v4, v4, 0xffffff92, vcc_lo
	v_lshl_add_u32 v15, 0x200000, v14, -1
	v_lshrrev_b32_e32 v16, v14, v5
	v_lshlrev_b32_e64 v20, v14, 0x100000
	v_add_nc_u32_e32 v14, v14, v4
	v_and_b32_e32 v5, v15, v5
	v_bfe_u32 v17, v16, 21, 1
	v_cmp_eq_u32_e64 s16, v5, v20
	v_add_nc_u32_e32 v15, -1, v17
	v_cndmask_b32_e64 v5, 0, v15, s16
	v_lshrrev_b32_e32 v15, 23, v16
	s_mov_b32 s16, exec_lo
	v_add_nc_u32_e32 v5, v5, v16
	v_xor_b32_e32 v15, 1, v15
	v_and_b32_e32 v4, 0x1fffff, v5
	v_add_nc_u32_e32 v5, v4, v16
                                        ; implicit-def: $vgpr4
	v_cmpx_ne_u32_e64 v14, v15
	s_xor_b32 s16, exec_lo, s16
; %bb.5033:                             ;   in Loop: Header=BB4_4792 Depth=3
	v_cmp_lt_u32_e32 vcc_lo, 0xffffff, v5
	v_sub_nc_u32_e32 v4, v14, v15
	v_cndmask_b32_e64 v14, 0, 1, vcc_lo
	v_add_co_ci_u32_e64 v4, null, 0, v4, vcc_lo
	v_lshrrev_b32_e32 v5, v14, v5
; %bb.5034:                             ;   in Loop: Header=BB4_4792 Depth=3
	s_andn2_saveexec_b32 s16, s16
; %bb.5035:                             ;   in Loop: Header=BB4_4792 Depth=3
	v_bfe_u32 v4, v5, 23, 1
; %bb.5036:                             ;   in Loop: Header=BB4_4792 Depth=3
	s_or_b32 exec_lo, exec_lo, s16
	v_lshrrev_b32_e32 v5, 21, v5
	v_min_i32_e32 v14, 31, v4
	v_cmp_gt_i32_e32 vcc_lo, 32, v4
	v_and_b32_sdwa v1, v1, v101 dst_sel:DWORD dst_unused:UNUSED_PAD src0_sel:BYTE_3 src1_sel:DWORD
	v_lshlrev_b32_e32 v14, 2, v14
	v_cndmask_b32_e32 v5, 3, v5, vcc_lo
	v_and_b32_e32 v14, 0xfc, v14
	v_and_b32_e32 v15, 3, v5
	v_or_b32_e32 v4, v4, v5
	v_or3_b32 v1, v14, v1, v15
	v_cmp_ne_u32_e32 vcc_lo, 0, v4
	v_cndmask_b32_e32 v108, 0, v1, vcc_lo
.LBB4_5037:                             ;   in Loop: Header=BB4_4792 Depth=3
	s_or_b32 exec_lo, exec_lo, s73
.LBB4_5038:                             ;   in Loop: Header=BB4_4792 Depth=3
	s_or_b32 exec_lo, exec_lo, s72
	v_cmp_gt_i16_sdwa s72, v8, v100 src0_sel:BYTE_1 src1_sel:DWORD
	s_mov_b32 s16, 0
	s_and_saveexec_b32 s73, s72
	s_xor_b32 s72, exec_lo, s73
	s_cbranch_execz .LBB4_5920
; %bb.5039:                             ;   in Loop: Header=BB4_4792 Depth=3
	v_cmp_eq_u16_sdwa s74, v8, v101 src0_sel:BYTE_1 src1_sel:DWORD
	s_mov_b32 s16, -1
	s_and_saveexec_b32 s73, s74
; %bb.5040:                             ;   in Loop: Header=BB4_4792 Depth=3
	s_xor_b32 s16, exec_lo, -1
; %bb.5041:                             ;   in Loop: Header=BB4_4792 Depth=3
	s_or_b32 exec_lo, exec_lo, s73
	s_and_b32 s16, s16, exec_lo
	s_or_saveexec_b32 s72, s72
	v_mov_b32_e32 v1, 0x7f800001
	s_xor_b32 exec_lo, exec_lo, s72
	s_cbranch_execnz .LBB4_5921
.LBB4_5042:                             ;   in Loop: Header=BB4_4792 Depth=3
	s_or_b32 exec_lo, exec_lo, s72
	s_and_saveexec_b32 s72, s16
	s_cbranch_execz .LBB4_5044
.LBB4_5043:                             ;   in Loop: Header=BB4_4792 Depth=3
	v_and_b32_sdwa v1, v102, v8 dst_sel:DWORD dst_unused:UNUSED_PAD src0_sel:DWORD src1_sel:BYTE_1
	v_and_b32_e32 v4, 3, v1
	v_bfe_u32 v15, v1, 2, 5
	v_ffbh_u32_e32 v5, v4
	v_cmp_eq_u32_e32 vcc_lo, 0, v15
	v_min_u32_e32 v5, 32, v5
	v_subrev_nc_u32_e32 v14, 29, v5
	v_sub_nc_u32_e32 v5, 30, v5
	v_lshlrev_b32_e32 v1, v14, v1
	v_lshlrev_b32_sdwa v14, v103, v8 dst_sel:DWORD dst_unused:UNUSED_PAD src0_sel:DWORD src1_sel:BYTE_1
	v_cndmask_b32_e32 v5, v15, v5, vcc_lo
	v_and_b32_e32 v1, 3, v1
	v_lshl_add_u32 v5, v5, 23, 0x37800000
	v_cndmask_b32_e32 v1, v4, v1, vcc_lo
	v_and_b32_e32 v4, 0x80000000, v14
	v_lshlrev_b32_e32 v1, 21, v1
	v_or3_b32 v1, v4, v5, v1
.LBB4_5044:                             ;   in Loop: Header=BB4_4792 Depth=3
	s_or_b32 exec_lo, exec_lo, s72
	v_mul_f32_e32 v1, s23, v1
	v_mov_b32_e32 v109, 0x8000
	s_mov_b32 s72, exec_lo
	v_and_b32_e32 v4, 0x7f800000, v1
	v_cmpx_ne_u32_e32 0x7f800000, v4
	s_cbranch_execz .LBB4_5052
; %bb.5045:                             ;   in Loop: Header=BB4_4792 Depth=3
	v_mov_b32_e32 v109, 0
	s_mov_b32 s73, exec_lo
	v_cmpx_ne_u32_e32 0, v1
	s_cbranch_execz .LBB4_5051
; %bb.5046:                             ;   in Loop: Header=BB4_4792 Depth=3
	v_bfe_u32 v4, v1, 23, 8
	v_and_b32_e32 v5, 0x7fffff, v1
	v_sub_nc_u32_e32 v14, 0x70, v4
	v_cmp_gt_u32_e32 vcc_lo, 0x71, v4
	v_or_b32_e32 v15, 0x800000, v5
	v_cndmask_b32_e32 v14, 0, v14, vcc_lo
	v_cmp_eq_u32_e32 vcc_lo, 0, v4
	v_add_nc_u32_e32 v4, 0xffffff91, v4
	v_cndmask_b32_e64 v14, v14, 0x6f, vcc_lo
	v_cndmask_b32_e32 v5, v15, v5, vcc_lo
	v_cndmask_b32_e64 v4, v4, 0xffffff92, vcc_lo
	v_lshl_add_u32 v15, 0x200000, v14, -1
	v_lshrrev_b32_e32 v16, v14, v5
	v_lshlrev_b32_e64 v20, v14, 0x100000
	v_add_nc_u32_e32 v14, v14, v4
	v_and_b32_e32 v5, v15, v5
	v_bfe_u32 v17, v16, 21, 1
	v_cmp_eq_u32_e64 s16, v5, v20
	v_add_nc_u32_e32 v15, -1, v17
	v_cndmask_b32_e64 v5, 0, v15, s16
	v_lshrrev_b32_e32 v15, 23, v16
	s_mov_b32 s16, exec_lo
	v_add_nc_u32_e32 v5, v5, v16
	v_xor_b32_e32 v15, 1, v15
	v_and_b32_e32 v4, 0x1fffff, v5
	v_add_nc_u32_e32 v5, v4, v16
                                        ; implicit-def: $vgpr4
	v_cmpx_ne_u32_e64 v14, v15
	s_xor_b32 s16, exec_lo, s16
; %bb.5047:                             ;   in Loop: Header=BB4_4792 Depth=3
	v_cmp_lt_u32_e32 vcc_lo, 0xffffff, v5
	v_sub_nc_u32_e32 v4, v14, v15
	v_cndmask_b32_e64 v14, 0, 1, vcc_lo
	v_add_co_ci_u32_e64 v4, null, 0, v4, vcc_lo
	v_lshrrev_b32_e32 v5, v14, v5
; %bb.5048:                             ;   in Loop: Header=BB4_4792 Depth=3
	s_andn2_saveexec_b32 s16, s16
; %bb.5049:                             ;   in Loop: Header=BB4_4792 Depth=3
	v_bfe_u32 v4, v5, 23, 1
; %bb.5050:                             ;   in Loop: Header=BB4_4792 Depth=3
	s_or_b32 exec_lo, exec_lo, s16
	v_lshrrev_b32_e32 v5, 21, v5
	v_min_i32_e32 v14, 31, v4
	v_cmp_gt_i32_e32 vcc_lo, 32, v4
	v_and_b32_sdwa v1, v1, v101 dst_sel:DWORD dst_unused:UNUSED_PAD src0_sel:BYTE_3 src1_sel:DWORD
	v_lshlrev_b32_e32 v14, 2, v14
	v_cndmask_b32_e32 v5, 3, v5, vcc_lo
	v_and_b32_e32 v14, 0xfc, v14
	v_and_b32_e32 v15, 3, v5
	v_or_b32_e32 v4, v4, v5
	v_or3_b32 v1, v1, v14, v15
	v_cmp_ne_u32_e32 vcc_lo, 0, v4
	v_lshlrev_b32_e32 v1, 8, v1
	v_cndmask_b32_e32 v109, 0, v1, vcc_lo
.LBB4_5051:                             ;   in Loop: Header=BB4_4792 Depth=3
	s_or_b32 exec_lo, exec_lo, s73
.LBB4_5052:                             ;   in Loop: Header=BB4_4792 Depth=3
	s_or_b32 exec_lo, exec_lo, s72
	v_and_b32_sdwa v4, v8, v112 dst_sel:DWORD dst_unused:UNUSED_PAD src0_sel:WORD_1 src1_sel:DWORD
	s_mov_b32 s16, 0
	s_mov_b32 s72, exec_lo
	v_cmpx_lt_i16_e32 0x7f, v4
	s_xor_b32 s72, exec_lo, s72
	s_cbranch_execz .LBB4_5922
; %bb.5053:                             ;   in Loop: Header=BB4_4792 Depth=3
	s_mov_b32 s16, -1
	s_mov_b32 s73, exec_lo
	v_cmpx_eq_u16_e32 0x80, v4
; %bb.5054:                             ;   in Loop: Header=BB4_4792 Depth=3
	s_xor_b32 s16, exec_lo, -1
; %bb.5055:                             ;   in Loop: Header=BB4_4792 Depth=3
	s_or_b32 exec_lo, exec_lo, s73
	s_and_b32 s16, s16, exec_lo
                                        ; implicit-def: $vgpr4
	s_or_saveexec_b32 s72, s72
	v_mov_b32_e32 v1, 0x7f800001
	s_xor_b32 exec_lo, exec_lo, s72
	s_cbranch_execnz .LBB4_5923
.LBB4_5056:                             ;   in Loop: Header=BB4_4792 Depth=3
	s_or_b32 exec_lo, exec_lo, s72
	s_and_saveexec_b32 s72, s16
	s_cbranch_execz .LBB4_5058
.LBB4_5057:                             ;   in Loop: Header=BB4_4792 Depth=3
	v_bfe_u32 v1, v8, 16, 2
	v_bfe_u32 v14, v8, 18, 5
	v_lshlrev_b32_e32 v15, 8, v8
	v_ffbh_u32_e32 v4, v1
	v_cmp_eq_u32_e32 vcc_lo, 0, v14
	v_min_u32_e32 v4, 32, v4
	v_subrev_nc_u32_e32 v5, 29, v4
	v_sub_nc_u32_e32 v4, 30, v4
	v_lshlrev_b32_sdwa v5, v5, v8 dst_sel:DWORD dst_unused:UNUSED_PAD src0_sel:DWORD src1_sel:WORD_1
	v_cndmask_b32_e32 v4, v14, v4, vcc_lo
	v_and_b32_e32 v5, 3, v5
	v_lshl_add_u32 v4, v4, 23, 0x37800000
	v_cndmask_b32_e32 v1, v1, v5, vcc_lo
	v_and_b32_e32 v5, 0x80000000, v15
	v_lshlrev_b32_e32 v1, 21, v1
	v_or3_b32 v1, v5, v4, v1
.LBB4_5058:                             ;   in Loop: Header=BB4_4792 Depth=3
	s_or_b32 exec_lo, exec_lo, s72
	v_mul_f32_e32 v1, s23, v1
	v_mov_b32_e32 v105, 0x80
	s_mov_b32 s72, exec_lo
	v_and_b32_e32 v4, 0x7f800000, v1
	v_cmpx_ne_u32_e32 0x7f800000, v4
	s_cbranch_execz .LBB4_5066
; %bb.5059:                             ;   in Loop: Header=BB4_4792 Depth=3
	v_mov_b32_e32 v105, 0
	s_mov_b32 s73, exec_lo
	v_cmpx_ne_u32_e32 0, v1
	s_cbranch_execz .LBB4_5065
; %bb.5060:                             ;   in Loop: Header=BB4_4792 Depth=3
	v_bfe_u32 v4, v1, 23, 8
	v_and_b32_e32 v5, 0x7fffff, v1
	v_sub_nc_u32_e32 v14, 0x70, v4
	v_cmp_gt_u32_e32 vcc_lo, 0x71, v4
	v_or_b32_e32 v15, 0x800000, v5
	v_cndmask_b32_e32 v14, 0, v14, vcc_lo
	v_cmp_eq_u32_e32 vcc_lo, 0, v4
	v_add_nc_u32_e32 v4, 0xffffff91, v4
	v_cndmask_b32_e64 v14, v14, 0x6f, vcc_lo
	v_cndmask_b32_e32 v5, v15, v5, vcc_lo
	v_cndmask_b32_e64 v4, v4, 0xffffff92, vcc_lo
	v_lshl_add_u32 v15, 0x200000, v14, -1
	v_lshrrev_b32_e32 v16, v14, v5
	v_lshlrev_b32_e64 v20, v14, 0x100000
	v_add_nc_u32_e32 v14, v14, v4
	v_and_b32_e32 v5, v15, v5
	v_bfe_u32 v17, v16, 21, 1
	v_cmp_eq_u32_e64 s16, v5, v20
	v_add_nc_u32_e32 v15, -1, v17
	v_cndmask_b32_e64 v5, 0, v15, s16
	v_lshrrev_b32_e32 v15, 23, v16
	s_mov_b32 s16, exec_lo
	v_add_nc_u32_e32 v5, v5, v16
	v_xor_b32_e32 v15, 1, v15
	v_and_b32_e32 v4, 0x1fffff, v5
	v_add_nc_u32_e32 v5, v4, v16
                                        ; implicit-def: $vgpr4
	v_cmpx_ne_u32_e64 v14, v15
	s_xor_b32 s16, exec_lo, s16
; %bb.5061:                             ;   in Loop: Header=BB4_4792 Depth=3
	v_cmp_lt_u32_e32 vcc_lo, 0xffffff, v5
	v_sub_nc_u32_e32 v4, v14, v15
	v_cndmask_b32_e64 v14, 0, 1, vcc_lo
	v_add_co_ci_u32_e64 v4, null, 0, v4, vcc_lo
	v_lshrrev_b32_e32 v5, v14, v5
; %bb.5062:                             ;   in Loop: Header=BB4_4792 Depth=3
	s_andn2_saveexec_b32 s16, s16
; %bb.5063:                             ;   in Loop: Header=BB4_4792 Depth=3
	v_bfe_u32 v4, v5, 23, 1
; %bb.5064:                             ;   in Loop: Header=BB4_4792 Depth=3
	s_or_b32 exec_lo, exec_lo, s16
	v_lshrrev_b32_e32 v5, 21, v5
	v_min_i32_e32 v14, 31, v4
	v_cmp_gt_i32_e32 vcc_lo, 32, v4
	v_and_b32_sdwa v1, v1, v101 dst_sel:DWORD dst_unused:UNUSED_PAD src0_sel:BYTE_3 src1_sel:DWORD
	v_lshlrev_b32_e32 v14, 2, v14
	v_cndmask_b32_e32 v5, 3, v5, vcc_lo
	v_and_b32_e32 v14, 0xfc, v14
	v_and_b32_e32 v15, 3, v5
	v_or_b32_e32 v4, v4, v5
	v_or3_b32 v1, v14, v1, v15
	v_cmp_ne_u32_e32 vcc_lo, 0, v4
	v_cndmask_b32_e32 v105, 0, v1, vcc_lo
.LBB4_5065:                             ;   in Loop: Header=BB4_4792 Depth=3
	s_or_b32 exec_lo, exec_lo, s73
.LBB4_5066:                             ;   in Loop: Header=BB4_4792 Depth=3
	s_or_b32 exec_lo, exec_lo, s72
	v_cmp_gt_i16_sdwa s72, v8, v100 src0_sel:BYTE_3 src1_sel:DWORD
	s_mov_b32 s16, 0
	s_and_saveexec_b32 s73, s72
	s_xor_b32 s72, exec_lo, s73
	s_cbranch_execz .LBB4_5924
; %bb.5067:                             ;   in Loop: Header=BB4_4792 Depth=3
	v_cmp_eq_u16_sdwa s74, v8, v101 src0_sel:BYTE_3 src1_sel:DWORD
	s_mov_b32 s16, -1
	s_and_saveexec_b32 s73, s74
; %bb.5068:                             ;   in Loop: Header=BB4_4792 Depth=3
	s_xor_b32 s16, exec_lo, -1
; %bb.5069:                             ;   in Loop: Header=BB4_4792 Depth=3
	s_or_b32 exec_lo, exec_lo, s73
	s_and_b32 s16, s16, exec_lo
	s_or_saveexec_b32 s72, s72
	v_mov_b32_e32 v1, 0x7f800001
	s_xor_b32 exec_lo, exec_lo, s72
	s_cbranch_execnz .LBB4_5925
.LBB4_5070:                             ;   in Loop: Header=BB4_4792 Depth=3
	s_or_b32 exec_lo, exec_lo, s72
	s_and_saveexec_b32 s72, s16
	s_cbranch_execz .LBB4_5072
.LBB4_5071:                             ;   in Loop: Header=BB4_4792 Depth=3
	v_bfe_u32 v1, v8, 24, 2
	v_bfe_u32 v14, v8, 26, 5
	v_ffbh_u32_e32 v4, v1
	v_cmp_eq_u32_e32 vcc_lo, 0, v14
	v_min_u32_e32 v4, 32, v4
	v_subrev_nc_u32_e32 v5, 29, v4
	v_sub_nc_u32_e32 v4, 30, v4
	v_lshlrev_b32_sdwa v5, v5, v8 dst_sel:DWORD dst_unused:UNUSED_PAD src0_sel:DWORD src1_sel:BYTE_3
	v_cndmask_b32_e32 v4, v14, v4, vcc_lo
	v_and_b32_e32 v5, 3, v5
	v_lshl_add_u32 v4, v4, 23, 0x37800000
	v_cndmask_b32_e32 v1, v1, v5, vcc_lo
	v_and_b32_e32 v5, 0x80000000, v8
	v_lshlrev_b32_e32 v1, 21, v1
	v_or3_b32 v1, v5, v4, v1
.LBB4_5072:                             ;   in Loop: Header=BB4_4792 Depth=3
	s_or_b32 exec_lo, exec_lo, s72
	v_mul_f32_e32 v1, s23, v1
	v_mov_b32_e32 v106, 0x8000
	s_mov_b32 s72, exec_lo
	v_and_b32_e32 v4, 0x7f800000, v1
	v_cmpx_ne_u32_e32 0x7f800000, v4
	s_cbranch_execz .LBB4_5080
; %bb.5073:                             ;   in Loop: Header=BB4_4792 Depth=3
	v_mov_b32_e32 v106, 0
	s_mov_b32 s73, exec_lo
	v_cmpx_ne_u32_e32 0, v1
	s_cbranch_execz .LBB4_5079
; %bb.5074:                             ;   in Loop: Header=BB4_4792 Depth=3
	v_bfe_u32 v4, v1, 23, 8
	v_and_b32_e32 v5, 0x7fffff, v1
	v_sub_nc_u32_e32 v8, 0x70, v4
	v_cmp_gt_u32_e32 vcc_lo, 0x71, v4
	v_or_b32_e32 v14, 0x800000, v5
	v_cndmask_b32_e32 v8, 0, v8, vcc_lo
	v_cmp_eq_u32_e32 vcc_lo, 0, v4
	v_add_nc_u32_e32 v4, 0xffffff91, v4
	v_cndmask_b32_e64 v8, v8, 0x6f, vcc_lo
	v_cndmask_b32_e32 v5, v14, v5, vcc_lo
	v_cndmask_b32_e64 v4, v4, 0xffffff92, vcc_lo
	v_lshl_add_u32 v14, 0x200000, v8, -1
	v_lshrrev_b32_e32 v15, v8, v5
	v_lshlrev_b32_e64 v17, v8, 0x100000
	v_add_nc_u32_e32 v8, v8, v4
	v_and_b32_e32 v5, v14, v5
	v_bfe_u32 v16, v15, 21, 1
	v_cmp_eq_u32_e64 s16, v5, v17
	v_add_nc_u32_e32 v14, -1, v16
	v_cndmask_b32_e64 v5, 0, v14, s16
	v_lshrrev_b32_e32 v14, 23, v15
	s_mov_b32 s16, exec_lo
	v_add_nc_u32_e32 v5, v5, v15
	v_xor_b32_e32 v14, 1, v14
	v_and_b32_e32 v4, 0x1fffff, v5
	v_add_nc_u32_e32 v5, v4, v15
                                        ; implicit-def: $vgpr4
	v_cmpx_ne_u32_e64 v8, v14
	s_xor_b32 s16, exec_lo, s16
; %bb.5075:                             ;   in Loop: Header=BB4_4792 Depth=3
	v_cmp_lt_u32_e32 vcc_lo, 0xffffff, v5
	v_sub_nc_u32_e32 v4, v8, v14
	v_cndmask_b32_e64 v8, 0, 1, vcc_lo
	v_add_co_ci_u32_e64 v4, null, 0, v4, vcc_lo
	v_lshrrev_b32_e32 v5, v8, v5
; %bb.5076:                             ;   in Loop: Header=BB4_4792 Depth=3
	s_andn2_saveexec_b32 s16, s16
; %bb.5077:                             ;   in Loop: Header=BB4_4792 Depth=3
	v_bfe_u32 v4, v5, 23, 1
; %bb.5078:                             ;   in Loop: Header=BB4_4792 Depth=3
	s_or_b32 exec_lo, exec_lo, s16
	v_lshrrev_b32_e32 v5, 21, v5
	v_min_i32_e32 v8, 31, v4
	v_cmp_gt_i32_e32 vcc_lo, 32, v4
	v_and_b32_sdwa v1, v1, v101 dst_sel:DWORD dst_unused:UNUSED_PAD src0_sel:BYTE_3 src1_sel:DWORD
	v_lshlrev_b32_e32 v8, 2, v8
	v_cndmask_b32_e32 v5, 3, v5, vcc_lo
	v_and_b32_e32 v8, 0xfc, v8
	v_and_b32_e32 v14, 3, v5
	v_or_b32_e32 v4, v4, v5
	v_or3_b32 v1, v1, v8, v14
	v_cmp_ne_u32_e32 vcc_lo, 0, v4
	v_lshlrev_b32_e32 v1, 8, v1
	v_cndmask_b32_e32 v106, 0, v1, vcc_lo
.LBB4_5079:                             ;   in Loop: Header=BB4_4792 Depth=3
	s_or_b32 exec_lo, exec_lo, s73
.LBB4_5080:                             ;   in Loop: Header=BB4_4792 Depth=3
	s_or_b32 exec_lo, exec_lo, s72
	v_cmp_gt_i16_sdwa s72, v9, v100 src0_sel:BYTE_0 src1_sel:DWORD
	s_mov_b32 s16, 0
	s_and_saveexec_b32 s73, s72
	s_xor_b32 s72, exec_lo, s73
	s_cbranch_execz .LBB4_5926
; %bb.5081:                             ;   in Loop: Header=BB4_4792 Depth=3
	v_cmp_eq_u16_sdwa s74, v9, v101 src0_sel:BYTE_0 src1_sel:DWORD
	s_mov_b32 s16, -1
	s_and_saveexec_b32 s73, s74
; %bb.5082:                             ;   in Loop: Header=BB4_4792 Depth=3
	s_xor_b32 s16, exec_lo, -1
; %bb.5083:                             ;   in Loop: Header=BB4_4792 Depth=3
	s_or_b32 exec_lo, exec_lo, s73
	s_and_b32 s16, s16, exec_lo
	s_or_saveexec_b32 s72, s72
	v_mov_b32_e32 v1, 0x7f800001
	s_xor_b32 exec_lo, exec_lo, s72
	s_cbranch_execnz .LBB4_5927
.LBB4_5084:                             ;   in Loop: Header=BB4_4792 Depth=3
	s_or_b32 exec_lo, exec_lo, s72
	s_and_saveexec_b32 s72, s16
	s_cbranch_execz .LBB4_5086
.LBB4_5085:                             ;   in Loop: Header=BB4_4792 Depth=3
	v_and_b32_e32 v1, 3, v9
	v_bfe_u32 v8, v9, 2, 5
	v_lshlrev_b32_e32 v14, 24, v9
	v_ffbh_u32_e32 v4, v1
	v_cmp_eq_u32_e32 vcc_lo, 0, v8
	v_min_u32_e32 v4, 32, v4
	v_subrev_nc_u32_e32 v5, 29, v4
	v_sub_nc_u32_e32 v4, 30, v4
	v_lshlrev_b32_e32 v5, v5, v9
	v_cndmask_b32_e32 v4, v8, v4, vcc_lo
	v_and_b32_e32 v5, 3, v5
	v_lshl_add_u32 v4, v4, 23, 0x37800000
	v_cndmask_b32_e32 v1, v1, v5, vcc_lo
	v_and_b32_e32 v5, 0x80000000, v14
	v_lshlrev_b32_e32 v1, 21, v1
	v_or3_b32 v1, v5, v4, v1
.LBB4_5086:                             ;   in Loop: Header=BB4_4792 Depth=3
	s_or_b32 exec_lo, exec_lo, s72
	v_mul_f32_e32 v1, s23, v1
	v_mov_b32_e32 v94, 0x80
	s_mov_b32 s72, exec_lo
	v_and_b32_e32 v4, 0x7f800000, v1
	v_cmpx_ne_u32_e32 0x7f800000, v4
	s_cbranch_execz .LBB4_5094
; %bb.5087:                             ;   in Loop: Header=BB4_4792 Depth=3
	v_mov_b32_e32 v94, 0
	s_mov_b32 s73, exec_lo
	v_cmpx_ne_u32_e32 0, v1
	s_cbranch_execz .LBB4_5093
; %bb.5088:                             ;   in Loop: Header=BB4_4792 Depth=3
	v_bfe_u32 v4, v1, 23, 8
	v_and_b32_e32 v5, 0x7fffff, v1
	v_sub_nc_u32_e32 v8, 0x70, v4
	v_cmp_gt_u32_e32 vcc_lo, 0x71, v4
	v_or_b32_e32 v14, 0x800000, v5
	v_cndmask_b32_e32 v8, 0, v8, vcc_lo
	v_cmp_eq_u32_e32 vcc_lo, 0, v4
	v_add_nc_u32_e32 v4, 0xffffff91, v4
	v_cndmask_b32_e64 v8, v8, 0x6f, vcc_lo
	v_cndmask_b32_e32 v5, v14, v5, vcc_lo
	v_cndmask_b32_e64 v4, v4, 0xffffff92, vcc_lo
	v_lshl_add_u32 v14, 0x200000, v8, -1
	v_lshrrev_b32_e32 v15, v8, v5
	v_lshlrev_b32_e64 v17, v8, 0x100000
	v_add_nc_u32_e32 v8, v8, v4
	v_and_b32_e32 v5, v14, v5
	v_bfe_u32 v16, v15, 21, 1
	v_cmp_eq_u32_e64 s16, v5, v17
	v_add_nc_u32_e32 v14, -1, v16
	v_cndmask_b32_e64 v5, 0, v14, s16
	v_lshrrev_b32_e32 v14, 23, v15
	s_mov_b32 s16, exec_lo
	v_add_nc_u32_e32 v5, v5, v15
	v_xor_b32_e32 v14, 1, v14
	v_and_b32_e32 v4, 0x1fffff, v5
	v_add_nc_u32_e32 v5, v4, v15
                                        ; implicit-def: $vgpr4
	v_cmpx_ne_u32_e64 v8, v14
	s_xor_b32 s16, exec_lo, s16
; %bb.5089:                             ;   in Loop: Header=BB4_4792 Depth=3
	v_cmp_lt_u32_e32 vcc_lo, 0xffffff, v5
	v_sub_nc_u32_e32 v4, v8, v14
	v_cndmask_b32_e64 v8, 0, 1, vcc_lo
	v_add_co_ci_u32_e64 v4, null, 0, v4, vcc_lo
	v_lshrrev_b32_e32 v5, v8, v5
; %bb.5090:                             ;   in Loop: Header=BB4_4792 Depth=3
	s_andn2_saveexec_b32 s16, s16
; %bb.5091:                             ;   in Loop: Header=BB4_4792 Depth=3
	v_bfe_u32 v4, v5, 23, 1
; %bb.5092:                             ;   in Loop: Header=BB4_4792 Depth=3
	s_or_b32 exec_lo, exec_lo, s16
	v_lshrrev_b32_e32 v5, 21, v5
	v_min_i32_e32 v8, 31, v4
	v_cmp_gt_i32_e32 vcc_lo, 32, v4
	v_and_b32_sdwa v1, v1, v101 dst_sel:DWORD dst_unused:UNUSED_PAD src0_sel:BYTE_3 src1_sel:DWORD
	v_lshlrev_b32_e32 v8, 2, v8
	v_cndmask_b32_e32 v5, 3, v5, vcc_lo
	v_and_b32_e32 v8, 0xfc, v8
	v_and_b32_e32 v14, 3, v5
	v_or_b32_e32 v4, v4, v5
	v_or3_b32 v1, v8, v1, v14
	v_cmp_ne_u32_e32 vcc_lo, 0, v4
	v_cndmask_b32_e32 v94, 0, v1, vcc_lo
.LBB4_5093:                             ;   in Loop: Header=BB4_4792 Depth=3
	s_or_b32 exec_lo, exec_lo, s73
.LBB4_5094:                             ;   in Loop: Header=BB4_4792 Depth=3
	s_or_b32 exec_lo, exec_lo, s72
	v_cmp_gt_i16_sdwa s72, v9, v100 src0_sel:BYTE_1 src1_sel:DWORD
	s_mov_b32 s16, 0
	s_and_saveexec_b32 s73, s72
	s_xor_b32 s72, exec_lo, s73
	s_cbranch_execz .LBB4_5928
; %bb.5095:                             ;   in Loop: Header=BB4_4792 Depth=3
	v_cmp_eq_u16_sdwa s74, v9, v101 src0_sel:BYTE_1 src1_sel:DWORD
	s_mov_b32 s16, -1
	s_and_saveexec_b32 s73, s74
; %bb.5096:                             ;   in Loop: Header=BB4_4792 Depth=3
	s_xor_b32 s16, exec_lo, -1
; %bb.5097:                             ;   in Loop: Header=BB4_4792 Depth=3
	s_or_b32 exec_lo, exec_lo, s73
	s_and_b32 s16, s16, exec_lo
	s_or_saveexec_b32 s72, s72
	v_mov_b32_e32 v1, 0x7f800001
	s_xor_b32 exec_lo, exec_lo, s72
	s_cbranch_execnz .LBB4_5929
.LBB4_5098:                             ;   in Loop: Header=BB4_4792 Depth=3
	s_or_b32 exec_lo, exec_lo, s72
	s_and_saveexec_b32 s72, s16
	s_cbranch_execz .LBB4_5100
.LBB4_5099:                             ;   in Loop: Header=BB4_4792 Depth=3
	v_and_b32_sdwa v1, v102, v9 dst_sel:DWORD dst_unused:UNUSED_PAD src0_sel:DWORD src1_sel:BYTE_1
	v_and_b32_e32 v4, 3, v1
	v_bfe_u32 v14, v1, 2, 5
	v_ffbh_u32_e32 v5, v4
	v_cmp_eq_u32_e32 vcc_lo, 0, v14
	v_min_u32_e32 v5, 32, v5
	v_subrev_nc_u32_e32 v8, 29, v5
	v_sub_nc_u32_e32 v5, 30, v5
	v_lshlrev_b32_e32 v1, v8, v1
	v_lshlrev_b32_sdwa v8, v103, v9 dst_sel:DWORD dst_unused:UNUSED_PAD src0_sel:DWORD src1_sel:BYTE_1
	v_cndmask_b32_e32 v5, v14, v5, vcc_lo
	v_and_b32_e32 v1, 3, v1
	v_lshl_add_u32 v5, v5, 23, 0x37800000
	v_cndmask_b32_e32 v1, v4, v1, vcc_lo
	v_and_b32_e32 v4, 0x80000000, v8
	v_lshlrev_b32_e32 v1, 21, v1
	v_or3_b32 v1, v4, v5, v1
.LBB4_5100:                             ;   in Loop: Header=BB4_4792 Depth=3
	s_or_b32 exec_lo, exec_lo, s72
	v_mul_f32_e32 v1, s23, v1
	v_mov_b32_e32 v95, 0x8000
	s_mov_b32 s72, exec_lo
	v_and_b32_e32 v4, 0x7f800000, v1
	v_cmpx_ne_u32_e32 0x7f800000, v4
	s_cbranch_execz .LBB4_5108
; %bb.5101:                             ;   in Loop: Header=BB4_4792 Depth=3
	v_mov_b32_e32 v95, 0
	s_mov_b32 s73, exec_lo
	v_cmpx_ne_u32_e32 0, v1
	s_cbranch_execz .LBB4_5107
; %bb.5102:                             ;   in Loop: Header=BB4_4792 Depth=3
	v_bfe_u32 v4, v1, 23, 8
	v_and_b32_e32 v5, 0x7fffff, v1
	v_sub_nc_u32_e32 v8, 0x70, v4
	v_cmp_gt_u32_e32 vcc_lo, 0x71, v4
	v_or_b32_e32 v14, 0x800000, v5
	v_cndmask_b32_e32 v8, 0, v8, vcc_lo
	v_cmp_eq_u32_e32 vcc_lo, 0, v4
	v_add_nc_u32_e32 v4, 0xffffff91, v4
	v_cndmask_b32_e64 v8, v8, 0x6f, vcc_lo
	v_cndmask_b32_e32 v5, v14, v5, vcc_lo
	v_cndmask_b32_e64 v4, v4, 0xffffff92, vcc_lo
	v_lshl_add_u32 v14, 0x200000, v8, -1
	v_lshrrev_b32_e32 v15, v8, v5
	v_lshlrev_b32_e64 v17, v8, 0x100000
	v_add_nc_u32_e32 v8, v8, v4
	v_and_b32_e32 v5, v14, v5
	v_bfe_u32 v16, v15, 21, 1
	v_cmp_eq_u32_e64 s16, v5, v17
	v_add_nc_u32_e32 v14, -1, v16
	v_cndmask_b32_e64 v5, 0, v14, s16
	v_lshrrev_b32_e32 v14, 23, v15
	s_mov_b32 s16, exec_lo
	v_add_nc_u32_e32 v5, v5, v15
	v_xor_b32_e32 v14, 1, v14
	v_and_b32_e32 v4, 0x1fffff, v5
	v_add_nc_u32_e32 v5, v4, v15
                                        ; implicit-def: $vgpr4
	v_cmpx_ne_u32_e64 v8, v14
	s_xor_b32 s16, exec_lo, s16
; %bb.5103:                             ;   in Loop: Header=BB4_4792 Depth=3
	v_cmp_lt_u32_e32 vcc_lo, 0xffffff, v5
	v_sub_nc_u32_e32 v4, v8, v14
	v_cndmask_b32_e64 v8, 0, 1, vcc_lo
	v_add_co_ci_u32_e64 v4, null, 0, v4, vcc_lo
	v_lshrrev_b32_e32 v5, v8, v5
; %bb.5104:                             ;   in Loop: Header=BB4_4792 Depth=3
	s_andn2_saveexec_b32 s16, s16
; %bb.5105:                             ;   in Loop: Header=BB4_4792 Depth=3
	v_bfe_u32 v4, v5, 23, 1
; %bb.5106:                             ;   in Loop: Header=BB4_4792 Depth=3
	s_or_b32 exec_lo, exec_lo, s16
	v_lshrrev_b32_e32 v5, 21, v5
	v_min_i32_e32 v8, 31, v4
	v_cmp_gt_i32_e32 vcc_lo, 32, v4
	v_and_b32_sdwa v1, v1, v101 dst_sel:DWORD dst_unused:UNUSED_PAD src0_sel:BYTE_3 src1_sel:DWORD
	v_lshlrev_b32_e32 v8, 2, v8
	v_cndmask_b32_e32 v5, 3, v5, vcc_lo
	v_and_b32_e32 v8, 0xfc, v8
	v_and_b32_e32 v14, 3, v5
	v_or_b32_e32 v4, v4, v5
	v_or3_b32 v1, v1, v8, v14
	v_cmp_ne_u32_e32 vcc_lo, 0, v4
	v_lshlrev_b32_e32 v1, 8, v1
	v_cndmask_b32_e32 v95, 0, v1, vcc_lo
.LBB4_5107:                             ;   in Loop: Header=BB4_4792 Depth=3
	s_or_b32 exec_lo, exec_lo, s73
.LBB4_5108:                             ;   in Loop: Header=BB4_4792 Depth=3
	s_or_b32 exec_lo, exec_lo, s72
	v_and_b32_sdwa v4, v9, v112 dst_sel:DWORD dst_unused:UNUSED_PAD src0_sel:WORD_1 src1_sel:DWORD
	s_mov_b32 s16, 0
	s_mov_b32 s72, exec_lo
	v_cmpx_lt_i16_e32 0x7f, v4
	s_xor_b32 s72, exec_lo, s72
	s_cbranch_execz .LBB4_5930
; %bb.5109:                             ;   in Loop: Header=BB4_4792 Depth=3
	s_mov_b32 s16, -1
	s_mov_b32 s73, exec_lo
	v_cmpx_eq_u16_e32 0x80, v4
; %bb.5110:                             ;   in Loop: Header=BB4_4792 Depth=3
	s_xor_b32 s16, exec_lo, -1
; %bb.5111:                             ;   in Loop: Header=BB4_4792 Depth=3
	s_or_b32 exec_lo, exec_lo, s73
	s_and_b32 s16, s16, exec_lo
                                        ; implicit-def: $vgpr4
	s_or_saveexec_b32 s72, s72
	v_mov_b32_e32 v1, 0x7f800001
	s_xor_b32 exec_lo, exec_lo, s72
	s_cbranch_execnz .LBB4_5931
.LBB4_5112:                             ;   in Loop: Header=BB4_4792 Depth=3
	s_or_b32 exec_lo, exec_lo, s72
	s_and_saveexec_b32 s72, s16
	s_cbranch_execz .LBB4_5114
.LBB4_5113:                             ;   in Loop: Header=BB4_4792 Depth=3
	v_bfe_u32 v1, v9, 16, 2
	v_bfe_u32 v8, v9, 18, 5
	v_lshlrev_b32_e32 v14, 8, v9
	v_ffbh_u32_e32 v4, v1
	v_cmp_eq_u32_e32 vcc_lo, 0, v8
	v_min_u32_e32 v4, 32, v4
	v_subrev_nc_u32_e32 v5, 29, v4
	v_sub_nc_u32_e32 v4, 30, v4
	v_lshlrev_b32_sdwa v5, v5, v9 dst_sel:DWORD dst_unused:UNUSED_PAD src0_sel:DWORD src1_sel:WORD_1
	v_cndmask_b32_e32 v4, v8, v4, vcc_lo
	v_and_b32_e32 v5, 3, v5
	v_lshl_add_u32 v4, v4, 23, 0x37800000
	v_cndmask_b32_e32 v1, v1, v5, vcc_lo
	v_and_b32_e32 v5, 0x80000000, v14
	v_lshlrev_b32_e32 v1, 21, v1
	v_or3_b32 v1, v5, v4, v1
.LBB4_5114:                             ;   in Loop: Header=BB4_4792 Depth=3
	s_or_b32 exec_lo, exec_lo, s72
	v_mul_f32_e32 v1, s23, v1
	v_mov_b32_e32 v91, 0x80
	s_mov_b32 s72, exec_lo
	v_and_b32_e32 v4, 0x7f800000, v1
	v_cmpx_ne_u32_e32 0x7f800000, v4
	s_cbranch_execz .LBB4_5122
; %bb.5115:                             ;   in Loop: Header=BB4_4792 Depth=3
	v_mov_b32_e32 v91, 0
	s_mov_b32 s73, exec_lo
	v_cmpx_ne_u32_e32 0, v1
	s_cbranch_execz .LBB4_5121
; %bb.5116:                             ;   in Loop: Header=BB4_4792 Depth=3
	v_bfe_u32 v4, v1, 23, 8
	v_and_b32_e32 v5, 0x7fffff, v1
	v_sub_nc_u32_e32 v8, 0x70, v4
	v_cmp_gt_u32_e32 vcc_lo, 0x71, v4
	v_or_b32_e32 v14, 0x800000, v5
	v_cndmask_b32_e32 v8, 0, v8, vcc_lo
	v_cmp_eq_u32_e32 vcc_lo, 0, v4
	v_add_nc_u32_e32 v4, 0xffffff91, v4
	v_cndmask_b32_e64 v8, v8, 0x6f, vcc_lo
	v_cndmask_b32_e32 v5, v14, v5, vcc_lo
	v_cndmask_b32_e64 v4, v4, 0xffffff92, vcc_lo
	v_lshl_add_u32 v14, 0x200000, v8, -1
	v_lshrrev_b32_e32 v15, v8, v5
	v_lshlrev_b32_e64 v17, v8, 0x100000
	v_add_nc_u32_e32 v8, v8, v4
	v_and_b32_e32 v5, v14, v5
	v_bfe_u32 v16, v15, 21, 1
	v_cmp_eq_u32_e64 s16, v5, v17
	v_add_nc_u32_e32 v14, -1, v16
	v_cndmask_b32_e64 v5, 0, v14, s16
	v_lshrrev_b32_e32 v14, 23, v15
	s_mov_b32 s16, exec_lo
	v_add_nc_u32_e32 v5, v5, v15
	v_xor_b32_e32 v14, 1, v14
	v_and_b32_e32 v4, 0x1fffff, v5
	v_add_nc_u32_e32 v5, v4, v15
                                        ; implicit-def: $vgpr4
	v_cmpx_ne_u32_e64 v8, v14
	s_xor_b32 s16, exec_lo, s16
; %bb.5117:                             ;   in Loop: Header=BB4_4792 Depth=3
	v_cmp_lt_u32_e32 vcc_lo, 0xffffff, v5
	v_sub_nc_u32_e32 v4, v8, v14
	v_cndmask_b32_e64 v8, 0, 1, vcc_lo
	v_add_co_ci_u32_e64 v4, null, 0, v4, vcc_lo
	v_lshrrev_b32_e32 v5, v8, v5
; %bb.5118:                             ;   in Loop: Header=BB4_4792 Depth=3
	s_andn2_saveexec_b32 s16, s16
; %bb.5119:                             ;   in Loop: Header=BB4_4792 Depth=3
	v_bfe_u32 v4, v5, 23, 1
; %bb.5120:                             ;   in Loop: Header=BB4_4792 Depth=3
	s_or_b32 exec_lo, exec_lo, s16
	v_lshrrev_b32_e32 v5, 21, v5
	v_min_i32_e32 v8, 31, v4
	v_cmp_gt_i32_e32 vcc_lo, 32, v4
	v_and_b32_sdwa v1, v1, v101 dst_sel:DWORD dst_unused:UNUSED_PAD src0_sel:BYTE_3 src1_sel:DWORD
	v_lshlrev_b32_e32 v8, 2, v8
	v_cndmask_b32_e32 v5, 3, v5, vcc_lo
	v_and_b32_e32 v8, 0xfc, v8
	v_and_b32_e32 v14, 3, v5
	v_or_b32_e32 v4, v4, v5
	v_or3_b32 v1, v8, v1, v14
	v_cmp_ne_u32_e32 vcc_lo, 0, v4
	v_cndmask_b32_e32 v91, 0, v1, vcc_lo
.LBB4_5121:                             ;   in Loop: Header=BB4_4792 Depth=3
	s_or_b32 exec_lo, exec_lo, s73
.LBB4_5122:                             ;   in Loop: Header=BB4_4792 Depth=3
	s_or_b32 exec_lo, exec_lo, s72
	v_cmp_gt_i16_sdwa s72, v9, v100 src0_sel:BYTE_3 src1_sel:DWORD
	s_mov_b32 s16, 0
	s_and_saveexec_b32 s73, s72
	s_xor_b32 s72, exec_lo, s73
	s_cbranch_execz .LBB4_5932
; %bb.5123:                             ;   in Loop: Header=BB4_4792 Depth=3
	v_cmp_eq_u16_sdwa s74, v9, v101 src0_sel:BYTE_3 src1_sel:DWORD
	s_mov_b32 s16, -1
	s_and_saveexec_b32 s73, s74
; %bb.5124:                             ;   in Loop: Header=BB4_4792 Depth=3
	s_xor_b32 s16, exec_lo, -1
; %bb.5125:                             ;   in Loop: Header=BB4_4792 Depth=3
	s_or_b32 exec_lo, exec_lo, s73
	s_and_b32 s16, s16, exec_lo
	s_or_saveexec_b32 s72, s72
	v_mov_b32_e32 v1, 0x7f800001
	s_xor_b32 exec_lo, exec_lo, s72
	s_cbranch_execnz .LBB4_5933
.LBB4_5126:                             ;   in Loop: Header=BB4_4792 Depth=3
	s_or_b32 exec_lo, exec_lo, s72
	s_and_saveexec_b32 s72, s16
	s_cbranch_execz .LBB4_5128
.LBB4_5127:                             ;   in Loop: Header=BB4_4792 Depth=3
	v_bfe_u32 v1, v9, 24, 2
	v_bfe_u32 v8, v9, 26, 5
	v_ffbh_u32_e32 v4, v1
	v_cmp_eq_u32_e32 vcc_lo, 0, v8
	v_min_u32_e32 v4, 32, v4
	v_subrev_nc_u32_e32 v5, 29, v4
	v_sub_nc_u32_e32 v4, 30, v4
	v_lshlrev_b32_sdwa v5, v5, v9 dst_sel:DWORD dst_unused:UNUSED_PAD src0_sel:DWORD src1_sel:BYTE_3
	v_cndmask_b32_e32 v4, v8, v4, vcc_lo
	v_and_b32_e32 v5, 3, v5
	v_lshl_add_u32 v4, v4, 23, 0x37800000
	v_cndmask_b32_e32 v1, v1, v5, vcc_lo
	v_and_b32_e32 v5, 0x80000000, v9
	v_lshlrev_b32_e32 v1, 21, v1
	v_or3_b32 v1, v5, v4, v1
.LBB4_5128:                             ;   in Loop: Header=BB4_4792 Depth=3
	s_or_b32 exec_lo, exec_lo, s72
	v_mul_f32_e32 v1, s23, v1
	v_mov_b32_e32 v92, 0x8000
	s_mov_b32 s72, exec_lo
	v_and_b32_e32 v4, 0x7f800000, v1
	v_cmpx_ne_u32_e32 0x7f800000, v4
	s_cbranch_execz .LBB4_5136
; %bb.5129:                             ;   in Loop: Header=BB4_4792 Depth=3
	v_mov_b32_e32 v92, 0
	s_mov_b32 s73, exec_lo
	v_cmpx_ne_u32_e32 0, v1
	s_cbranch_execz .LBB4_5135
; %bb.5130:                             ;   in Loop: Header=BB4_4792 Depth=3
	v_bfe_u32 v4, v1, 23, 8
	v_and_b32_e32 v5, 0x7fffff, v1
	v_sub_nc_u32_e32 v8, 0x70, v4
	v_cmp_gt_u32_e32 vcc_lo, 0x71, v4
	v_or_b32_e32 v9, 0x800000, v5
	v_cndmask_b32_e32 v8, 0, v8, vcc_lo
	v_cmp_eq_u32_e32 vcc_lo, 0, v4
	v_add_nc_u32_e32 v4, 0xffffff91, v4
	v_cndmask_b32_e64 v8, v8, 0x6f, vcc_lo
	v_cndmask_b32_e32 v5, v9, v5, vcc_lo
	v_cndmask_b32_e64 v4, v4, 0xffffff92, vcc_lo
	v_lshl_add_u32 v9, 0x200000, v8, -1
	v_lshrrev_b32_e32 v14, v8, v5
	v_lshlrev_b32_e64 v16, v8, 0x100000
	v_add_nc_u32_e32 v8, v8, v4
	v_and_b32_e32 v5, v9, v5
	v_bfe_u32 v15, v14, 21, 1
	v_cmp_eq_u32_e64 s16, v5, v16
	v_add_nc_u32_e32 v9, -1, v15
	v_cndmask_b32_e64 v5, 0, v9, s16
	v_lshrrev_b32_e32 v9, 23, v14
	s_mov_b32 s16, exec_lo
	v_add_nc_u32_e32 v5, v5, v14
	v_xor_b32_e32 v9, 1, v9
	v_and_b32_e32 v4, 0x1fffff, v5
	v_add_nc_u32_e32 v5, v4, v14
                                        ; implicit-def: $vgpr4
	v_cmpx_ne_u32_e64 v8, v9
	s_xor_b32 s16, exec_lo, s16
; %bb.5131:                             ;   in Loop: Header=BB4_4792 Depth=3
	v_cmp_lt_u32_e32 vcc_lo, 0xffffff, v5
	v_sub_nc_u32_e32 v4, v8, v9
	v_cndmask_b32_e64 v8, 0, 1, vcc_lo
	v_add_co_ci_u32_e64 v4, null, 0, v4, vcc_lo
	v_lshrrev_b32_e32 v5, v8, v5
; %bb.5132:                             ;   in Loop: Header=BB4_4792 Depth=3
	s_andn2_saveexec_b32 s16, s16
; %bb.5133:                             ;   in Loop: Header=BB4_4792 Depth=3
	v_bfe_u32 v4, v5, 23, 1
; %bb.5134:                             ;   in Loop: Header=BB4_4792 Depth=3
	s_or_b32 exec_lo, exec_lo, s16
	v_lshrrev_b32_e32 v5, 21, v5
	v_min_i32_e32 v8, 31, v4
	v_cmp_gt_i32_e32 vcc_lo, 32, v4
	v_and_b32_sdwa v1, v1, v101 dst_sel:DWORD dst_unused:UNUSED_PAD src0_sel:BYTE_3 src1_sel:DWORD
	v_lshlrev_b32_e32 v8, 2, v8
	v_cndmask_b32_e32 v5, 3, v5, vcc_lo
	v_and_b32_e32 v8, 0xfc, v8
	v_and_b32_e32 v9, 3, v5
	v_or_b32_e32 v4, v4, v5
	v_or3_b32 v1, v1, v8, v9
	v_cmp_ne_u32_e32 vcc_lo, 0, v4
	v_lshlrev_b32_e32 v1, 8, v1
	v_cndmask_b32_e32 v92, 0, v1, vcc_lo
.LBB4_5135:                             ;   in Loop: Header=BB4_4792 Depth=3
	s_or_b32 exec_lo, exec_lo, s73
.LBB4_5136:                             ;   in Loop: Header=BB4_4792 Depth=3
	s_or_b32 exec_lo, exec_lo, s72
	v_cmp_gt_i16_sdwa s72, v10, v100 src0_sel:BYTE_0 src1_sel:DWORD
	s_mov_b32 s16, 0
	s_and_saveexec_b32 s73, s72
	s_xor_b32 s72, exec_lo, s73
	s_cbranch_execz .LBB4_5934
; %bb.5137:                             ;   in Loop: Header=BB4_4792 Depth=3
	v_cmp_eq_u16_sdwa s74, v10, v101 src0_sel:BYTE_0 src1_sel:DWORD
	s_mov_b32 s16, -1
	s_and_saveexec_b32 s73, s74
; %bb.5138:                             ;   in Loop: Header=BB4_4792 Depth=3
	s_xor_b32 s16, exec_lo, -1
; %bb.5139:                             ;   in Loop: Header=BB4_4792 Depth=3
	s_or_b32 exec_lo, exec_lo, s73
	s_and_b32 s16, s16, exec_lo
	s_or_saveexec_b32 s72, s72
	v_mov_b32_e32 v1, 0x7f800001
	s_xor_b32 exec_lo, exec_lo, s72
	s_cbranch_execnz .LBB4_5935
.LBB4_5140:                             ;   in Loop: Header=BB4_4792 Depth=3
	s_or_b32 exec_lo, exec_lo, s72
	s_and_saveexec_b32 s72, s16
	s_cbranch_execz .LBB4_5142
.LBB4_5141:                             ;   in Loop: Header=BB4_4792 Depth=3
	v_and_b32_e32 v1, 3, v10
	v_bfe_u32 v8, v10, 2, 5
	v_lshlrev_b32_e32 v9, 24, v10
	v_ffbh_u32_e32 v4, v1
	v_cmp_eq_u32_e32 vcc_lo, 0, v8
	v_min_u32_e32 v4, 32, v4
	v_subrev_nc_u32_e32 v5, 29, v4
	v_sub_nc_u32_e32 v4, 30, v4
	v_lshlrev_b32_e32 v5, v5, v10
	v_cndmask_b32_e32 v4, v8, v4, vcc_lo
	v_and_b32_e32 v5, 3, v5
	v_lshl_add_u32 v4, v4, 23, 0x37800000
	v_cndmask_b32_e32 v1, v1, v5, vcc_lo
	v_and_b32_e32 v5, 0x80000000, v9
	v_lshlrev_b32_e32 v1, 21, v1
	v_or3_b32 v1, v5, v4, v1
.LBB4_5142:                             ;   in Loop: Header=BB4_4792 Depth=3
	s_or_b32 exec_lo, exec_lo, s72
	v_mul_f32_e32 v1, s23, v1
	v_mov_b32_e32 v89, 0x80
	s_mov_b32 s72, exec_lo
	v_and_b32_e32 v4, 0x7f800000, v1
	v_cmpx_ne_u32_e32 0x7f800000, v4
	s_cbranch_execz .LBB4_5150
; %bb.5143:                             ;   in Loop: Header=BB4_4792 Depth=3
	v_mov_b32_e32 v89, 0
	s_mov_b32 s73, exec_lo
	v_cmpx_ne_u32_e32 0, v1
	s_cbranch_execz .LBB4_5149
; %bb.5144:                             ;   in Loop: Header=BB4_4792 Depth=3
	v_bfe_u32 v4, v1, 23, 8
	v_and_b32_e32 v5, 0x7fffff, v1
	v_sub_nc_u32_e32 v8, 0x70, v4
	v_cmp_gt_u32_e32 vcc_lo, 0x71, v4
	v_or_b32_e32 v9, 0x800000, v5
	v_cndmask_b32_e32 v8, 0, v8, vcc_lo
	v_cmp_eq_u32_e32 vcc_lo, 0, v4
	v_add_nc_u32_e32 v4, 0xffffff91, v4
	v_cndmask_b32_e64 v8, v8, 0x6f, vcc_lo
	v_cndmask_b32_e32 v5, v9, v5, vcc_lo
	v_cndmask_b32_e64 v4, v4, 0xffffff92, vcc_lo
	v_lshl_add_u32 v9, 0x200000, v8, -1
	v_lshrrev_b32_e32 v14, v8, v5
	v_lshlrev_b32_e64 v16, v8, 0x100000
	v_add_nc_u32_e32 v8, v8, v4
	v_and_b32_e32 v5, v9, v5
	v_bfe_u32 v15, v14, 21, 1
	v_cmp_eq_u32_e64 s16, v5, v16
	v_add_nc_u32_e32 v9, -1, v15
	v_cndmask_b32_e64 v5, 0, v9, s16
	v_lshrrev_b32_e32 v9, 23, v14
	s_mov_b32 s16, exec_lo
	v_add_nc_u32_e32 v5, v5, v14
	v_xor_b32_e32 v9, 1, v9
	v_and_b32_e32 v4, 0x1fffff, v5
	v_add_nc_u32_e32 v5, v4, v14
                                        ; implicit-def: $vgpr4
	v_cmpx_ne_u32_e64 v8, v9
	s_xor_b32 s16, exec_lo, s16
; %bb.5145:                             ;   in Loop: Header=BB4_4792 Depth=3
	v_cmp_lt_u32_e32 vcc_lo, 0xffffff, v5
	v_sub_nc_u32_e32 v4, v8, v9
	v_cndmask_b32_e64 v8, 0, 1, vcc_lo
	v_add_co_ci_u32_e64 v4, null, 0, v4, vcc_lo
	v_lshrrev_b32_e32 v5, v8, v5
; %bb.5146:                             ;   in Loop: Header=BB4_4792 Depth=3
	s_andn2_saveexec_b32 s16, s16
; %bb.5147:                             ;   in Loop: Header=BB4_4792 Depth=3
	v_bfe_u32 v4, v5, 23, 1
; %bb.5148:                             ;   in Loop: Header=BB4_4792 Depth=3
	s_or_b32 exec_lo, exec_lo, s16
	v_lshrrev_b32_e32 v5, 21, v5
	v_min_i32_e32 v8, 31, v4
	v_cmp_gt_i32_e32 vcc_lo, 32, v4
	v_and_b32_sdwa v1, v1, v101 dst_sel:DWORD dst_unused:UNUSED_PAD src0_sel:BYTE_3 src1_sel:DWORD
	v_lshlrev_b32_e32 v8, 2, v8
	v_cndmask_b32_e32 v5, 3, v5, vcc_lo
	v_and_b32_e32 v8, 0xfc, v8
	v_and_b32_e32 v9, 3, v5
	v_or_b32_e32 v4, v4, v5
	v_or3_b32 v1, v8, v1, v9
	v_cmp_ne_u32_e32 vcc_lo, 0, v4
	v_cndmask_b32_e32 v89, 0, v1, vcc_lo
.LBB4_5149:                             ;   in Loop: Header=BB4_4792 Depth=3
	s_or_b32 exec_lo, exec_lo, s73
.LBB4_5150:                             ;   in Loop: Header=BB4_4792 Depth=3
	s_or_b32 exec_lo, exec_lo, s72
	v_cmp_gt_i16_sdwa s72, v10, v100 src0_sel:BYTE_1 src1_sel:DWORD
	s_mov_b32 s16, 0
	s_and_saveexec_b32 s73, s72
	s_xor_b32 s72, exec_lo, s73
	s_cbranch_execz .LBB4_5936
; %bb.5151:                             ;   in Loop: Header=BB4_4792 Depth=3
	v_cmp_eq_u16_sdwa s74, v10, v101 src0_sel:BYTE_1 src1_sel:DWORD
	s_mov_b32 s16, -1
	s_and_saveexec_b32 s73, s74
; %bb.5152:                             ;   in Loop: Header=BB4_4792 Depth=3
	s_xor_b32 s16, exec_lo, -1
; %bb.5153:                             ;   in Loop: Header=BB4_4792 Depth=3
	s_or_b32 exec_lo, exec_lo, s73
	s_and_b32 s16, s16, exec_lo
	s_or_saveexec_b32 s72, s72
	v_mov_b32_e32 v1, 0x7f800001
	s_xor_b32 exec_lo, exec_lo, s72
	s_cbranch_execnz .LBB4_5937
.LBB4_5154:                             ;   in Loop: Header=BB4_4792 Depth=3
	s_or_b32 exec_lo, exec_lo, s72
	s_and_saveexec_b32 s72, s16
	s_cbranch_execz .LBB4_5156
.LBB4_5155:                             ;   in Loop: Header=BB4_4792 Depth=3
	v_and_b32_sdwa v1, v102, v10 dst_sel:DWORD dst_unused:UNUSED_PAD src0_sel:DWORD src1_sel:BYTE_1
	v_and_b32_e32 v4, 3, v1
	v_bfe_u32 v9, v1, 2, 5
	v_ffbh_u32_e32 v5, v4
	v_cmp_eq_u32_e32 vcc_lo, 0, v9
	v_min_u32_e32 v5, 32, v5
	v_subrev_nc_u32_e32 v8, 29, v5
	v_sub_nc_u32_e32 v5, 30, v5
	v_lshlrev_b32_e32 v1, v8, v1
	v_lshlrev_b32_sdwa v8, v103, v10 dst_sel:DWORD dst_unused:UNUSED_PAD src0_sel:DWORD src1_sel:BYTE_1
	v_cndmask_b32_e32 v5, v9, v5, vcc_lo
	v_and_b32_e32 v1, 3, v1
	v_lshl_add_u32 v5, v5, 23, 0x37800000
	v_cndmask_b32_e32 v1, v4, v1, vcc_lo
	v_and_b32_e32 v4, 0x80000000, v8
	v_lshlrev_b32_e32 v1, 21, v1
	v_or3_b32 v1, v4, v5, v1
.LBB4_5156:                             ;   in Loop: Header=BB4_4792 Depth=3
	s_or_b32 exec_lo, exec_lo, s72
	v_mul_f32_e32 v1, s23, v1
	v_mov_b32_e32 v90, 0x8000
	s_mov_b32 s72, exec_lo
	v_and_b32_e32 v4, 0x7f800000, v1
	v_cmpx_ne_u32_e32 0x7f800000, v4
	s_cbranch_execz .LBB4_5164
; %bb.5157:                             ;   in Loop: Header=BB4_4792 Depth=3
	v_mov_b32_e32 v90, 0
	s_mov_b32 s73, exec_lo
	v_cmpx_ne_u32_e32 0, v1
	s_cbranch_execz .LBB4_5163
; %bb.5158:                             ;   in Loop: Header=BB4_4792 Depth=3
	v_bfe_u32 v4, v1, 23, 8
	v_and_b32_e32 v5, 0x7fffff, v1
	v_sub_nc_u32_e32 v8, 0x70, v4
	v_cmp_gt_u32_e32 vcc_lo, 0x71, v4
	v_or_b32_e32 v9, 0x800000, v5
	v_cndmask_b32_e32 v8, 0, v8, vcc_lo
	v_cmp_eq_u32_e32 vcc_lo, 0, v4
	v_add_nc_u32_e32 v4, 0xffffff91, v4
	v_cndmask_b32_e64 v8, v8, 0x6f, vcc_lo
	v_cndmask_b32_e32 v5, v9, v5, vcc_lo
	v_cndmask_b32_e64 v4, v4, 0xffffff92, vcc_lo
	v_lshl_add_u32 v9, 0x200000, v8, -1
	v_lshrrev_b32_e32 v14, v8, v5
	v_lshlrev_b32_e64 v16, v8, 0x100000
	v_add_nc_u32_e32 v8, v8, v4
	v_and_b32_e32 v5, v9, v5
	v_bfe_u32 v15, v14, 21, 1
	v_cmp_eq_u32_e64 s16, v5, v16
	v_add_nc_u32_e32 v9, -1, v15
	v_cndmask_b32_e64 v5, 0, v9, s16
	v_lshrrev_b32_e32 v9, 23, v14
	s_mov_b32 s16, exec_lo
	v_add_nc_u32_e32 v5, v5, v14
	v_xor_b32_e32 v9, 1, v9
	v_and_b32_e32 v4, 0x1fffff, v5
	v_add_nc_u32_e32 v5, v4, v14
                                        ; implicit-def: $vgpr4
	v_cmpx_ne_u32_e64 v8, v9
	s_xor_b32 s16, exec_lo, s16
; %bb.5159:                             ;   in Loop: Header=BB4_4792 Depth=3
	v_cmp_lt_u32_e32 vcc_lo, 0xffffff, v5
	v_sub_nc_u32_e32 v4, v8, v9
	v_cndmask_b32_e64 v8, 0, 1, vcc_lo
	v_add_co_ci_u32_e64 v4, null, 0, v4, vcc_lo
	v_lshrrev_b32_e32 v5, v8, v5
; %bb.5160:                             ;   in Loop: Header=BB4_4792 Depth=3
	s_andn2_saveexec_b32 s16, s16
; %bb.5161:                             ;   in Loop: Header=BB4_4792 Depth=3
	v_bfe_u32 v4, v5, 23, 1
; %bb.5162:                             ;   in Loop: Header=BB4_4792 Depth=3
	s_or_b32 exec_lo, exec_lo, s16
	v_lshrrev_b32_e32 v5, 21, v5
	v_min_i32_e32 v8, 31, v4
	v_cmp_gt_i32_e32 vcc_lo, 32, v4
	v_and_b32_sdwa v1, v1, v101 dst_sel:DWORD dst_unused:UNUSED_PAD src0_sel:BYTE_3 src1_sel:DWORD
	v_lshlrev_b32_e32 v8, 2, v8
	v_cndmask_b32_e32 v5, 3, v5, vcc_lo
	v_and_b32_e32 v8, 0xfc, v8
	v_and_b32_e32 v9, 3, v5
	v_or_b32_e32 v4, v4, v5
	v_or3_b32 v1, v1, v8, v9
	v_cmp_ne_u32_e32 vcc_lo, 0, v4
	v_lshlrev_b32_e32 v1, 8, v1
	v_cndmask_b32_e32 v90, 0, v1, vcc_lo
.LBB4_5163:                             ;   in Loop: Header=BB4_4792 Depth=3
	s_or_b32 exec_lo, exec_lo, s73
.LBB4_5164:                             ;   in Loop: Header=BB4_4792 Depth=3
	s_or_b32 exec_lo, exec_lo, s72
	v_and_b32_sdwa v4, v10, v112 dst_sel:DWORD dst_unused:UNUSED_PAD src0_sel:WORD_1 src1_sel:DWORD
	s_mov_b32 s16, 0
	s_mov_b32 s72, exec_lo
	v_cmpx_lt_i16_e32 0x7f, v4
	s_xor_b32 s72, exec_lo, s72
	s_cbranch_execz .LBB4_5938
; %bb.5165:                             ;   in Loop: Header=BB4_4792 Depth=3
	s_mov_b32 s16, -1
	s_mov_b32 s73, exec_lo
	v_cmpx_eq_u16_e32 0x80, v4
; %bb.5166:                             ;   in Loop: Header=BB4_4792 Depth=3
	s_xor_b32 s16, exec_lo, -1
; %bb.5167:                             ;   in Loop: Header=BB4_4792 Depth=3
	s_or_b32 exec_lo, exec_lo, s73
	s_and_b32 s16, s16, exec_lo
                                        ; implicit-def: $vgpr4
	s_or_saveexec_b32 s72, s72
	v_mov_b32_e32 v1, 0x7f800001
	s_xor_b32 exec_lo, exec_lo, s72
	s_cbranch_execnz .LBB4_5939
.LBB4_5168:                             ;   in Loop: Header=BB4_4792 Depth=3
	s_or_b32 exec_lo, exec_lo, s72
	s_and_saveexec_b32 s72, s16
	s_cbranch_execz .LBB4_5170
.LBB4_5169:                             ;   in Loop: Header=BB4_4792 Depth=3
	v_bfe_u32 v1, v10, 16, 2
	v_bfe_u32 v8, v10, 18, 5
	v_lshlrev_b32_e32 v9, 8, v10
	v_ffbh_u32_e32 v4, v1
	v_cmp_eq_u32_e32 vcc_lo, 0, v8
	v_min_u32_e32 v4, 32, v4
	v_subrev_nc_u32_e32 v5, 29, v4
	v_sub_nc_u32_e32 v4, 30, v4
	v_lshlrev_b32_sdwa v5, v5, v10 dst_sel:DWORD dst_unused:UNUSED_PAD src0_sel:DWORD src1_sel:WORD_1
	v_cndmask_b32_e32 v4, v8, v4, vcc_lo
	v_and_b32_e32 v5, 3, v5
	v_lshl_add_u32 v4, v4, 23, 0x37800000
	v_cndmask_b32_e32 v1, v1, v5, vcc_lo
	v_and_b32_e32 v5, 0x80000000, v9
	v_lshlrev_b32_e32 v1, 21, v1
	v_or3_b32 v1, v5, v4, v1
.LBB4_5170:                             ;   in Loop: Header=BB4_4792 Depth=3
	s_or_b32 exec_lo, exec_lo, s72
	v_mul_f32_e32 v1, s23, v1
	v_mov_b32_e32 v78, 0x80
	s_mov_b32 s72, exec_lo
	v_and_b32_e32 v4, 0x7f800000, v1
	v_cmpx_ne_u32_e32 0x7f800000, v4
	s_cbranch_execz .LBB4_5178
; %bb.5171:                             ;   in Loop: Header=BB4_4792 Depth=3
	v_mov_b32_e32 v78, 0
	s_mov_b32 s73, exec_lo
	v_cmpx_ne_u32_e32 0, v1
	s_cbranch_execz .LBB4_5177
; %bb.5172:                             ;   in Loop: Header=BB4_4792 Depth=3
	v_bfe_u32 v4, v1, 23, 8
	v_and_b32_e32 v5, 0x7fffff, v1
	v_sub_nc_u32_e32 v8, 0x70, v4
	v_cmp_gt_u32_e32 vcc_lo, 0x71, v4
	v_or_b32_e32 v9, 0x800000, v5
	v_cndmask_b32_e32 v8, 0, v8, vcc_lo
	v_cmp_eq_u32_e32 vcc_lo, 0, v4
	v_add_nc_u32_e32 v4, 0xffffff91, v4
	v_cndmask_b32_e64 v8, v8, 0x6f, vcc_lo
	v_cndmask_b32_e32 v5, v9, v5, vcc_lo
	v_cndmask_b32_e64 v4, v4, 0xffffff92, vcc_lo
	v_lshl_add_u32 v9, 0x200000, v8, -1
	v_lshrrev_b32_e32 v14, v8, v5
	v_lshlrev_b32_e64 v16, v8, 0x100000
	v_add_nc_u32_e32 v8, v8, v4
	v_and_b32_e32 v5, v9, v5
	v_bfe_u32 v15, v14, 21, 1
	v_cmp_eq_u32_e64 s16, v5, v16
	v_add_nc_u32_e32 v9, -1, v15
	v_cndmask_b32_e64 v5, 0, v9, s16
	v_lshrrev_b32_e32 v9, 23, v14
	s_mov_b32 s16, exec_lo
	v_add_nc_u32_e32 v5, v5, v14
	v_xor_b32_e32 v9, 1, v9
	v_and_b32_e32 v4, 0x1fffff, v5
	v_add_nc_u32_e32 v5, v4, v14
                                        ; implicit-def: $vgpr4
	v_cmpx_ne_u32_e64 v8, v9
	s_xor_b32 s16, exec_lo, s16
; %bb.5173:                             ;   in Loop: Header=BB4_4792 Depth=3
	v_cmp_lt_u32_e32 vcc_lo, 0xffffff, v5
	v_sub_nc_u32_e32 v4, v8, v9
	v_cndmask_b32_e64 v8, 0, 1, vcc_lo
	v_add_co_ci_u32_e64 v4, null, 0, v4, vcc_lo
	v_lshrrev_b32_e32 v5, v8, v5
; %bb.5174:                             ;   in Loop: Header=BB4_4792 Depth=3
	s_andn2_saveexec_b32 s16, s16
; %bb.5175:                             ;   in Loop: Header=BB4_4792 Depth=3
	v_bfe_u32 v4, v5, 23, 1
; %bb.5176:                             ;   in Loop: Header=BB4_4792 Depth=3
	s_or_b32 exec_lo, exec_lo, s16
	v_lshrrev_b32_e32 v5, 21, v5
	v_min_i32_e32 v8, 31, v4
	v_cmp_gt_i32_e32 vcc_lo, 32, v4
	v_and_b32_sdwa v1, v1, v101 dst_sel:DWORD dst_unused:UNUSED_PAD src0_sel:BYTE_3 src1_sel:DWORD
	v_lshlrev_b32_e32 v8, 2, v8
	v_cndmask_b32_e32 v5, 3, v5, vcc_lo
	v_and_b32_e32 v8, 0xfc, v8
	v_and_b32_e32 v9, 3, v5
	v_or_b32_e32 v4, v4, v5
	v_or3_b32 v1, v8, v1, v9
	v_cmp_ne_u32_e32 vcc_lo, 0, v4
	v_cndmask_b32_e32 v78, 0, v1, vcc_lo
.LBB4_5177:                             ;   in Loop: Header=BB4_4792 Depth=3
	s_or_b32 exec_lo, exec_lo, s73
.LBB4_5178:                             ;   in Loop: Header=BB4_4792 Depth=3
	s_or_b32 exec_lo, exec_lo, s72
	v_cmp_gt_i16_sdwa s72, v10, v100 src0_sel:BYTE_3 src1_sel:DWORD
	s_mov_b32 s16, 0
	s_and_saveexec_b32 s73, s72
	s_xor_b32 s72, exec_lo, s73
	s_cbranch_execz .LBB4_5940
; %bb.5179:                             ;   in Loop: Header=BB4_4792 Depth=3
	v_cmp_eq_u16_sdwa s74, v10, v101 src0_sel:BYTE_3 src1_sel:DWORD
	s_mov_b32 s16, -1
	s_and_saveexec_b32 s73, s74
; %bb.5180:                             ;   in Loop: Header=BB4_4792 Depth=3
	s_xor_b32 s16, exec_lo, -1
; %bb.5181:                             ;   in Loop: Header=BB4_4792 Depth=3
	s_or_b32 exec_lo, exec_lo, s73
	s_and_b32 s16, s16, exec_lo
	s_or_saveexec_b32 s72, s72
	v_mov_b32_e32 v1, 0x7f800001
	s_xor_b32 exec_lo, exec_lo, s72
	s_cbranch_execnz .LBB4_5941
.LBB4_5182:                             ;   in Loop: Header=BB4_4792 Depth=3
	s_or_b32 exec_lo, exec_lo, s72
	s_and_saveexec_b32 s72, s16
	s_cbranch_execz .LBB4_5184
.LBB4_5183:                             ;   in Loop: Header=BB4_4792 Depth=3
	v_bfe_u32 v1, v10, 24, 2
	v_bfe_u32 v8, v10, 26, 5
	v_ffbh_u32_e32 v4, v1
	v_cmp_eq_u32_e32 vcc_lo, 0, v8
	v_min_u32_e32 v4, 32, v4
	v_subrev_nc_u32_e32 v5, 29, v4
	v_sub_nc_u32_e32 v4, 30, v4
	v_lshlrev_b32_sdwa v5, v5, v10 dst_sel:DWORD dst_unused:UNUSED_PAD src0_sel:DWORD src1_sel:BYTE_3
	v_cndmask_b32_e32 v4, v8, v4, vcc_lo
	v_and_b32_e32 v5, 3, v5
	v_lshl_add_u32 v4, v4, 23, 0x37800000
	v_cndmask_b32_e32 v1, v1, v5, vcc_lo
	v_and_b32_e32 v5, 0x80000000, v10
	v_lshlrev_b32_e32 v1, 21, v1
	v_or3_b32 v1, v5, v4, v1
.LBB4_5184:                             ;   in Loop: Header=BB4_4792 Depth=3
	s_or_b32 exec_lo, exec_lo, s72
	v_mul_f32_e32 v1, s23, v1
	v_mov_b32_e32 v79, 0x8000
	s_mov_b32 s72, exec_lo
	v_and_b32_e32 v4, 0x7f800000, v1
	v_cmpx_ne_u32_e32 0x7f800000, v4
	s_cbranch_execz .LBB4_5192
; %bb.5185:                             ;   in Loop: Header=BB4_4792 Depth=3
	v_mov_b32_e32 v79, 0
	s_mov_b32 s73, exec_lo
	v_cmpx_ne_u32_e32 0, v1
	s_cbranch_execz .LBB4_5191
; %bb.5186:                             ;   in Loop: Header=BB4_4792 Depth=3
	v_bfe_u32 v4, v1, 23, 8
	v_and_b32_e32 v5, 0x7fffff, v1
	v_sub_nc_u32_e32 v8, 0x70, v4
	v_cmp_gt_u32_e32 vcc_lo, 0x71, v4
	v_or_b32_e32 v9, 0x800000, v5
	v_cndmask_b32_e32 v8, 0, v8, vcc_lo
	v_cmp_eq_u32_e32 vcc_lo, 0, v4
	v_add_nc_u32_e32 v4, 0xffffff91, v4
	v_cndmask_b32_e64 v8, v8, 0x6f, vcc_lo
	v_cndmask_b32_e32 v5, v9, v5, vcc_lo
	v_cndmask_b32_e64 v4, v4, 0xffffff92, vcc_lo
	v_lshl_add_u32 v9, 0x200000, v8, -1
	v_lshrrev_b32_e32 v10, v8, v5
	v_lshlrev_b32_e64 v15, v8, 0x100000
	v_add_nc_u32_e32 v8, v8, v4
	v_and_b32_e32 v5, v9, v5
	v_bfe_u32 v14, v10, 21, 1
	v_cmp_eq_u32_e64 s16, v5, v15
	v_add_nc_u32_e32 v9, -1, v14
	v_cndmask_b32_e64 v5, 0, v9, s16
	v_lshrrev_b32_e32 v9, 23, v10
	s_mov_b32 s16, exec_lo
	v_add_nc_u32_e32 v5, v5, v10
	v_xor_b32_e32 v9, 1, v9
	v_and_b32_e32 v4, 0x1fffff, v5
	v_add_nc_u32_e32 v5, v4, v10
                                        ; implicit-def: $vgpr4
	v_cmpx_ne_u32_e64 v8, v9
	s_xor_b32 s16, exec_lo, s16
; %bb.5187:                             ;   in Loop: Header=BB4_4792 Depth=3
	v_cmp_lt_u32_e32 vcc_lo, 0xffffff, v5
	v_sub_nc_u32_e32 v4, v8, v9
	v_cndmask_b32_e64 v8, 0, 1, vcc_lo
	v_add_co_ci_u32_e64 v4, null, 0, v4, vcc_lo
	v_lshrrev_b32_e32 v5, v8, v5
; %bb.5188:                             ;   in Loop: Header=BB4_4792 Depth=3
	s_andn2_saveexec_b32 s16, s16
; %bb.5189:                             ;   in Loop: Header=BB4_4792 Depth=3
	v_bfe_u32 v4, v5, 23, 1
; %bb.5190:                             ;   in Loop: Header=BB4_4792 Depth=3
	s_or_b32 exec_lo, exec_lo, s16
	v_lshrrev_b32_e32 v5, 21, v5
	v_min_i32_e32 v8, 31, v4
	v_cmp_gt_i32_e32 vcc_lo, 32, v4
	v_and_b32_sdwa v1, v1, v101 dst_sel:DWORD dst_unused:UNUSED_PAD src0_sel:BYTE_3 src1_sel:DWORD
	v_lshlrev_b32_e32 v8, 2, v8
	v_cndmask_b32_e32 v5, 3, v5, vcc_lo
	v_and_b32_e32 v8, 0xfc, v8
	v_and_b32_e32 v9, 3, v5
	v_or_b32_e32 v4, v4, v5
	v_or3_b32 v1, v1, v8, v9
	v_cmp_ne_u32_e32 vcc_lo, 0, v4
	v_lshlrev_b32_e32 v1, 8, v1
	v_cndmask_b32_e32 v79, 0, v1, vcc_lo
.LBB4_5191:                             ;   in Loop: Header=BB4_4792 Depth=3
	s_or_b32 exec_lo, exec_lo, s73
.LBB4_5192:                             ;   in Loop: Header=BB4_4792 Depth=3
	s_or_b32 exec_lo, exec_lo, s72
	v_cmp_gt_i16_sdwa s72, v11, v100 src0_sel:BYTE_0 src1_sel:DWORD
	s_mov_b32 s16, 0
	s_and_saveexec_b32 s73, s72
	s_xor_b32 s72, exec_lo, s73
	s_cbranch_execz .LBB4_5942
; %bb.5193:                             ;   in Loop: Header=BB4_4792 Depth=3
	v_cmp_eq_u16_sdwa s74, v11, v101 src0_sel:BYTE_0 src1_sel:DWORD
	s_mov_b32 s16, -1
	s_and_saveexec_b32 s73, s74
; %bb.5194:                             ;   in Loop: Header=BB4_4792 Depth=3
	s_xor_b32 s16, exec_lo, -1
; %bb.5195:                             ;   in Loop: Header=BB4_4792 Depth=3
	s_or_b32 exec_lo, exec_lo, s73
	s_and_b32 s16, s16, exec_lo
	s_or_saveexec_b32 s72, s72
	v_mov_b32_e32 v1, 0x7f800001
	s_xor_b32 exec_lo, exec_lo, s72
	s_cbranch_execnz .LBB4_5943
.LBB4_5196:                             ;   in Loop: Header=BB4_4792 Depth=3
	s_or_b32 exec_lo, exec_lo, s72
	s_and_saveexec_b32 s72, s16
	s_cbranch_execz .LBB4_5198
.LBB4_5197:                             ;   in Loop: Header=BB4_4792 Depth=3
	v_and_b32_e32 v1, 3, v11
	v_bfe_u32 v8, v11, 2, 5
	v_lshlrev_b32_e32 v9, 24, v11
	v_ffbh_u32_e32 v4, v1
	v_cmp_eq_u32_e32 vcc_lo, 0, v8
	v_min_u32_e32 v4, 32, v4
	v_subrev_nc_u32_e32 v5, 29, v4
	v_sub_nc_u32_e32 v4, 30, v4
	v_lshlrev_b32_e32 v5, v5, v11
	v_cndmask_b32_e32 v4, v8, v4, vcc_lo
	v_and_b32_e32 v5, 3, v5
	v_lshl_add_u32 v4, v4, 23, 0x37800000
	v_cndmask_b32_e32 v1, v1, v5, vcc_lo
	v_and_b32_e32 v5, 0x80000000, v9
	v_lshlrev_b32_e32 v1, 21, v1
	v_or3_b32 v1, v5, v4, v1
.LBB4_5198:                             ;   in Loop: Header=BB4_4792 Depth=3
	s_or_b32 exec_lo, exec_lo, s72
	v_mul_f32_e32 v1, s23, v1
	v_mov_b32_e32 v74, 0x80
	s_mov_b32 s72, exec_lo
	v_and_b32_e32 v4, 0x7f800000, v1
	v_cmpx_ne_u32_e32 0x7f800000, v4
	s_cbranch_execz .LBB4_5206
; %bb.5199:                             ;   in Loop: Header=BB4_4792 Depth=3
	v_mov_b32_e32 v74, 0
	s_mov_b32 s73, exec_lo
	v_cmpx_ne_u32_e32 0, v1
	s_cbranch_execz .LBB4_5205
; %bb.5200:                             ;   in Loop: Header=BB4_4792 Depth=3
	v_bfe_u32 v4, v1, 23, 8
	v_and_b32_e32 v5, 0x7fffff, v1
	v_sub_nc_u32_e32 v8, 0x70, v4
	v_cmp_gt_u32_e32 vcc_lo, 0x71, v4
	v_or_b32_e32 v9, 0x800000, v5
	v_cndmask_b32_e32 v8, 0, v8, vcc_lo
	v_cmp_eq_u32_e32 vcc_lo, 0, v4
	v_add_nc_u32_e32 v4, 0xffffff91, v4
	v_cndmask_b32_e64 v8, v8, 0x6f, vcc_lo
	v_cndmask_b32_e32 v5, v9, v5, vcc_lo
	v_cndmask_b32_e64 v4, v4, 0xffffff92, vcc_lo
	v_lshl_add_u32 v9, 0x200000, v8, -1
	v_lshrrev_b32_e32 v10, v8, v5
	v_lshlrev_b32_e64 v15, v8, 0x100000
	v_add_nc_u32_e32 v8, v8, v4
	v_and_b32_e32 v5, v9, v5
	v_bfe_u32 v14, v10, 21, 1
	v_cmp_eq_u32_e64 s16, v5, v15
	v_add_nc_u32_e32 v9, -1, v14
	v_cndmask_b32_e64 v5, 0, v9, s16
	v_lshrrev_b32_e32 v9, 23, v10
	s_mov_b32 s16, exec_lo
	v_add_nc_u32_e32 v5, v5, v10
	v_xor_b32_e32 v9, 1, v9
	v_and_b32_e32 v4, 0x1fffff, v5
	v_add_nc_u32_e32 v5, v4, v10
                                        ; implicit-def: $vgpr4
	v_cmpx_ne_u32_e64 v8, v9
	s_xor_b32 s16, exec_lo, s16
; %bb.5201:                             ;   in Loop: Header=BB4_4792 Depth=3
	v_cmp_lt_u32_e32 vcc_lo, 0xffffff, v5
	v_sub_nc_u32_e32 v4, v8, v9
	v_cndmask_b32_e64 v8, 0, 1, vcc_lo
	v_add_co_ci_u32_e64 v4, null, 0, v4, vcc_lo
	v_lshrrev_b32_e32 v5, v8, v5
; %bb.5202:                             ;   in Loop: Header=BB4_4792 Depth=3
	s_andn2_saveexec_b32 s16, s16
; %bb.5203:                             ;   in Loop: Header=BB4_4792 Depth=3
	v_bfe_u32 v4, v5, 23, 1
; %bb.5204:                             ;   in Loop: Header=BB4_4792 Depth=3
	s_or_b32 exec_lo, exec_lo, s16
	v_lshrrev_b32_e32 v5, 21, v5
	v_min_i32_e32 v8, 31, v4
	v_cmp_gt_i32_e32 vcc_lo, 32, v4
	v_and_b32_sdwa v1, v1, v101 dst_sel:DWORD dst_unused:UNUSED_PAD src0_sel:BYTE_3 src1_sel:DWORD
	v_lshlrev_b32_e32 v8, 2, v8
	v_cndmask_b32_e32 v5, 3, v5, vcc_lo
	v_and_b32_e32 v8, 0xfc, v8
	v_and_b32_e32 v9, 3, v5
	v_or_b32_e32 v4, v4, v5
	v_or3_b32 v1, v8, v1, v9
	v_cmp_ne_u32_e32 vcc_lo, 0, v4
	v_cndmask_b32_e32 v74, 0, v1, vcc_lo
.LBB4_5205:                             ;   in Loop: Header=BB4_4792 Depth=3
	s_or_b32 exec_lo, exec_lo, s73
.LBB4_5206:                             ;   in Loop: Header=BB4_4792 Depth=3
	s_or_b32 exec_lo, exec_lo, s72
	v_cmp_gt_i16_sdwa s72, v11, v100 src0_sel:BYTE_1 src1_sel:DWORD
	s_mov_b32 s16, 0
	s_and_saveexec_b32 s73, s72
	s_xor_b32 s72, exec_lo, s73
	s_cbranch_execz .LBB4_5944
; %bb.5207:                             ;   in Loop: Header=BB4_4792 Depth=3
	v_cmp_eq_u16_sdwa s74, v11, v101 src0_sel:BYTE_1 src1_sel:DWORD
	s_mov_b32 s16, -1
	s_and_saveexec_b32 s73, s74
; %bb.5208:                             ;   in Loop: Header=BB4_4792 Depth=3
	s_xor_b32 s16, exec_lo, -1
; %bb.5209:                             ;   in Loop: Header=BB4_4792 Depth=3
	s_or_b32 exec_lo, exec_lo, s73
	s_and_b32 s16, s16, exec_lo
	s_or_saveexec_b32 s72, s72
	v_mov_b32_e32 v1, 0x7f800001
	s_xor_b32 exec_lo, exec_lo, s72
	s_cbranch_execnz .LBB4_5945
.LBB4_5210:                             ;   in Loop: Header=BB4_4792 Depth=3
	s_or_b32 exec_lo, exec_lo, s72
	s_and_saveexec_b32 s72, s16
	s_cbranch_execz .LBB4_5212
.LBB4_5211:                             ;   in Loop: Header=BB4_4792 Depth=3
	v_and_b32_sdwa v1, v102, v11 dst_sel:DWORD dst_unused:UNUSED_PAD src0_sel:DWORD src1_sel:BYTE_1
	v_and_b32_e32 v4, 3, v1
	v_bfe_u32 v9, v1, 2, 5
	v_ffbh_u32_e32 v5, v4
	v_cmp_eq_u32_e32 vcc_lo, 0, v9
	v_min_u32_e32 v5, 32, v5
	v_subrev_nc_u32_e32 v8, 29, v5
	v_sub_nc_u32_e32 v5, 30, v5
	v_lshlrev_b32_e32 v1, v8, v1
	v_lshlrev_b32_sdwa v8, v103, v11 dst_sel:DWORD dst_unused:UNUSED_PAD src0_sel:DWORD src1_sel:BYTE_1
	v_cndmask_b32_e32 v5, v9, v5, vcc_lo
	v_and_b32_e32 v1, 3, v1
	v_lshl_add_u32 v5, v5, 23, 0x37800000
	v_cndmask_b32_e32 v1, v4, v1, vcc_lo
	v_and_b32_e32 v4, 0x80000000, v8
	v_lshlrev_b32_e32 v1, 21, v1
	v_or3_b32 v1, v4, v5, v1
.LBB4_5212:                             ;   in Loop: Header=BB4_4792 Depth=3
	s_or_b32 exec_lo, exec_lo, s72
	v_mul_f32_e32 v1, s23, v1
	v_mov_b32_e32 v77, 0x8000
	s_mov_b32 s72, exec_lo
	v_and_b32_e32 v4, 0x7f800000, v1
	v_cmpx_ne_u32_e32 0x7f800000, v4
	s_cbranch_execz .LBB4_5220
; %bb.5213:                             ;   in Loop: Header=BB4_4792 Depth=3
	v_mov_b32_e32 v77, 0
	s_mov_b32 s73, exec_lo
	v_cmpx_ne_u32_e32 0, v1
	s_cbranch_execz .LBB4_5219
; %bb.5214:                             ;   in Loop: Header=BB4_4792 Depth=3
	v_bfe_u32 v4, v1, 23, 8
	v_and_b32_e32 v5, 0x7fffff, v1
	v_sub_nc_u32_e32 v8, 0x70, v4
	v_cmp_gt_u32_e32 vcc_lo, 0x71, v4
	v_or_b32_e32 v9, 0x800000, v5
	v_cndmask_b32_e32 v8, 0, v8, vcc_lo
	v_cmp_eq_u32_e32 vcc_lo, 0, v4
	v_add_nc_u32_e32 v4, 0xffffff91, v4
	v_cndmask_b32_e64 v8, v8, 0x6f, vcc_lo
	v_cndmask_b32_e32 v5, v9, v5, vcc_lo
	v_cndmask_b32_e64 v4, v4, 0xffffff92, vcc_lo
	v_lshl_add_u32 v9, 0x200000, v8, -1
	v_lshrrev_b32_e32 v10, v8, v5
	v_lshlrev_b32_e64 v15, v8, 0x100000
	v_add_nc_u32_e32 v8, v8, v4
	v_and_b32_e32 v5, v9, v5
	v_bfe_u32 v14, v10, 21, 1
	v_cmp_eq_u32_e64 s16, v5, v15
	v_add_nc_u32_e32 v9, -1, v14
	v_cndmask_b32_e64 v5, 0, v9, s16
	v_lshrrev_b32_e32 v9, 23, v10
	s_mov_b32 s16, exec_lo
	v_add_nc_u32_e32 v5, v5, v10
	v_xor_b32_e32 v9, 1, v9
	v_and_b32_e32 v4, 0x1fffff, v5
	v_add_nc_u32_e32 v5, v4, v10
                                        ; implicit-def: $vgpr4
	v_cmpx_ne_u32_e64 v8, v9
	s_xor_b32 s16, exec_lo, s16
; %bb.5215:                             ;   in Loop: Header=BB4_4792 Depth=3
	v_cmp_lt_u32_e32 vcc_lo, 0xffffff, v5
	v_sub_nc_u32_e32 v4, v8, v9
	v_cndmask_b32_e64 v8, 0, 1, vcc_lo
	v_add_co_ci_u32_e64 v4, null, 0, v4, vcc_lo
	v_lshrrev_b32_e32 v5, v8, v5
; %bb.5216:                             ;   in Loop: Header=BB4_4792 Depth=3
	s_andn2_saveexec_b32 s16, s16
; %bb.5217:                             ;   in Loop: Header=BB4_4792 Depth=3
	v_bfe_u32 v4, v5, 23, 1
; %bb.5218:                             ;   in Loop: Header=BB4_4792 Depth=3
	s_or_b32 exec_lo, exec_lo, s16
	v_lshrrev_b32_e32 v5, 21, v5
	v_min_i32_e32 v8, 31, v4
	v_cmp_gt_i32_e32 vcc_lo, 32, v4
	v_and_b32_sdwa v1, v1, v101 dst_sel:DWORD dst_unused:UNUSED_PAD src0_sel:BYTE_3 src1_sel:DWORD
	v_lshlrev_b32_e32 v8, 2, v8
	v_cndmask_b32_e32 v5, 3, v5, vcc_lo
	v_and_b32_e32 v8, 0xfc, v8
	v_and_b32_e32 v9, 3, v5
	v_or_b32_e32 v4, v4, v5
	v_or3_b32 v1, v1, v8, v9
	v_cmp_ne_u32_e32 vcc_lo, 0, v4
	v_lshlrev_b32_e32 v1, 8, v1
	v_cndmask_b32_e32 v77, 0, v1, vcc_lo
.LBB4_5219:                             ;   in Loop: Header=BB4_4792 Depth=3
	s_or_b32 exec_lo, exec_lo, s73
.LBB4_5220:                             ;   in Loop: Header=BB4_4792 Depth=3
	s_or_b32 exec_lo, exec_lo, s72
	v_and_b32_sdwa v4, v11, v112 dst_sel:DWORD dst_unused:UNUSED_PAD src0_sel:WORD_1 src1_sel:DWORD
	s_mov_b32 s16, 0
	s_mov_b32 s72, exec_lo
	v_cmpx_lt_i16_e32 0x7f, v4
	s_xor_b32 s72, exec_lo, s72
	s_cbranch_execz .LBB4_5946
; %bb.5221:                             ;   in Loop: Header=BB4_4792 Depth=3
	s_mov_b32 s16, -1
	s_mov_b32 s73, exec_lo
	v_cmpx_eq_u16_e32 0x80, v4
; %bb.5222:                             ;   in Loop: Header=BB4_4792 Depth=3
	s_xor_b32 s16, exec_lo, -1
; %bb.5223:                             ;   in Loop: Header=BB4_4792 Depth=3
	s_or_b32 exec_lo, exec_lo, s73
	s_and_b32 s16, s16, exec_lo
                                        ; implicit-def: $vgpr4
	s_or_saveexec_b32 s72, s72
	v_mov_b32_e32 v1, 0x7f800001
	s_xor_b32 exec_lo, exec_lo, s72
	s_cbranch_execnz .LBB4_5947
.LBB4_5224:                             ;   in Loop: Header=BB4_4792 Depth=3
	s_or_b32 exec_lo, exec_lo, s72
	s_and_saveexec_b32 s72, s16
	s_cbranch_execz .LBB4_5226
.LBB4_5225:                             ;   in Loop: Header=BB4_4792 Depth=3
	v_bfe_u32 v1, v11, 16, 2
	v_bfe_u32 v8, v11, 18, 5
	v_lshlrev_b32_e32 v9, 8, v11
	v_ffbh_u32_e32 v4, v1
	v_cmp_eq_u32_e32 vcc_lo, 0, v8
	v_min_u32_e32 v4, 32, v4
	v_subrev_nc_u32_e32 v5, 29, v4
	v_sub_nc_u32_e32 v4, 30, v4
	v_lshlrev_b32_sdwa v5, v5, v11 dst_sel:DWORD dst_unused:UNUSED_PAD src0_sel:DWORD src1_sel:WORD_1
	v_cndmask_b32_e32 v4, v8, v4, vcc_lo
	v_and_b32_e32 v5, 3, v5
	v_lshl_add_u32 v4, v4, 23, 0x37800000
	v_cndmask_b32_e32 v1, v1, v5, vcc_lo
	v_and_b32_e32 v5, 0x80000000, v9
	v_lshlrev_b32_e32 v1, 21, v1
	v_or3_b32 v1, v5, v4, v1
.LBB4_5226:                             ;   in Loop: Header=BB4_4792 Depth=3
	s_or_b32 exec_lo, exec_lo, s72
	v_mul_f32_e32 v1, s23, v1
	v_mov_b32_e32 v73, 0x80
	s_mov_b32 s72, exec_lo
	v_and_b32_e32 v4, 0x7f800000, v1
	v_cmpx_ne_u32_e32 0x7f800000, v4
	s_cbranch_execz .LBB4_5234
; %bb.5227:                             ;   in Loop: Header=BB4_4792 Depth=3
	v_mov_b32_e32 v73, 0
	s_mov_b32 s73, exec_lo
	v_cmpx_ne_u32_e32 0, v1
	s_cbranch_execz .LBB4_5233
; %bb.5228:                             ;   in Loop: Header=BB4_4792 Depth=3
	v_bfe_u32 v5, v1, 23, 8
	v_and_b32_e32 v4, 0x7fffff, v1
	v_cmp_gt_u32_e64 s16, 0x71, v5
	v_sub_nc_u32_e32 v8, 0x70, v5
	v_cmp_eq_u32_e32 vcc_lo, 0, v5
	v_or_b32_e32 v9, 0x800000, v4
	v_cndmask_b32_e64 v8, 0, v8, s16
	v_cndmask_b32_e32 v4, v9, v4, vcc_lo
	v_cndmask_b32_e64 v8, v8, 0x6f, vcc_lo
	v_lshl_add_u32 v9, 0x200000, v8, -1
	v_lshlrev_b32_e64 v10, v8, 0x100000
	v_and_b32_e32 v9, v9, v4
	v_cmp_eq_u32_e64 s16, v9, v10
	v_lshrrev_b32_e32 v9, v8, v4
	v_add_nc_u32_e32 v4, 0xffffff91, v5
	v_lshrrev_b32_e32 v5, 23, v9
	v_cndmask_b32_e64 v4, v4, 0xffffff92, vcc_lo
	v_xor_b32_e32 v5, 1, v5
	v_add_nc_u32_e32 v4, v8, v4
	v_bfe_u32 v8, v9, 21, 1
	v_add_nc_u32_e32 v8, -1, v8
	v_cndmask_b32_e64 v8, 0, v8, s16
	s_mov_b32 s16, exec_lo
	v_add_nc_u32_e32 v8, v8, v9
	v_and_b32_e32 v8, 0x1fffff, v8
	v_add_nc_u32_e32 v9, v8, v9
                                        ; implicit-def: $vgpr8
	v_cmpx_ne_u32_e64 v4, v5
	s_xor_b32 s16, exec_lo, s16
; %bb.5229:                             ;   in Loop: Header=BB4_4792 Depth=3
	v_cmp_lt_u32_e32 vcc_lo, 0xffffff, v9
	v_sub_nc_u32_e32 v4, v4, v5
	v_cndmask_b32_e64 v5, 0, 1, vcc_lo
	v_add_co_ci_u32_e64 v8, null, 0, v4, vcc_lo
	v_lshrrev_b32_e32 v9, v5, v9
; %bb.5230:                             ;   in Loop: Header=BB4_4792 Depth=3
	s_andn2_saveexec_b32 s16, s16
; %bb.5231:                             ;   in Loop: Header=BB4_4792 Depth=3
	v_bfe_u32 v8, v9, 23, 1
; %bb.5232:                             ;   in Loop: Header=BB4_4792 Depth=3
	s_or_b32 exec_lo, exec_lo, s16
	v_lshrrev_b32_e32 v4, 21, v9
	v_min_i32_e32 v5, 31, v8
	v_cmp_gt_i32_e32 vcc_lo, 32, v8
	v_and_b32_sdwa v1, v1, v101 dst_sel:DWORD dst_unused:UNUSED_PAD src0_sel:BYTE_3 src1_sel:DWORD
	v_lshlrev_b32_e32 v5, 2, v5
	v_cndmask_b32_e32 v4, 3, v4, vcc_lo
	v_and_b32_e32 v5, 0xfc, v5
	v_and_b32_e32 v9, 3, v4
	v_or_b32_e32 v4, v8, v4
	v_or3_b32 v1, v5, v1, v9
	v_cmp_ne_u32_e32 vcc_lo, 0, v4
	v_cndmask_b32_e32 v73, 0, v1, vcc_lo
.LBB4_5233:                             ;   in Loop: Header=BB4_4792 Depth=3
	s_or_b32 exec_lo, exec_lo, s73
.LBB4_5234:                             ;   in Loop: Header=BB4_4792 Depth=3
	s_or_b32 exec_lo, exec_lo, s72
	v_cmp_gt_i16_sdwa s72, v11, v100 src0_sel:BYTE_3 src1_sel:DWORD
	s_mov_b32 s16, 0
	s_and_saveexec_b32 s73, s72
	s_xor_b32 s72, exec_lo, s73
	s_cbranch_execz .LBB4_5948
; %bb.5235:                             ;   in Loop: Header=BB4_4792 Depth=3
	v_cmp_eq_u16_sdwa s74, v11, v101 src0_sel:BYTE_3 src1_sel:DWORD
	s_mov_b32 s16, -1
	s_and_saveexec_b32 s73, s74
; %bb.5236:                             ;   in Loop: Header=BB4_4792 Depth=3
	s_xor_b32 s16, exec_lo, -1
; %bb.5237:                             ;   in Loop: Header=BB4_4792 Depth=3
	s_or_b32 exec_lo, exec_lo, s73
	s_and_b32 s16, s16, exec_lo
	s_or_saveexec_b32 s72, s72
	v_mov_b32_e32 v1, 0x7f800001
	s_xor_b32 exec_lo, exec_lo, s72
	s_cbranch_execnz .LBB4_5949
.LBB4_5238:                             ;   in Loop: Header=BB4_4792 Depth=3
	s_or_b32 exec_lo, exec_lo, s72
	s_and_saveexec_b32 s72, s16
	s_cbranch_execz .LBB4_5240
.LBB4_5239:                             ;   in Loop: Header=BB4_4792 Depth=3
	v_bfe_u32 v1, v11, 24, 2
	v_bfe_u32 v8, v11, 26, 5
	v_ffbh_u32_e32 v4, v1
	v_cmp_eq_u32_e32 vcc_lo, 0, v8
	v_min_u32_e32 v4, 32, v4
	v_subrev_nc_u32_e32 v5, 29, v4
	v_sub_nc_u32_e32 v4, 30, v4
	v_lshlrev_b32_sdwa v5, v5, v11 dst_sel:DWORD dst_unused:UNUSED_PAD src0_sel:DWORD src1_sel:BYTE_3
	v_cndmask_b32_e32 v4, v8, v4, vcc_lo
	v_and_b32_e32 v5, 3, v5
	v_lshl_add_u32 v4, v4, 23, 0x37800000
	v_cndmask_b32_e32 v1, v1, v5, vcc_lo
	v_and_b32_e32 v5, 0x80000000, v11
	v_lshlrev_b32_e32 v1, 21, v1
	v_or3_b32 v1, v5, v4, v1
.LBB4_5240:                             ;   in Loop: Header=BB4_4792 Depth=3
	s_or_b32 exec_lo, exec_lo, s72
	v_mul_f32_e32 v1, s23, v1
	v_mov_b32_e32 v75, 0x8000
	s_mov_b32 s23, exec_lo
	v_and_b32_e32 v4, 0x7f800000, v1
	v_cmpx_ne_u32_e32 0x7f800000, v4
	s_cbranch_execz .LBB4_5248
; %bb.5241:                             ;   in Loop: Header=BB4_4792 Depth=3
	v_mov_b32_e32 v75, 0
	s_mov_b32 s72, exec_lo
	v_cmpx_ne_u32_e32 0, v1
	s_cbranch_execz .LBB4_5247
; %bb.5242:                             ;   in Loop: Header=BB4_4792 Depth=3
	v_bfe_u32 v5, v1, 23, 8
	v_and_b32_e32 v4, 0x7fffff, v1
	v_cmp_gt_u32_e64 s16, 0x71, v5
	v_sub_nc_u32_e32 v8, 0x70, v5
	v_cmp_eq_u32_e32 vcc_lo, 0, v5
	v_or_b32_e32 v9, 0x800000, v4
	v_cndmask_b32_e64 v8, 0, v8, s16
	v_cndmask_b32_e32 v4, v9, v4, vcc_lo
	v_cndmask_b32_e64 v8, v8, 0x6f, vcc_lo
	v_lshl_add_u32 v9, 0x200000, v8, -1
	v_lshlrev_b32_e64 v10, v8, 0x100000
	v_and_b32_e32 v9, v9, v4
	v_cmp_eq_u32_e64 s16, v9, v10
	v_lshrrev_b32_e32 v9, v8, v4
	v_add_nc_u32_e32 v4, 0xffffff91, v5
	v_lshrrev_b32_e32 v5, 23, v9
	v_cndmask_b32_e64 v4, v4, 0xffffff92, vcc_lo
	v_xor_b32_e32 v5, 1, v5
	v_add_nc_u32_e32 v4, v8, v4
	v_bfe_u32 v8, v9, 21, 1
	v_add_nc_u32_e32 v8, -1, v8
	v_cndmask_b32_e64 v8, 0, v8, s16
	s_mov_b32 s16, exec_lo
	v_add_nc_u32_e32 v8, v8, v9
	v_and_b32_e32 v8, 0x1fffff, v8
	v_add_nc_u32_e32 v9, v8, v9
                                        ; implicit-def: $vgpr8
	v_cmpx_ne_u32_e64 v4, v5
	s_xor_b32 s16, exec_lo, s16
; %bb.5243:                             ;   in Loop: Header=BB4_4792 Depth=3
	v_cmp_lt_u32_e32 vcc_lo, 0xffffff, v9
	v_sub_nc_u32_e32 v4, v4, v5
	v_cndmask_b32_e64 v5, 0, 1, vcc_lo
	v_add_co_ci_u32_e64 v8, null, 0, v4, vcc_lo
	v_lshrrev_b32_e32 v9, v5, v9
; %bb.5244:                             ;   in Loop: Header=BB4_4792 Depth=3
	s_andn2_saveexec_b32 s16, s16
; %bb.5245:                             ;   in Loop: Header=BB4_4792 Depth=3
	v_bfe_u32 v8, v9, 23, 1
; %bb.5246:                             ;   in Loop: Header=BB4_4792 Depth=3
	s_or_b32 exec_lo, exec_lo, s16
	v_lshrrev_b32_e32 v4, 21, v9
	v_min_i32_e32 v5, 31, v8
	v_cmp_gt_i32_e32 vcc_lo, 32, v8
	v_and_b32_sdwa v1, v1, v101 dst_sel:DWORD dst_unused:UNUSED_PAD src0_sel:BYTE_3 src1_sel:DWORD
	v_lshlrev_b32_e32 v5, 2, v5
	v_cndmask_b32_e32 v4, 3, v4, vcc_lo
	v_and_b32_e32 v5, 0xfc, v5
	v_and_b32_e32 v9, 3, v4
	v_or_b32_e32 v4, v8, v4
	v_or3_b32 v1, v1, v5, v9
	v_cmp_ne_u32_e32 vcc_lo, 0, v4
	v_lshlrev_b32_e32 v1, 8, v1
	v_cndmask_b32_e32 v75, 0, v1, vcc_lo
.LBB4_5247:                             ;   in Loop: Header=BB4_4792 Depth=3
	s_or_b32 exec_lo, exec_lo, s72
.LBB4_5248:                             ;   in Loop: Header=BB4_4792 Depth=3
	s_or_b32 exec_lo, exec_lo, s23
	v_or_b32_e32 v1, v13, v12
	s_clause 0x1
	global_load_dwordx4 v[12:15], v[82:83], off slc
	global_load_dwordx4 v[8:11], v[82:83], off offset:512 slc
	s_mov_b32 s23, 0
	v_cmp_gt_i16_sdwa s16, v1, v100 src0_sel:BYTE_0 src1_sel:DWORD
	s_and_saveexec_b32 s72, s16
	s_xor_b32 s16, exec_lo, s72
	s_cbranch_execz .LBB4_5950
; %bb.5249:                             ;   in Loop: Header=BB4_4792 Depth=3
	v_cmp_eq_u16_sdwa s73, v1, v101 src0_sel:BYTE_0 src1_sel:DWORD
	s_mov_b32 s23, -1
	s_and_saveexec_b32 s72, s73
; %bb.5250:                             ;   in Loop: Header=BB4_4792 Depth=3
	s_xor_b32 s23, exec_lo, -1
; %bb.5251:                             ;   in Loop: Header=BB4_4792 Depth=3
	s_or_b32 exec_lo, exec_lo, s72
	s_and_b32 s23, s23, exec_lo
	s_or_saveexec_b32 s16, s16
	v_mov_b32_e32 v4, 0x7f800001
	s_xor_b32 exec_lo, exec_lo, s16
	s_cbranch_execnz .LBB4_5951
.LBB4_5252:                             ;   in Loop: Header=BB4_4792 Depth=3
	s_or_b32 exec_lo, exec_lo, s16
	s_and_saveexec_b32 s16, s23
	s_cbranch_execz .LBB4_5254
.LBB4_5253:                             ;   in Loop: Header=BB4_4792 Depth=3
	v_and_b32_e32 v4, 3, v1
	v_bfe_u32 v5, v1, 2, 5
	v_ffbh_u32_e32 v16, v4
	v_cmp_eq_u32_e32 vcc_lo, 0, v5
	v_min_u32_e32 v16, 32, v16
	v_subrev_nc_u32_e32 v17, 29, v16
	v_sub_nc_u32_e32 v16, 30, v16
	v_lshlrev_b32_e32 v17, v17, v1
	v_cndmask_b32_e32 v5, v5, v16, vcc_lo
	v_lshlrev_b32_e32 v16, 24, v1
	v_and_b32_e32 v17, 3, v17
	v_lshl_add_u32 v5, v5, 23, 0x37800000
	v_and_b32_e32 v16, 0x80000000, v16
	v_cndmask_b32_e32 v4, v4, v17, vcc_lo
	v_lshlrev_b32_e32 v4, 21, v4
	v_or3_b32 v4, v16, v5, v4
.LBB4_5254:                             ;   in Loop: Header=BB4_4792 Depth=3
	s_or_b32 exec_lo, exec_lo, s16
	s_waitcnt vmcnt(1)
	v_cmp_gt_i16_sdwa s16, v12, v100 src0_sel:BYTE_0 src1_sel:DWORD
	s_mov_b32 s23, 0
	s_and_saveexec_b32 s72, s16
	s_xor_b32 s16, exec_lo, s72
	s_cbranch_execz .LBB4_5952
; %bb.5255:                             ;   in Loop: Header=BB4_4792 Depth=3
	v_cmp_eq_u16_sdwa s73, v12, v101 src0_sel:BYTE_0 src1_sel:DWORD
	s_mov_b32 s23, -1
	s_and_saveexec_b32 s72, s73
; %bb.5256:                             ;   in Loop: Header=BB4_4792 Depth=3
	s_xor_b32 s23, exec_lo, -1
; %bb.5257:                             ;   in Loop: Header=BB4_4792 Depth=3
	s_or_b32 exec_lo, exec_lo, s72
	s_and_b32 s23, s23, exec_lo
	s_or_saveexec_b32 s16, s16
	v_mov_b32_e32 v5, 0x7f800001
	s_xor_b32 exec_lo, exec_lo, s16
	s_cbranch_execnz .LBB4_5953
.LBB4_5258:                             ;   in Loop: Header=BB4_4792 Depth=3
	s_or_b32 exec_lo, exec_lo, s16
	s_and_saveexec_b32 s16, s23
	s_cbranch_execz .LBB4_5260
.LBB4_5259:                             ;   in Loop: Header=BB4_4792 Depth=3
	v_and_b32_e32 v5, 3, v12
	v_bfe_u32 v16, v12, 2, 5
	v_ffbh_u32_e32 v17, v5
	v_cmp_eq_u32_e32 vcc_lo, 0, v16
	v_min_u32_e32 v17, 32, v17
	v_subrev_nc_u32_e32 v20, 29, v17
	v_sub_nc_u32_e32 v17, 30, v17
	v_lshlrev_b32_e32 v20, v20, v12
	v_cndmask_b32_e32 v16, v16, v17, vcc_lo
	v_lshlrev_b32_e32 v17, 24, v12
	v_and_b32_e32 v20, 3, v20
	v_lshl_add_u32 v16, v16, 23, 0x37800000
	v_and_b32_e32 v17, 0x80000000, v17
	v_cndmask_b32_e32 v5, v5, v20, vcc_lo
	v_lshlrev_b32_e32 v5, 21, v5
	v_or3_b32 v5, v17, v16, v5
.LBB4_5260:                             ;   in Loop: Header=BB4_4792 Depth=3
	s_or_b32 exec_lo, exec_lo, s16
	v_add_f32_e32 v4, v4, v5
	v_mov_b32_e32 v72, 0x80
	s_mov_b32 s23, exec_lo
	v_and_b32_e32 v5, 0x7f800000, v4
	v_cmpx_ne_u32_e32 0x7f800000, v5
	s_cbranch_execz .LBB4_5268
; %bb.5261:                             ;   in Loop: Header=BB4_4792 Depth=3
	v_mov_b32_e32 v72, 0
	s_mov_b32 s72, exec_lo
	v_cmpx_ne_u32_e32 0, v4
	s_cbranch_execz .LBB4_5267
; %bb.5262:                             ;   in Loop: Header=BB4_4792 Depth=3
	v_bfe_u32 v16, v4, 23, 8
	v_and_b32_e32 v5, 0x7fffff, v4
	v_cmp_gt_u32_e64 s16, 0x71, v16
	v_sub_nc_u32_e32 v17, 0x70, v16
	v_cmp_eq_u32_e32 vcc_lo, 0, v16
	v_or_b32_e32 v20, 0x800000, v5
	v_cndmask_b32_e64 v17, 0, v17, s16
	v_cndmask_b32_e32 v5, v20, v5, vcc_lo
	v_cndmask_b32_e64 v17, v17, 0x6f, vcc_lo
	v_lshl_add_u32 v20, 0x200000, v17, -1
	v_lshlrev_b32_e64 v21, v17, 0x100000
	v_and_b32_e32 v20, v20, v5
	v_cmp_eq_u32_e64 s16, v20, v21
	v_lshrrev_b32_e32 v20, v17, v5
	v_add_nc_u32_e32 v5, 0xffffff91, v16
	v_lshrrev_b32_e32 v16, 23, v20
	v_cndmask_b32_e64 v5, v5, 0xffffff92, vcc_lo
	v_xor_b32_e32 v16, 1, v16
	v_add_nc_u32_e32 v5, v17, v5
	v_bfe_u32 v17, v20, 21, 1
	v_add_nc_u32_e32 v17, -1, v17
	v_cndmask_b32_e64 v17, 0, v17, s16
	s_mov_b32 s16, exec_lo
	v_add_nc_u32_e32 v17, v17, v20
	v_and_b32_e32 v17, 0x1fffff, v17
	v_add_nc_u32_e32 v17, v17, v20
                                        ; implicit-def: $vgpr20
	v_cmpx_ne_u32_e64 v5, v16
	s_xor_b32 s16, exec_lo, s16
; %bb.5263:                             ;   in Loop: Header=BB4_4792 Depth=3
	v_cmp_lt_u32_e32 vcc_lo, 0xffffff, v17
	v_sub_nc_u32_e32 v5, v5, v16
	v_cndmask_b32_e64 v16, 0, 1, vcc_lo
	v_add_co_ci_u32_e64 v20, null, 0, v5, vcc_lo
	v_lshrrev_b32_e32 v17, v16, v17
; %bb.5264:                             ;   in Loop: Header=BB4_4792 Depth=3
	s_andn2_saveexec_b32 s16, s16
; %bb.5265:                             ;   in Loop: Header=BB4_4792 Depth=3
	v_bfe_u32 v20, v17, 23, 1
; %bb.5266:                             ;   in Loop: Header=BB4_4792 Depth=3
	s_or_b32 exec_lo, exec_lo, s16
	v_lshrrev_b32_e32 v5, 21, v17
	v_min_i32_e32 v16, 31, v20
	v_cmp_gt_i32_e32 vcc_lo, 32, v20
	v_and_b32_sdwa v4, v4, v101 dst_sel:DWORD dst_unused:UNUSED_PAD src0_sel:BYTE_3 src1_sel:DWORD
	v_lshlrev_b32_e32 v16, 2, v16
	v_cndmask_b32_e32 v5, 3, v5, vcc_lo
	v_and_b32_e32 v16, 0xfc, v16
	v_or_b32_e32 v17, v20, v5
	v_and_b32_e32 v5, 3, v5
	v_cmp_ne_u32_e32 vcc_lo, 0, v17
	v_or3_b32 v4, v16, v4, v5
	v_cndmask_b32_e32 v72, 0, v4, vcc_lo
.LBB4_5267:                             ;   in Loop: Header=BB4_4792 Depth=3
	s_or_b32 exec_lo, exec_lo, s72
.LBB4_5268:                             ;   in Loop: Header=BB4_4792 Depth=3
	s_or_b32 exec_lo, exec_lo, s23
	v_cmp_gt_i16_sdwa s16, v1, v100 src0_sel:BYTE_1 src1_sel:DWORD
	s_mov_b32 s23, 0
	s_and_saveexec_b32 s72, s16
	s_xor_b32 s16, exec_lo, s72
	s_cbranch_execz .LBB4_5954
; %bb.5269:                             ;   in Loop: Header=BB4_4792 Depth=3
	v_cmp_eq_u16_sdwa s73, v1, v101 src0_sel:BYTE_1 src1_sel:DWORD
	s_mov_b32 s23, -1
	s_and_saveexec_b32 s72, s73
; %bb.5270:                             ;   in Loop: Header=BB4_4792 Depth=3
	s_xor_b32 s23, exec_lo, -1
; %bb.5271:                             ;   in Loop: Header=BB4_4792 Depth=3
	s_or_b32 exec_lo, exec_lo, s72
	s_and_b32 s23, s23, exec_lo
	s_or_saveexec_b32 s16, s16
	v_mov_b32_e32 v4, 0x7f800001
	s_xor_b32 exec_lo, exec_lo, s16
	s_cbranch_execnz .LBB4_5955
.LBB4_5272:                             ;   in Loop: Header=BB4_4792 Depth=3
	s_or_b32 exec_lo, exec_lo, s16
	s_and_saveexec_b32 s16, s23
	s_cbranch_execz .LBB4_5274
.LBB4_5273:                             ;   in Loop: Header=BB4_4792 Depth=3
	v_and_b32_sdwa v4, v102, v1 dst_sel:DWORD dst_unused:UNUSED_PAD src0_sel:DWORD src1_sel:BYTE_1
	v_and_b32_e32 v5, 3, v4
	v_bfe_u32 v20, v4, 2, 5
	v_ffbh_u32_e32 v16, v5
	v_cmp_eq_u32_e32 vcc_lo, 0, v20
	v_min_u32_e32 v16, 32, v16
	v_subrev_nc_u32_e32 v17, 29, v16
	v_sub_nc_u32_e32 v16, 30, v16
	v_lshlrev_b32_e32 v4, v17, v4
	v_lshlrev_b32_sdwa v17, v103, v1 dst_sel:DWORD dst_unused:UNUSED_PAD src0_sel:DWORD src1_sel:BYTE_1
	v_cndmask_b32_e32 v16, v20, v16, vcc_lo
	v_and_b32_e32 v4, 3, v4
	v_lshl_add_u32 v16, v16, 23, 0x37800000
	v_cndmask_b32_e32 v4, v5, v4, vcc_lo
	v_and_b32_e32 v5, 0x80000000, v17
	v_lshlrev_b32_e32 v4, 21, v4
	v_or3_b32 v4, v5, v16, v4
.LBB4_5274:                             ;   in Loop: Header=BB4_4792 Depth=3
	s_or_b32 exec_lo, exec_lo, s16
	v_cmp_gt_i16_sdwa s16, v12, v100 src0_sel:BYTE_1 src1_sel:DWORD
	s_mov_b32 s23, 0
	s_and_saveexec_b32 s72, s16
	s_xor_b32 s16, exec_lo, s72
	s_cbranch_execz .LBB4_5956
; %bb.5275:                             ;   in Loop: Header=BB4_4792 Depth=3
	v_cmp_eq_u16_sdwa s73, v12, v101 src0_sel:BYTE_1 src1_sel:DWORD
	s_mov_b32 s23, -1
	s_and_saveexec_b32 s72, s73
; %bb.5276:                             ;   in Loop: Header=BB4_4792 Depth=3
	s_xor_b32 s23, exec_lo, -1
; %bb.5277:                             ;   in Loop: Header=BB4_4792 Depth=3
	s_or_b32 exec_lo, exec_lo, s72
	s_and_b32 s23, s23, exec_lo
	s_or_saveexec_b32 s16, s16
	v_mov_b32_e32 v5, 0x7f800001
	s_xor_b32 exec_lo, exec_lo, s16
	s_cbranch_execnz .LBB4_5957
.LBB4_5278:                             ;   in Loop: Header=BB4_4792 Depth=3
	s_or_b32 exec_lo, exec_lo, s16
	s_and_saveexec_b32 s16, s23
	s_cbranch_execz .LBB4_5280
.LBB4_5279:                             ;   in Loop: Header=BB4_4792 Depth=3
	v_and_b32_sdwa v5, v102, v12 dst_sel:DWORD dst_unused:UNUSED_PAD src0_sel:DWORD src1_sel:BYTE_1
	v_and_b32_e32 v16, 3, v5
	v_bfe_u32 v21, v5, 2, 5
	v_ffbh_u32_e32 v17, v16
	v_cmp_eq_u32_e32 vcc_lo, 0, v21
	v_min_u32_e32 v17, 32, v17
	v_subrev_nc_u32_e32 v20, 29, v17
	v_sub_nc_u32_e32 v17, 30, v17
	v_lshlrev_b32_e32 v5, v20, v5
	v_lshlrev_b32_sdwa v20, v103, v12 dst_sel:DWORD dst_unused:UNUSED_PAD src0_sel:DWORD src1_sel:BYTE_1
	v_cndmask_b32_e32 v17, v21, v17, vcc_lo
	v_and_b32_e32 v5, 3, v5
	v_lshl_add_u32 v17, v17, 23, 0x37800000
	v_cndmask_b32_e32 v5, v16, v5, vcc_lo
	v_and_b32_e32 v16, 0x80000000, v20
	v_lshlrev_b32_e32 v5, 21, v5
	v_or3_b32 v5, v16, v17, v5
.LBB4_5280:                             ;   in Loop: Header=BB4_4792 Depth=3
	s_or_b32 exec_lo, exec_lo, s16
	v_add_f32_e32 v4, v4, v5
	v_mov_b32_e32 v76, 0x8000
	s_mov_b32 s23, exec_lo
	v_and_b32_e32 v5, 0x7f800000, v4
	v_cmpx_ne_u32_e32 0x7f800000, v5
	s_cbranch_execz .LBB4_5288
; %bb.5281:                             ;   in Loop: Header=BB4_4792 Depth=3
	v_mov_b32_e32 v76, 0
	s_mov_b32 s72, exec_lo
	v_cmpx_ne_u32_e32 0, v4
	s_cbranch_execz .LBB4_5287
; %bb.5282:                             ;   in Loop: Header=BB4_4792 Depth=3
	v_bfe_u32 v16, v4, 23, 8
	v_and_b32_e32 v5, 0x7fffff, v4
	v_cmp_gt_u32_e64 s16, 0x71, v16
	v_sub_nc_u32_e32 v17, 0x70, v16
	v_cmp_eq_u32_e32 vcc_lo, 0, v16
	v_or_b32_e32 v20, 0x800000, v5
	v_cndmask_b32_e64 v17, 0, v17, s16
	v_cndmask_b32_e32 v5, v20, v5, vcc_lo
	v_cndmask_b32_e64 v17, v17, 0x6f, vcc_lo
	v_lshl_add_u32 v20, 0x200000, v17, -1
	v_lshlrev_b32_e64 v21, v17, 0x100000
	v_and_b32_e32 v20, v20, v5
	v_cmp_eq_u32_e64 s16, v20, v21
	v_lshrrev_b32_e32 v20, v17, v5
	v_add_nc_u32_e32 v5, 0xffffff91, v16
	v_lshrrev_b32_e32 v16, 23, v20
	v_cndmask_b32_e64 v5, v5, 0xffffff92, vcc_lo
	v_xor_b32_e32 v16, 1, v16
	v_add_nc_u32_e32 v5, v17, v5
	v_bfe_u32 v17, v20, 21, 1
	v_add_nc_u32_e32 v17, -1, v17
	v_cndmask_b32_e64 v17, 0, v17, s16
	s_mov_b32 s16, exec_lo
	v_add_nc_u32_e32 v17, v17, v20
	v_and_b32_e32 v17, 0x1fffff, v17
	v_add_nc_u32_e32 v17, v17, v20
                                        ; implicit-def: $vgpr20
	v_cmpx_ne_u32_e64 v5, v16
	s_xor_b32 s16, exec_lo, s16
; %bb.5283:                             ;   in Loop: Header=BB4_4792 Depth=3
	v_cmp_lt_u32_e32 vcc_lo, 0xffffff, v17
	v_sub_nc_u32_e32 v5, v5, v16
	v_cndmask_b32_e64 v16, 0, 1, vcc_lo
	v_add_co_ci_u32_e64 v20, null, 0, v5, vcc_lo
	v_lshrrev_b32_e32 v17, v16, v17
; %bb.5284:                             ;   in Loop: Header=BB4_4792 Depth=3
	s_andn2_saveexec_b32 s16, s16
; %bb.5285:                             ;   in Loop: Header=BB4_4792 Depth=3
	v_bfe_u32 v20, v17, 23, 1
; %bb.5286:                             ;   in Loop: Header=BB4_4792 Depth=3
	s_or_b32 exec_lo, exec_lo, s16
	v_lshrrev_b32_e32 v5, 21, v17
	v_min_i32_e32 v16, 31, v20
	v_cmp_gt_i32_e32 vcc_lo, 32, v20
	v_and_b32_sdwa v4, v4, v101 dst_sel:DWORD dst_unused:UNUSED_PAD src0_sel:BYTE_3 src1_sel:DWORD
	v_lshlrev_b32_e32 v16, 2, v16
	v_cndmask_b32_e32 v5, 3, v5, vcc_lo
	v_and_b32_e32 v16, 0xfc, v16
	v_or_b32_e32 v17, v20, v5
	v_and_b32_e32 v5, 3, v5
	v_cmp_ne_u32_e32 vcc_lo, 0, v17
	v_or3_b32 v4, v4, v16, v5
	v_lshlrev_b32_e32 v4, 8, v4
	v_cndmask_b32_e32 v76, 0, v4, vcc_lo
.LBB4_5287:                             ;   in Loop: Header=BB4_4792 Depth=3
	s_or_b32 exec_lo, exec_lo, s72
.LBB4_5288:                             ;   in Loop: Header=BB4_4792 Depth=3
	s_or_b32 exec_lo, exec_lo, s23
	v_or_b32_e32 v5, v88, v19
	s_mov_b32 s23, 0
	v_cmp_gt_i16_sdwa s16, v5, v100 src0_sel:BYTE_0 src1_sel:DWORD
	s_and_saveexec_b32 s72, s16
	s_xor_b32 s16, exec_lo, s72
	s_cbranch_execz .LBB4_5958
; %bb.5289:                             ;   in Loop: Header=BB4_4792 Depth=3
	v_cmp_eq_u16_sdwa s73, v5, v101 src0_sel:BYTE_0 src1_sel:DWORD
	s_mov_b32 s23, -1
	s_and_saveexec_b32 s72, s73
; %bb.5290:                             ;   in Loop: Header=BB4_4792 Depth=3
	s_xor_b32 s23, exec_lo, -1
; %bb.5291:                             ;   in Loop: Header=BB4_4792 Depth=3
	s_or_b32 exec_lo, exec_lo, s72
	s_and_b32 s23, s23, exec_lo
	s_or_saveexec_b32 s16, s16
	v_mov_b32_e32 v4, 0x7f800001
	s_xor_b32 exec_lo, exec_lo, s16
	s_cbranch_execnz .LBB4_5959
.LBB4_5292:                             ;   in Loop: Header=BB4_4792 Depth=3
	s_or_b32 exec_lo, exec_lo, s16
	v_lshl_or_b32 v1, v5, 16, v1
	s_and_saveexec_b32 s16, s23
	s_cbranch_execz .LBB4_5294
.LBB4_5293:                             ;   in Loop: Header=BB4_4792 Depth=3
	v_bfe_u32 v4, v1, 16, 2
	v_bfe_u32 v5, v1, 18, 5
	v_ffbh_u32_e32 v16, v4
	v_cmp_eq_u32_e32 vcc_lo, 0, v5
	v_min_u32_e32 v16, 32, v16
	v_subrev_nc_u32_e32 v17, 29, v16
	v_sub_nc_u32_e32 v16, 30, v16
	v_lshlrev_b32_sdwa v17, v17, v1 dst_sel:DWORD dst_unused:UNUSED_PAD src0_sel:DWORD src1_sel:WORD_1
	v_cndmask_b32_e32 v5, v5, v16, vcc_lo
	v_lshlrev_b32_e32 v16, 8, v1
	v_and_b32_e32 v17, 3, v17
	v_lshl_add_u32 v5, v5, 23, 0x37800000
	v_and_b32_e32 v16, 0x80000000, v16
	v_cndmask_b32_e32 v4, v4, v17, vcc_lo
	v_lshlrev_b32_e32 v4, 21, v4
	v_or3_b32 v4, v16, v5, v4
.LBB4_5294:                             ;   in Loop: Header=BB4_4792 Depth=3
	s_or_b32 exec_lo, exec_lo, s16
	v_and_b32_sdwa v16, v12, v112 dst_sel:DWORD dst_unused:UNUSED_PAD src0_sel:WORD_1 src1_sel:DWORD
	s_mov_b32 s23, 0
	s_mov_b32 s16, exec_lo
	v_cmpx_lt_i16_e32 0x7f, v16
	s_xor_b32 s16, exec_lo, s16
	s_cbranch_execz .LBB4_5960
; %bb.5295:                             ;   in Loop: Header=BB4_4792 Depth=3
	s_mov_b32 s23, -1
	s_mov_b32 s72, exec_lo
	v_cmpx_eq_u16_e32 0x80, v16
; %bb.5296:                             ;   in Loop: Header=BB4_4792 Depth=3
	s_xor_b32 s23, exec_lo, -1
; %bb.5297:                             ;   in Loop: Header=BB4_4792 Depth=3
	s_or_b32 exec_lo, exec_lo, s72
	s_and_b32 s23, s23, exec_lo
                                        ; implicit-def: $vgpr16
	s_or_saveexec_b32 s16, s16
	v_mov_b32_e32 v5, 0x7f800001
	s_xor_b32 exec_lo, exec_lo, s16
	s_cbranch_execnz .LBB4_5961
.LBB4_5298:                             ;   in Loop: Header=BB4_4792 Depth=3
	s_or_b32 exec_lo, exec_lo, s16
	s_and_saveexec_b32 s16, s23
	s_cbranch_execz .LBB4_5300
.LBB4_5299:                             ;   in Loop: Header=BB4_4792 Depth=3
	v_bfe_u32 v5, v12, 16, 2
	v_bfe_u32 v16, v12, 18, 5
	v_ffbh_u32_e32 v17, v5
	v_cmp_eq_u32_e32 vcc_lo, 0, v16
	v_min_u32_e32 v17, 32, v17
	v_subrev_nc_u32_e32 v19, 29, v17
	v_sub_nc_u32_e32 v17, 30, v17
	v_lshlrev_b32_sdwa v19, v19, v12 dst_sel:DWORD dst_unused:UNUSED_PAD src0_sel:DWORD src1_sel:WORD_1
	v_cndmask_b32_e32 v16, v16, v17, vcc_lo
	v_lshlrev_b32_e32 v17, 8, v12
	v_and_b32_e32 v19, 3, v19
	v_lshl_add_u32 v16, v16, 23, 0x37800000
	v_and_b32_e32 v17, 0x80000000, v17
	v_cndmask_b32_e32 v5, v5, v19, vcc_lo
	v_lshlrev_b32_e32 v5, 21, v5
	v_or3_b32 v5, v17, v16, v5
.LBB4_5300:                             ;   in Loop: Header=BB4_4792 Depth=3
	s_or_b32 exec_lo, exec_lo, s16
	v_add_f32_e32 v4, v4, v5
	v_mov_b32_e32 v88, 0x80
	s_mov_b32 s23, exec_lo
	v_and_b32_e32 v5, 0x7f800000, v4
	v_cmpx_ne_u32_e32 0x7f800000, v5
	s_cbranch_execz .LBB4_5308
; %bb.5301:                             ;   in Loop: Header=BB4_4792 Depth=3
	v_mov_b32_e32 v88, 0
	s_mov_b32 s72, exec_lo
	v_cmpx_ne_u32_e32 0, v4
	s_cbranch_execz .LBB4_5307
; %bb.5302:                             ;   in Loop: Header=BB4_4792 Depth=3
	v_bfe_u32 v16, v4, 23, 8
	v_and_b32_e32 v5, 0x7fffff, v4
	v_cmp_gt_u32_e64 s16, 0x71, v16
	v_sub_nc_u32_e32 v17, 0x70, v16
	v_cmp_eq_u32_e32 vcc_lo, 0, v16
	v_or_b32_e32 v19, 0x800000, v5
	v_cndmask_b32_e64 v17, 0, v17, s16
	v_cndmask_b32_e32 v5, v19, v5, vcc_lo
	v_cndmask_b32_e64 v17, v17, 0x6f, vcc_lo
	v_lshl_add_u32 v19, 0x200000, v17, -1
	v_lshlrev_b32_e64 v20, v17, 0x100000
	v_and_b32_e32 v19, v19, v5
	v_cmp_eq_u32_e64 s16, v19, v20
	v_lshrrev_b32_e32 v19, v17, v5
	v_add_nc_u32_e32 v5, 0xffffff91, v16
	v_lshrrev_b32_e32 v16, 23, v19
	v_cndmask_b32_e64 v5, v5, 0xffffff92, vcc_lo
	v_xor_b32_e32 v16, 1, v16
	v_add_nc_u32_e32 v5, v17, v5
	v_bfe_u32 v17, v19, 21, 1
	v_add_nc_u32_e32 v17, -1, v17
	v_cndmask_b32_e64 v17, 0, v17, s16
	s_mov_b32 s16, exec_lo
	v_add_nc_u32_e32 v17, v17, v19
	v_and_b32_e32 v17, 0x1fffff, v17
	v_add_nc_u32_e32 v17, v17, v19
                                        ; implicit-def: $vgpr19
	v_cmpx_ne_u32_e64 v5, v16
	s_xor_b32 s16, exec_lo, s16
; %bb.5303:                             ;   in Loop: Header=BB4_4792 Depth=3
	v_cmp_lt_u32_e32 vcc_lo, 0xffffff, v17
	v_sub_nc_u32_e32 v5, v5, v16
	v_cndmask_b32_e64 v16, 0, 1, vcc_lo
	v_add_co_ci_u32_e64 v19, null, 0, v5, vcc_lo
	v_lshrrev_b32_e32 v17, v16, v17
; %bb.5304:                             ;   in Loop: Header=BB4_4792 Depth=3
	s_andn2_saveexec_b32 s16, s16
; %bb.5305:                             ;   in Loop: Header=BB4_4792 Depth=3
	v_bfe_u32 v19, v17, 23, 1
; %bb.5306:                             ;   in Loop: Header=BB4_4792 Depth=3
	s_or_b32 exec_lo, exec_lo, s16
	v_lshrrev_b32_e32 v5, 21, v17
	v_min_i32_e32 v16, 31, v19
	v_cmp_gt_i32_e32 vcc_lo, 32, v19
	v_and_b32_sdwa v4, v4, v101 dst_sel:DWORD dst_unused:UNUSED_PAD src0_sel:BYTE_3 src1_sel:DWORD
	v_lshlrev_b32_e32 v16, 2, v16
	v_cndmask_b32_e32 v5, 3, v5, vcc_lo
	v_and_b32_e32 v16, 0xfc, v16
	v_or_b32_e32 v17, v19, v5
	v_and_b32_e32 v5, 3, v5
	v_cmp_ne_u32_e32 vcc_lo, 0, v17
	v_or3_b32 v4, v16, v4, v5
	v_cndmask_b32_e32 v88, 0, v4, vcc_lo
.LBB4_5307:                             ;   in Loop: Header=BB4_4792 Depth=3
	s_or_b32 exec_lo, exec_lo, s72
.LBB4_5308:                             ;   in Loop: Header=BB4_4792 Depth=3
	s_or_b32 exec_lo, exec_lo, s23
	v_cmp_gt_i16_sdwa s16, v1, v100 src0_sel:BYTE_3 src1_sel:DWORD
	s_mov_b32 s23, 0
	s_and_saveexec_b32 s72, s16
	s_xor_b32 s16, exec_lo, s72
	s_cbranch_execz .LBB4_5962
; %bb.5309:                             ;   in Loop: Header=BB4_4792 Depth=3
	v_cmp_eq_u16_sdwa s73, v1, v101 src0_sel:BYTE_3 src1_sel:DWORD
	s_mov_b32 s23, -1
	s_and_saveexec_b32 s72, s73
; %bb.5310:                             ;   in Loop: Header=BB4_4792 Depth=3
	s_xor_b32 s23, exec_lo, -1
; %bb.5311:                             ;   in Loop: Header=BB4_4792 Depth=3
	s_or_b32 exec_lo, exec_lo, s72
	s_and_b32 s23, s23, exec_lo
	s_or_saveexec_b32 s16, s16
	v_mov_b32_e32 v4, 0x7f800001
	s_xor_b32 exec_lo, exec_lo, s16
	s_cbranch_execnz .LBB4_5963
.LBB4_5312:                             ;   in Loop: Header=BB4_4792 Depth=3
	s_or_b32 exec_lo, exec_lo, s16
	s_and_saveexec_b32 s16, s23
	s_cbranch_execz .LBB4_5314
.LBB4_5313:                             ;   in Loop: Header=BB4_4792 Depth=3
	v_bfe_u32 v4, v1, 24, 2
	v_bfe_u32 v17, v1, 26, 5
	v_ffbh_u32_e32 v5, v4
	v_cmp_eq_u32_e32 vcc_lo, 0, v17
	v_min_u32_e32 v5, 32, v5
	v_subrev_nc_u32_e32 v16, 29, v5
	v_sub_nc_u32_e32 v5, 30, v5
	v_lshlrev_b32_sdwa v16, v16, v1 dst_sel:DWORD dst_unused:UNUSED_PAD src0_sel:DWORD src1_sel:BYTE_3
	v_cndmask_b32_e32 v5, v17, v5, vcc_lo
	v_and_b32_e32 v1, 0x80000000, v1
	v_and_b32_e32 v16, 3, v16
	v_lshl_add_u32 v5, v5, 23, 0x37800000
	v_cndmask_b32_e32 v4, v4, v16, vcc_lo
	v_lshlrev_b32_e32 v4, 21, v4
	v_or3_b32 v4, v1, v5, v4
.LBB4_5314:                             ;   in Loop: Header=BB4_4792 Depth=3
	s_or_b32 exec_lo, exec_lo, s16
	v_cmp_gt_i16_sdwa s16, v12, v100 src0_sel:BYTE_3 src1_sel:DWORD
	s_mov_b32 s23, 0
	s_and_saveexec_b32 s72, s16
	s_xor_b32 s16, exec_lo, s72
	s_cbranch_execz .LBB4_5964
; %bb.5315:                             ;   in Loop: Header=BB4_4792 Depth=3
	v_cmp_eq_u16_sdwa s73, v12, v101 src0_sel:BYTE_3 src1_sel:DWORD
	s_mov_b32 s23, -1
	s_and_saveexec_b32 s72, s73
; %bb.5316:                             ;   in Loop: Header=BB4_4792 Depth=3
	s_xor_b32 s23, exec_lo, -1
; %bb.5317:                             ;   in Loop: Header=BB4_4792 Depth=3
	s_or_b32 exec_lo, exec_lo, s72
	s_and_b32 s23, s23, exec_lo
	s_or_saveexec_b32 s16, s16
	v_mov_b32_e32 v1, 0x7f800001
	s_xor_b32 exec_lo, exec_lo, s16
	s_cbranch_execnz .LBB4_5965
.LBB4_5318:                             ;   in Loop: Header=BB4_4792 Depth=3
	s_or_b32 exec_lo, exec_lo, s16
	s_and_saveexec_b32 s16, s23
	s_cbranch_execz .LBB4_5320
.LBB4_5319:                             ;   in Loop: Header=BB4_4792 Depth=3
	v_bfe_u32 v1, v12, 24, 2
	v_bfe_u32 v17, v12, 26, 5
	v_ffbh_u32_e32 v5, v1
	v_cmp_eq_u32_e32 vcc_lo, 0, v17
	v_min_u32_e32 v5, 32, v5
	v_subrev_nc_u32_e32 v16, 29, v5
	v_sub_nc_u32_e32 v5, 30, v5
	v_lshlrev_b32_sdwa v16, v16, v12 dst_sel:DWORD dst_unused:UNUSED_PAD src0_sel:DWORD src1_sel:BYTE_3
	v_cndmask_b32_e32 v5, v17, v5, vcc_lo
	v_and_b32_e32 v12, 0x80000000, v12
	v_and_b32_e32 v16, 3, v16
	v_lshl_add_u32 v5, v5, 23, 0x37800000
	v_cndmask_b32_e32 v1, v1, v16, vcc_lo
	v_lshlrev_b32_e32 v1, 21, v1
	v_or3_b32 v1, v12, v5, v1
.LBB4_5320:                             ;   in Loop: Header=BB4_4792 Depth=3
	s_or_b32 exec_lo, exec_lo, s16
	v_add_f32_e32 v1, v4, v1
	v_mov_b32_e32 v12, 0x8000
	s_mov_b32 s23, exec_lo
	v_and_b32_e32 v4, 0x7f800000, v1
	v_cmpx_ne_u32_e32 0x7f800000, v4
	s_cbranch_execz .LBB4_5328
; %bb.5321:                             ;   in Loop: Header=BB4_4792 Depth=3
	v_mov_b32_e32 v12, 0
	s_mov_b32 s72, exec_lo
	v_cmpx_ne_u32_e32 0, v1
	s_cbranch_execz .LBB4_5327
; %bb.5322:                             ;   in Loop: Header=BB4_4792 Depth=3
	v_bfe_u32 v5, v1, 23, 8
	v_and_b32_e32 v4, 0x7fffff, v1
	v_cmp_gt_u32_e64 s16, 0x71, v5
	v_sub_nc_u32_e32 v12, 0x70, v5
	v_cmp_eq_u32_e32 vcc_lo, 0, v5
	v_or_b32_e32 v16, 0x800000, v4
	v_cndmask_b32_e64 v12, 0, v12, s16
	v_cndmask_b32_e32 v4, v16, v4, vcc_lo
	v_cndmask_b32_e64 v12, v12, 0x6f, vcc_lo
	v_lshl_add_u32 v16, 0x200000, v12, -1
	v_lshlrev_b32_e64 v17, v12, 0x100000
	v_and_b32_e32 v16, v16, v4
	v_cmp_eq_u32_e64 s16, v16, v17
	v_lshrrev_b32_e32 v16, v12, v4
	v_add_nc_u32_e32 v4, 0xffffff91, v5
	v_lshrrev_b32_e32 v5, 23, v16
	v_cndmask_b32_e64 v4, v4, 0xffffff92, vcc_lo
	v_xor_b32_e32 v5, 1, v5
	v_add_nc_u32_e32 v4, v12, v4
	v_bfe_u32 v12, v16, 21, 1
	v_add_nc_u32_e32 v12, -1, v12
	v_cndmask_b32_e64 v12, 0, v12, s16
	s_mov_b32 s16, exec_lo
	v_add_nc_u32_e32 v12, v12, v16
	v_and_b32_e32 v12, 0x1fffff, v12
	v_add_nc_u32_e32 v12, v12, v16
                                        ; implicit-def: $vgpr16
	v_cmpx_ne_u32_e64 v4, v5
	s_xor_b32 s16, exec_lo, s16
; %bb.5323:                             ;   in Loop: Header=BB4_4792 Depth=3
	v_cmp_lt_u32_e32 vcc_lo, 0xffffff, v12
	v_sub_nc_u32_e32 v4, v4, v5
	v_cndmask_b32_e64 v5, 0, 1, vcc_lo
	v_add_co_ci_u32_e64 v16, null, 0, v4, vcc_lo
	v_lshrrev_b32_e32 v12, v5, v12
; %bb.5324:                             ;   in Loop: Header=BB4_4792 Depth=3
	s_andn2_saveexec_b32 s16, s16
; %bb.5325:                             ;   in Loop: Header=BB4_4792 Depth=3
	v_bfe_u32 v16, v12, 23, 1
; %bb.5326:                             ;   in Loop: Header=BB4_4792 Depth=3
	s_or_b32 exec_lo, exec_lo, s16
	v_lshrrev_b32_e32 v4, 21, v12
	v_min_i32_e32 v5, 31, v16
	v_cmp_gt_i32_e32 vcc_lo, 32, v16
	v_and_b32_sdwa v1, v1, v101 dst_sel:DWORD dst_unused:UNUSED_PAD src0_sel:BYTE_3 src1_sel:DWORD
	v_lshlrev_b32_e32 v5, 2, v5
	v_cndmask_b32_e32 v4, 3, v4, vcc_lo
	v_and_b32_e32 v5, 0xfc, v5
	v_or_b32_e32 v12, v16, v4
	v_and_b32_e32 v4, 3, v4
	v_cmp_ne_u32_e32 vcc_lo, 0, v12
	v_or3_b32 v1, v1, v5, v4
	v_lshlrev_b32_e32 v1, 8, v1
	v_cndmask_b32_e32 v12, 0, v1, vcc_lo
.LBB4_5327:                             ;   in Loop: Header=BB4_4792 Depth=3
	s_or_b32 exec_lo, exec_lo, s72
.LBB4_5328:                             ;   in Loop: Header=BB4_4792 Depth=3
	s_or_b32 exec_lo, exec_lo, s23
	v_or_b32_e32 v1, v18, v93
	s_mov_b32 s23, 0
	v_cmp_gt_i16_sdwa s16, v1, v100 src0_sel:BYTE_0 src1_sel:DWORD
	s_and_saveexec_b32 s72, s16
	s_xor_b32 s16, exec_lo, s72
	s_cbranch_execz .LBB4_5966
; %bb.5329:                             ;   in Loop: Header=BB4_4792 Depth=3
	v_cmp_eq_u16_sdwa s73, v1, v101 src0_sel:BYTE_0 src1_sel:DWORD
	s_mov_b32 s23, -1
	s_and_saveexec_b32 s72, s73
; %bb.5330:                             ;   in Loop: Header=BB4_4792 Depth=3
	s_xor_b32 s23, exec_lo, -1
; %bb.5331:                             ;   in Loop: Header=BB4_4792 Depth=3
	s_or_b32 exec_lo, exec_lo, s72
	s_and_b32 s23, s23, exec_lo
	s_or_saveexec_b32 s16, s16
	v_mov_b32_e32 v4, 0x7f800001
	s_xor_b32 exec_lo, exec_lo, s16
	s_cbranch_execnz .LBB4_5967
.LBB4_5332:                             ;   in Loop: Header=BB4_4792 Depth=3
	s_or_b32 exec_lo, exec_lo, s16
	s_and_saveexec_b32 s16, s23
	s_cbranch_execz .LBB4_5334
.LBB4_5333:                             ;   in Loop: Header=BB4_4792 Depth=3
	v_and_b32_e32 v4, 3, v1
	v_bfe_u32 v5, v1, 2, 5
	v_ffbh_u32_e32 v16, v4
	v_cmp_eq_u32_e32 vcc_lo, 0, v5
	v_min_u32_e32 v16, 32, v16
	v_subrev_nc_u32_e32 v17, 29, v16
	v_sub_nc_u32_e32 v16, 30, v16
	v_lshlrev_b32_e32 v17, v17, v1
	v_cndmask_b32_e32 v5, v5, v16, vcc_lo
	v_lshlrev_b32_e32 v16, 24, v1
	v_and_b32_e32 v17, 3, v17
	v_lshl_add_u32 v5, v5, 23, 0x37800000
	v_and_b32_e32 v16, 0x80000000, v16
	v_cndmask_b32_e32 v4, v4, v17, vcc_lo
	v_lshlrev_b32_e32 v4, 21, v4
	v_or3_b32 v4, v16, v5, v4
.LBB4_5334:                             ;   in Loop: Header=BB4_4792 Depth=3
	s_or_b32 exec_lo, exec_lo, s16
	v_cmp_gt_i16_sdwa s16, v13, v100 src0_sel:BYTE_0 src1_sel:DWORD
	s_mov_b32 s23, 0
	s_and_saveexec_b32 s72, s16
	s_xor_b32 s16, exec_lo, s72
	s_cbranch_execz .LBB4_5968
; %bb.5335:                             ;   in Loop: Header=BB4_4792 Depth=3
	v_cmp_eq_u16_sdwa s73, v13, v101 src0_sel:BYTE_0 src1_sel:DWORD
	s_mov_b32 s23, -1
	s_and_saveexec_b32 s72, s73
; %bb.5336:                             ;   in Loop: Header=BB4_4792 Depth=3
	s_xor_b32 s23, exec_lo, -1
; %bb.5337:                             ;   in Loop: Header=BB4_4792 Depth=3
	s_or_b32 exec_lo, exec_lo, s72
	s_and_b32 s23, s23, exec_lo
	s_or_saveexec_b32 s16, s16
	v_mov_b32_e32 v5, 0x7f800001
	s_xor_b32 exec_lo, exec_lo, s16
	s_cbranch_execnz .LBB4_5969
.LBB4_5338:                             ;   in Loop: Header=BB4_4792 Depth=3
	s_or_b32 exec_lo, exec_lo, s16
	s_and_saveexec_b32 s16, s23
	s_cbranch_execz .LBB4_5340
.LBB4_5339:                             ;   in Loop: Header=BB4_4792 Depth=3
	v_and_b32_e32 v5, 3, v13
	v_bfe_u32 v16, v13, 2, 5
	v_ffbh_u32_e32 v17, v5
	v_cmp_eq_u32_e32 vcc_lo, 0, v16
	v_min_u32_e32 v17, 32, v17
	v_subrev_nc_u32_e32 v18, 29, v17
	v_sub_nc_u32_e32 v17, 30, v17
	v_lshlrev_b32_e32 v18, v18, v13
	v_cndmask_b32_e32 v16, v16, v17, vcc_lo
	v_lshlrev_b32_e32 v17, 24, v13
	v_and_b32_e32 v18, 3, v18
	v_lshl_add_u32 v16, v16, 23, 0x37800000
	v_and_b32_e32 v17, 0x80000000, v17
	v_cndmask_b32_e32 v5, v5, v18, vcc_lo
	v_lshlrev_b32_e32 v5, 21, v5
	v_or3_b32 v5, v17, v16, v5
.LBB4_5340:                             ;   in Loop: Header=BB4_4792 Depth=3
	s_or_b32 exec_lo, exec_lo, s16
	v_add_f32_e32 v4, v4, v5
	v_mov_b32_e32 v93, 0x80
	s_mov_b32 s23, exec_lo
	v_and_b32_e32 v5, 0x7f800000, v4
	v_cmpx_ne_u32_e32 0x7f800000, v5
	s_cbranch_execz .LBB4_5348
; %bb.5341:                             ;   in Loop: Header=BB4_4792 Depth=3
	v_mov_b32_e32 v93, 0
	s_mov_b32 s72, exec_lo
	v_cmpx_ne_u32_e32 0, v4
	s_cbranch_execz .LBB4_5347
; %bb.5342:                             ;   in Loop: Header=BB4_4792 Depth=3
	v_bfe_u32 v16, v4, 23, 8
	v_and_b32_e32 v5, 0x7fffff, v4
	v_cmp_gt_u32_e64 s16, 0x71, v16
	v_sub_nc_u32_e32 v17, 0x70, v16
	v_cmp_eq_u32_e32 vcc_lo, 0, v16
	v_or_b32_e32 v18, 0x800000, v5
	v_cndmask_b32_e64 v17, 0, v17, s16
	v_cndmask_b32_e32 v5, v18, v5, vcc_lo
	v_cndmask_b32_e64 v17, v17, 0x6f, vcc_lo
	v_lshl_add_u32 v18, 0x200000, v17, -1
	v_lshlrev_b32_e64 v19, v17, 0x100000
	v_and_b32_e32 v18, v18, v5
	v_cmp_eq_u32_e64 s16, v18, v19
	v_lshrrev_b32_e32 v18, v17, v5
	v_add_nc_u32_e32 v5, 0xffffff91, v16
	v_lshrrev_b32_e32 v16, 23, v18
	v_cndmask_b32_e64 v5, v5, 0xffffff92, vcc_lo
	v_xor_b32_e32 v16, 1, v16
	v_add_nc_u32_e32 v5, v17, v5
	v_bfe_u32 v17, v18, 21, 1
	v_add_nc_u32_e32 v17, -1, v17
	v_cndmask_b32_e64 v17, 0, v17, s16
	s_mov_b32 s16, exec_lo
	v_add_nc_u32_e32 v17, v17, v18
	v_and_b32_e32 v17, 0x1fffff, v17
	v_add_nc_u32_e32 v17, v17, v18
                                        ; implicit-def: $vgpr18
	v_cmpx_ne_u32_e64 v5, v16
	s_xor_b32 s16, exec_lo, s16
; %bb.5343:                             ;   in Loop: Header=BB4_4792 Depth=3
	v_cmp_lt_u32_e32 vcc_lo, 0xffffff, v17
	v_sub_nc_u32_e32 v5, v5, v16
	v_cndmask_b32_e64 v16, 0, 1, vcc_lo
	v_add_co_ci_u32_e64 v18, null, 0, v5, vcc_lo
	v_lshrrev_b32_e32 v17, v16, v17
; %bb.5344:                             ;   in Loop: Header=BB4_4792 Depth=3
	s_andn2_saveexec_b32 s16, s16
; %bb.5345:                             ;   in Loop: Header=BB4_4792 Depth=3
	v_bfe_u32 v18, v17, 23, 1
; %bb.5346:                             ;   in Loop: Header=BB4_4792 Depth=3
	s_or_b32 exec_lo, exec_lo, s16
	v_lshrrev_b32_e32 v5, 21, v17
	v_min_i32_e32 v16, 31, v18
	v_cmp_gt_i32_e32 vcc_lo, 32, v18
	v_and_b32_sdwa v4, v4, v101 dst_sel:DWORD dst_unused:UNUSED_PAD src0_sel:BYTE_3 src1_sel:DWORD
	v_lshlrev_b32_e32 v16, 2, v16
	v_cndmask_b32_e32 v5, 3, v5, vcc_lo
	v_and_b32_e32 v16, 0xfc, v16
	v_or_b32_e32 v17, v18, v5
	v_and_b32_e32 v5, 3, v5
	v_cmp_ne_u32_e32 vcc_lo, 0, v17
	v_or3_b32 v4, v16, v4, v5
	v_cndmask_b32_e32 v93, 0, v4, vcc_lo
.LBB4_5347:                             ;   in Loop: Header=BB4_4792 Depth=3
	s_or_b32 exec_lo, exec_lo, s72
.LBB4_5348:                             ;   in Loop: Header=BB4_4792 Depth=3
	s_or_b32 exec_lo, exec_lo, s23
	v_cmp_gt_i16_sdwa s16, v1, v100 src0_sel:BYTE_1 src1_sel:DWORD
	s_mov_b32 s23, 0
	s_and_saveexec_b32 s72, s16
	s_xor_b32 s16, exec_lo, s72
	s_cbranch_execz .LBB4_5970
; %bb.5349:                             ;   in Loop: Header=BB4_4792 Depth=3
	v_cmp_eq_u16_sdwa s73, v1, v101 src0_sel:BYTE_1 src1_sel:DWORD
	s_mov_b32 s23, -1
	s_and_saveexec_b32 s72, s73
; %bb.5350:                             ;   in Loop: Header=BB4_4792 Depth=3
	s_xor_b32 s23, exec_lo, -1
; %bb.5351:                             ;   in Loop: Header=BB4_4792 Depth=3
	s_or_b32 exec_lo, exec_lo, s72
	s_and_b32 s23, s23, exec_lo
	s_or_saveexec_b32 s16, s16
	v_mov_b32_e32 v4, 0x7f800001
	s_xor_b32 exec_lo, exec_lo, s16
	s_cbranch_execnz .LBB4_5971
.LBB4_5352:                             ;   in Loop: Header=BB4_4792 Depth=3
	s_or_b32 exec_lo, exec_lo, s16
	s_and_saveexec_b32 s16, s23
	s_cbranch_execz .LBB4_5354
.LBB4_5353:                             ;   in Loop: Header=BB4_4792 Depth=3
	v_and_b32_sdwa v4, v102, v1 dst_sel:DWORD dst_unused:UNUSED_PAD src0_sel:DWORD src1_sel:BYTE_1
	v_and_b32_e32 v5, 3, v4
	v_bfe_u32 v18, v4, 2, 5
	v_ffbh_u32_e32 v16, v5
	v_cmp_eq_u32_e32 vcc_lo, 0, v18
	v_min_u32_e32 v16, 32, v16
	v_subrev_nc_u32_e32 v17, 29, v16
	v_sub_nc_u32_e32 v16, 30, v16
	v_lshlrev_b32_e32 v4, v17, v4
	v_lshlrev_b32_sdwa v17, v103, v1 dst_sel:DWORD dst_unused:UNUSED_PAD src0_sel:DWORD src1_sel:BYTE_1
	v_cndmask_b32_e32 v16, v18, v16, vcc_lo
	v_and_b32_e32 v4, 3, v4
	v_lshl_add_u32 v16, v16, 23, 0x37800000
	v_cndmask_b32_e32 v4, v5, v4, vcc_lo
	v_and_b32_e32 v5, 0x80000000, v17
	v_lshlrev_b32_e32 v4, 21, v4
	v_or3_b32 v4, v5, v16, v4
.LBB4_5354:                             ;   in Loop: Header=BB4_4792 Depth=3
	s_or_b32 exec_lo, exec_lo, s16
	v_cmp_gt_i16_sdwa s16, v13, v100 src0_sel:BYTE_1 src1_sel:DWORD
	s_mov_b32 s23, 0
	s_and_saveexec_b32 s72, s16
	s_xor_b32 s16, exec_lo, s72
	s_cbranch_execz .LBB4_5972
; %bb.5355:                             ;   in Loop: Header=BB4_4792 Depth=3
	v_cmp_eq_u16_sdwa s73, v13, v101 src0_sel:BYTE_1 src1_sel:DWORD
	s_mov_b32 s23, -1
	s_and_saveexec_b32 s72, s73
; %bb.5356:                             ;   in Loop: Header=BB4_4792 Depth=3
	s_xor_b32 s23, exec_lo, -1
; %bb.5357:                             ;   in Loop: Header=BB4_4792 Depth=3
	s_or_b32 exec_lo, exec_lo, s72
	s_and_b32 s23, s23, exec_lo
	s_or_saveexec_b32 s16, s16
	v_mov_b32_e32 v5, 0x7f800001
	s_xor_b32 exec_lo, exec_lo, s16
	s_cbranch_execnz .LBB4_5973
.LBB4_5358:                             ;   in Loop: Header=BB4_4792 Depth=3
	s_or_b32 exec_lo, exec_lo, s16
	s_and_saveexec_b32 s16, s23
	s_cbranch_execz .LBB4_5360
.LBB4_5359:                             ;   in Loop: Header=BB4_4792 Depth=3
	v_and_b32_sdwa v5, v102, v13 dst_sel:DWORD dst_unused:UNUSED_PAD src0_sel:DWORD src1_sel:BYTE_1
	v_and_b32_e32 v16, 3, v5
	v_bfe_u32 v19, v5, 2, 5
	v_ffbh_u32_e32 v17, v16
	v_cmp_eq_u32_e32 vcc_lo, 0, v19
	v_min_u32_e32 v17, 32, v17
	v_subrev_nc_u32_e32 v18, 29, v17
	v_sub_nc_u32_e32 v17, 30, v17
	v_lshlrev_b32_e32 v5, v18, v5
	v_lshlrev_b32_sdwa v18, v103, v13 dst_sel:DWORD dst_unused:UNUSED_PAD src0_sel:DWORD src1_sel:BYTE_1
	v_cndmask_b32_e32 v17, v19, v17, vcc_lo
	v_and_b32_e32 v5, 3, v5
	v_lshl_add_u32 v17, v17, 23, 0x37800000
	v_cndmask_b32_e32 v5, v16, v5, vcc_lo
	v_and_b32_e32 v16, 0x80000000, v18
	v_lshlrev_b32_e32 v5, 21, v5
	v_or3_b32 v5, v16, v17, v5
.LBB4_5360:                             ;   in Loop: Header=BB4_4792 Depth=3
	s_or_b32 exec_lo, exec_lo, s16
	v_add_f32_e32 v4, v4, v5
	v_mov_b32_e32 v104, 0x8000
	s_mov_b32 s23, exec_lo
	v_and_b32_e32 v5, 0x7f800000, v4
	v_cmpx_ne_u32_e32 0x7f800000, v5
	s_cbranch_execz .LBB4_5368
; %bb.5361:                             ;   in Loop: Header=BB4_4792 Depth=3
	v_mov_b32_e32 v104, 0
	s_mov_b32 s72, exec_lo
	v_cmpx_ne_u32_e32 0, v4
	s_cbranch_execz .LBB4_5367
; %bb.5362:                             ;   in Loop: Header=BB4_4792 Depth=3
	v_bfe_u32 v16, v4, 23, 8
	v_and_b32_e32 v5, 0x7fffff, v4
	v_cmp_gt_u32_e64 s16, 0x71, v16
	v_sub_nc_u32_e32 v17, 0x70, v16
	v_cmp_eq_u32_e32 vcc_lo, 0, v16
	v_or_b32_e32 v18, 0x800000, v5
	v_cndmask_b32_e64 v17, 0, v17, s16
	v_cndmask_b32_e32 v5, v18, v5, vcc_lo
	v_cndmask_b32_e64 v17, v17, 0x6f, vcc_lo
	v_lshl_add_u32 v18, 0x200000, v17, -1
	v_lshlrev_b32_e64 v19, v17, 0x100000
	v_and_b32_e32 v18, v18, v5
	v_cmp_eq_u32_e64 s16, v18, v19
	v_lshrrev_b32_e32 v18, v17, v5
	v_add_nc_u32_e32 v5, 0xffffff91, v16
	v_lshrrev_b32_e32 v16, 23, v18
	v_cndmask_b32_e64 v5, v5, 0xffffff92, vcc_lo
	v_xor_b32_e32 v16, 1, v16
	v_add_nc_u32_e32 v5, v17, v5
	v_bfe_u32 v17, v18, 21, 1
	v_add_nc_u32_e32 v17, -1, v17
	v_cndmask_b32_e64 v17, 0, v17, s16
	s_mov_b32 s16, exec_lo
	v_add_nc_u32_e32 v17, v17, v18
	v_and_b32_e32 v17, 0x1fffff, v17
	v_add_nc_u32_e32 v17, v17, v18
                                        ; implicit-def: $vgpr18
	v_cmpx_ne_u32_e64 v5, v16
	s_xor_b32 s16, exec_lo, s16
; %bb.5363:                             ;   in Loop: Header=BB4_4792 Depth=3
	v_cmp_lt_u32_e32 vcc_lo, 0xffffff, v17
	v_sub_nc_u32_e32 v5, v5, v16
	v_cndmask_b32_e64 v16, 0, 1, vcc_lo
	v_add_co_ci_u32_e64 v18, null, 0, v5, vcc_lo
	v_lshrrev_b32_e32 v17, v16, v17
; %bb.5364:                             ;   in Loop: Header=BB4_4792 Depth=3
	s_andn2_saveexec_b32 s16, s16
; %bb.5365:                             ;   in Loop: Header=BB4_4792 Depth=3
	v_bfe_u32 v18, v17, 23, 1
; %bb.5366:                             ;   in Loop: Header=BB4_4792 Depth=3
	s_or_b32 exec_lo, exec_lo, s16
	v_lshrrev_b32_e32 v5, 21, v17
	v_min_i32_e32 v16, 31, v18
	v_cmp_gt_i32_e32 vcc_lo, 32, v18
	v_and_b32_sdwa v4, v4, v101 dst_sel:DWORD dst_unused:UNUSED_PAD src0_sel:BYTE_3 src1_sel:DWORD
	v_lshlrev_b32_e32 v16, 2, v16
	v_cndmask_b32_e32 v5, 3, v5, vcc_lo
	v_and_b32_e32 v16, 0xfc, v16
	v_or_b32_e32 v17, v18, v5
	v_and_b32_e32 v5, 3, v5
	v_cmp_ne_u32_e32 vcc_lo, 0, v17
	v_or3_b32 v4, v4, v16, v5
	v_lshlrev_b32_e32 v4, 8, v4
	v_cndmask_b32_e32 v104, 0, v4, vcc_lo
.LBB4_5367:                             ;   in Loop: Header=BB4_4792 Depth=3
	s_or_b32 exec_lo, exec_lo, s72
.LBB4_5368:                             ;   in Loop: Header=BB4_4792 Depth=3
	s_or_b32 exec_lo, exec_lo, s23
	v_or_b32_e32 v5, v126, v107
	s_mov_b32 s23, 0
	v_cmp_gt_i16_sdwa s16, v5, v100 src0_sel:BYTE_0 src1_sel:DWORD
	s_and_saveexec_b32 s72, s16
	s_xor_b32 s16, exec_lo, s72
	s_cbranch_execz .LBB4_5974
; %bb.5369:                             ;   in Loop: Header=BB4_4792 Depth=3
	v_cmp_eq_u16_sdwa s73, v5, v101 src0_sel:BYTE_0 src1_sel:DWORD
	s_mov_b32 s23, -1
	s_and_saveexec_b32 s72, s73
; %bb.5370:                             ;   in Loop: Header=BB4_4792 Depth=3
	s_xor_b32 s23, exec_lo, -1
; %bb.5371:                             ;   in Loop: Header=BB4_4792 Depth=3
	s_or_b32 exec_lo, exec_lo, s72
	s_and_b32 s23, s23, exec_lo
	s_or_saveexec_b32 s16, s16
	v_mov_b32_e32 v4, 0x7f800001
	s_xor_b32 exec_lo, exec_lo, s16
	s_cbranch_execnz .LBB4_5975
.LBB4_5372:                             ;   in Loop: Header=BB4_4792 Depth=3
	s_or_b32 exec_lo, exec_lo, s16
	v_lshl_or_b32 v1, v5, 16, v1
	s_and_saveexec_b32 s16, s23
	s_cbranch_execz .LBB4_5374
.LBB4_5373:                             ;   in Loop: Header=BB4_4792 Depth=3
	v_bfe_u32 v4, v1, 16, 2
	v_bfe_u32 v5, v1, 18, 5
	v_ffbh_u32_e32 v16, v4
	v_cmp_eq_u32_e32 vcc_lo, 0, v5
	v_min_u32_e32 v16, 32, v16
	v_subrev_nc_u32_e32 v17, 29, v16
	v_sub_nc_u32_e32 v16, 30, v16
	v_lshlrev_b32_sdwa v17, v17, v1 dst_sel:DWORD dst_unused:UNUSED_PAD src0_sel:DWORD src1_sel:WORD_1
	v_cndmask_b32_e32 v5, v5, v16, vcc_lo
	v_lshlrev_b32_e32 v16, 8, v1
	v_and_b32_e32 v17, 3, v17
	v_lshl_add_u32 v5, v5, 23, 0x37800000
	v_and_b32_e32 v16, 0x80000000, v16
	v_cndmask_b32_e32 v4, v4, v17, vcc_lo
	v_lshlrev_b32_e32 v4, 21, v4
	v_or3_b32 v4, v16, v5, v4
.LBB4_5374:                             ;   in Loop: Header=BB4_4792 Depth=3
	s_or_b32 exec_lo, exec_lo, s16
	v_and_b32_sdwa v16, v13, v112 dst_sel:DWORD dst_unused:UNUSED_PAD src0_sel:WORD_1 src1_sel:DWORD
	s_mov_b32 s23, 0
	s_mov_b32 s16, exec_lo
	v_cmpx_lt_i16_e32 0x7f, v16
	s_xor_b32 s16, exec_lo, s16
	s_cbranch_execz .LBB4_5976
; %bb.5375:                             ;   in Loop: Header=BB4_4792 Depth=3
	s_mov_b32 s23, -1
	s_mov_b32 s72, exec_lo
	v_cmpx_eq_u16_e32 0x80, v16
; %bb.5376:                             ;   in Loop: Header=BB4_4792 Depth=3
	s_xor_b32 s23, exec_lo, -1
; %bb.5377:                             ;   in Loop: Header=BB4_4792 Depth=3
	s_or_b32 exec_lo, exec_lo, s72
	s_and_b32 s23, s23, exec_lo
                                        ; implicit-def: $vgpr16
	s_or_saveexec_b32 s16, s16
	v_mov_b32_e32 v5, 0x7f800001
	s_xor_b32 exec_lo, exec_lo, s16
	s_cbranch_execnz .LBB4_5977
.LBB4_5378:                             ;   in Loop: Header=BB4_4792 Depth=3
	s_or_b32 exec_lo, exec_lo, s16
	s_and_saveexec_b32 s16, s23
	s_cbranch_execz .LBB4_5380
.LBB4_5379:                             ;   in Loop: Header=BB4_4792 Depth=3
	v_bfe_u32 v5, v13, 16, 2
	v_bfe_u32 v16, v13, 18, 5
	v_ffbh_u32_e32 v17, v5
	v_cmp_eq_u32_e32 vcc_lo, 0, v16
	v_min_u32_e32 v17, 32, v17
	v_subrev_nc_u32_e32 v18, 29, v17
	v_sub_nc_u32_e32 v17, 30, v17
	v_lshlrev_b32_sdwa v18, v18, v13 dst_sel:DWORD dst_unused:UNUSED_PAD src0_sel:DWORD src1_sel:WORD_1
	v_cndmask_b32_e32 v16, v16, v17, vcc_lo
	v_lshlrev_b32_e32 v17, 8, v13
	v_and_b32_e32 v18, 3, v18
	v_lshl_add_u32 v16, v16, 23, 0x37800000
	v_and_b32_e32 v17, 0x80000000, v17
	v_cndmask_b32_e32 v5, v5, v18, vcc_lo
	v_lshlrev_b32_e32 v5, 21, v5
	v_or3_b32 v5, v17, v16, v5
.LBB4_5380:                             ;   in Loop: Header=BB4_4792 Depth=3
	s_or_b32 exec_lo, exec_lo, s16
	v_add_f32_e32 v4, v4, v5
	v_mov_b32_e32 v107, 0x80
	s_mov_b32 s23, exec_lo
	v_and_b32_e32 v5, 0x7f800000, v4
	v_cmpx_ne_u32_e32 0x7f800000, v5
	s_cbranch_execz .LBB4_5388
; %bb.5381:                             ;   in Loop: Header=BB4_4792 Depth=3
	v_mov_b32_e32 v107, 0
	s_mov_b32 s72, exec_lo
	v_cmpx_ne_u32_e32 0, v4
	s_cbranch_execz .LBB4_5387
; %bb.5382:                             ;   in Loop: Header=BB4_4792 Depth=3
	v_bfe_u32 v16, v4, 23, 8
	v_and_b32_e32 v5, 0x7fffff, v4
	v_cmp_gt_u32_e64 s16, 0x71, v16
	v_sub_nc_u32_e32 v17, 0x70, v16
	v_cmp_eq_u32_e32 vcc_lo, 0, v16
	v_or_b32_e32 v18, 0x800000, v5
	v_cndmask_b32_e64 v17, 0, v17, s16
	v_cndmask_b32_e32 v5, v18, v5, vcc_lo
	v_cndmask_b32_e64 v17, v17, 0x6f, vcc_lo
	v_lshl_add_u32 v18, 0x200000, v17, -1
	v_lshlrev_b32_e64 v19, v17, 0x100000
	v_and_b32_e32 v18, v18, v5
	v_cmp_eq_u32_e64 s16, v18, v19
	v_lshrrev_b32_e32 v18, v17, v5
	v_add_nc_u32_e32 v5, 0xffffff91, v16
	v_lshrrev_b32_e32 v16, 23, v18
	v_cndmask_b32_e64 v5, v5, 0xffffff92, vcc_lo
	v_xor_b32_e32 v16, 1, v16
	v_add_nc_u32_e32 v5, v17, v5
	v_bfe_u32 v17, v18, 21, 1
	v_add_nc_u32_e32 v17, -1, v17
	v_cndmask_b32_e64 v17, 0, v17, s16
	s_mov_b32 s16, exec_lo
	v_add_nc_u32_e32 v17, v17, v18
	v_and_b32_e32 v17, 0x1fffff, v17
	v_add_nc_u32_e32 v17, v17, v18
                                        ; implicit-def: $vgpr18
	v_cmpx_ne_u32_e64 v5, v16
	s_xor_b32 s16, exec_lo, s16
; %bb.5383:                             ;   in Loop: Header=BB4_4792 Depth=3
	v_cmp_lt_u32_e32 vcc_lo, 0xffffff, v17
	v_sub_nc_u32_e32 v5, v5, v16
	v_cndmask_b32_e64 v16, 0, 1, vcc_lo
	v_add_co_ci_u32_e64 v18, null, 0, v5, vcc_lo
	v_lshrrev_b32_e32 v17, v16, v17
; %bb.5384:                             ;   in Loop: Header=BB4_4792 Depth=3
	s_andn2_saveexec_b32 s16, s16
; %bb.5385:                             ;   in Loop: Header=BB4_4792 Depth=3
	v_bfe_u32 v18, v17, 23, 1
; %bb.5386:                             ;   in Loop: Header=BB4_4792 Depth=3
	s_or_b32 exec_lo, exec_lo, s16
	v_lshrrev_b32_e32 v5, 21, v17
	v_min_i32_e32 v16, 31, v18
	v_cmp_gt_i32_e32 vcc_lo, 32, v18
	v_and_b32_sdwa v4, v4, v101 dst_sel:DWORD dst_unused:UNUSED_PAD src0_sel:BYTE_3 src1_sel:DWORD
	v_lshlrev_b32_e32 v16, 2, v16
	v_cndmask_b32_e32 v5, 3, v5, vcc_lo
	v_and_b32_e32 v16, 0xfc, v16
	v_or_b32_e32 v17, v18, v5
	v_and_b32_e32 v5, 3, v5
	v_cmp_ne_u32_e32 vcc_lo, 0, v17
	v_or3_b32 v4, v16, v4, v5
	v_cndmask_b32_e32 v107, 0, v4, vcc_lo
.LBB4_5387:                             ;   in Loop: Header=BB4_4792 Depth=3
	s_or_b32 exec_lo, exec_lo, s72
.LBB4_5388:                             ;   in Loop: Header=BB4_4792 Depth=3
	s_or_b32 exec_lo, exec_lo, s23
	v_cmp_gt_i16_sdwa s16, v1, v100 src0_sel:BYTE_3 src1_sel:DWORD
	s_mov_b32 s23, 0
	s_and_saveexec_b32 s72, s16
	s_xor_b32 s16, exec_lo, s72
	s_cbranch_execz .LBB4_5978
; %bb.5389:                             ;   in Loop: Header=BB4_4792 Depth=3
	v_cmp_eq_u16_sdwa s73, v1, v101 src0_sel:BYTE_3 src1_sel:DWORD
	s_mov_b32 s23, -1
	s_and_saveexec_b32 s72, s73
; %bb.5390:                             ;   in Loop: Header=BB4_4792 Depth=3
	s_xor_b32 s23, exec_lo, -1
; %bb.5391:                             ;   in Loop: Header=BB4_4792 Depth=3
	s_or_b32 exec_lo, exec_lo, s72
	s_and_b32 s23, s23, exec_lo
	s_or_saveexec_b32 s16, s16
	v_mov_b32_e32 v4, 0x7f800001
	s_xor_b32 exec_lo, exec_lo, s16
	s_cbranch_execnz .LBB4_5979
.LBB4_5392:                             ;   in Loop: Header=BB4_4792 Depth=3
	s_or_b32 exec_lo, exec_lo, s16
	s_and_saveexec_b32 s16, s23
	s_cbranch_execz .LBB4_5394
.LBB4_5393:                             ;   in Loop: Header=BB4_4792 Depth=3
	v_bfe_u32 v4, v1, 24, 2
	v_bfe_u32 v17, v1, 26, 5
	v_ffbh_u32_e32 v5, v4
	v_cmp_eq_u32_e32 vcc_lo, 0, v17
	v_min_u32_e32 v5, 32, v5
	v_subrev_nc_u32_e32 v16, 29, v5
	v_sub_nc_u32_e32 v5, 30, v5
	v_lshlrev_b32_sdwa v16, v16, v1 dst_sel:DWORD dst_unused:UNUSED_PAD src0_sel:DWORD src1_sel:BYTE_3
	v_cndmask_b32_e32 v5, v17, v5, vcc_lo
	v_and_b32_e32 v1, 0x80000000, v1
	v_and_b32_e32 v16, 3, v16
	v_lshl_add_u32 v5, v5, 23, 0x37800000
	v_cndmask_b32_e32 v4, v4, v16, vcc_lo
	v_lshlrev_b32_e32 v4, 21, v4
	v_or3_b32 v4, v1, v5, v4
.LBB4_5394:                             ;   in Loop: Header=BB4_4792 Depth=3
	s_or_b32 exec_lo, exec_lo, s16
	v_cmp_gt_i16_sdwa s16, v13, v100 src0_sel:BYTE_3 src1_sel:DWORD
	s_mov_b32 s23, 0
	s_and_saveexec_b32 s72, s16
	s_xor_b32 s16, exec_lo, s72
	s_cbranch_execz .LBB4_5980
; %bb.5395:                             ;   in Loop: Header=BB4_4792 Depth=3
	v_cmp_eq_u16_sdwa s73, v13, v101 src0_sel:BYTE_3 src1_sel:DWORD
	s_mov_b32 s23, -1
	s_and_saveexec_b32 s72, s73
; %bb.5396:                             ;   in Loop: Header=BB4_4792 Depth=3
	s_xor_b32 s23, exec_lo, -1
; %bb.5397:                             ;   in Loop: Header=BB4_4792 Depth=3
	s_or_b32 exec_lo, exec_lo, s72
	s_and_b32 s23, s23, exec_lo
	s_or_saveexec_b32 s16, s16
	v_mov_b32_e32 v1, 0x7f800001
	s_xor_b32 exec_lo, exec_lo, s16
	s_cbranch_execnz .LBB4_5981
.LBB4_5398:                             ;   in Loop: Header=BB4_4792 Depth=3
	s_or_b32 exec_lo, exec_lo, s16
	s_and_saveexec_b32 s16, s23
	s_cbranch_execz .LBB4_5400
.LBB4_5399:                             ;   in Loop: Header=BB4_4792 Depth=3
	v_bfe_u32 v1, v13, 24, 2
	v_bfe_u32 v17, v13, 26, 5
	v_ffbh_u32_e32 v5, v1
	v_cmp_eq_u32_e32 vcc_lo, 0, v17
	v_min_u32_e32 v5, 32, v5
	v_subrev_nc_u32_e32 v16, 29, v5
	v_sub_nc_u32_e32 v5, 30, v5
	v_lshlrev_b32_sdwa v16, v16, v13 dst_sel:DWORD dst_unused:UNUSED_PAD src0_sel:DWORD src1_sel:BYTE_3
	v_cndmask_b32_e32 v5, v17, v5, vcc_lo
	v_and_b32_e32 v13, 0x80000000, v13
	v_and_b32_e32 v16, 3, v16
	v_lshl_add_u32 v5, v5, 23, 0x37800000
	v_cndmask_b32_e32 v1, v1, v16, vcc_lo
	v_lshlrev_b32_e32 v1, 21, v1
	v_or3_b32 v1, v13, v5, v1
.LBB4_5400:                             ;   in Loop: Header=BB4_4792 Depth=3
	s_or_b32 exec_lo, exec_lo, s16
	v_add_f32_e32 v1, v4, v1
	v_mov_b32_e32 v13, 0x8000
	s_mov_b32 s23, exec_lo
	v_and_b32_e32 v4, 0x7f800000, v1
	v_cmpx_ne_u32_e32 0x7f800000, v4
	s_cbranch_execz .LBB4_5408
; %bb.5401:                             ;   in Loop: Header=BB4_4792 Depth=3
	v_mov_b32_e32 v13, 0
	s_mov_b32 s72, exec_lo
	v_cmpx_ne_u32_e32 0, v1
	s_cbranch_execz .LBB4_5407
; %bb.5402:                             ;   in Loop: Header=BB4_4792 Depth=3
	v_bfe_u32 v5, v1, 23, 8
	v_and_b32_e32 v4, 0x7fffff, v1
	v_cmp_gt_u32_e64 s16, 0x71, v5
	v_sub_nc_u32_e32 v13, 0x70, v5
	v_cmp_eq_u32_e32 vcc_lo, 0, v5
	v_or_b32_e32 v16, 0x800000, v4
	v_cndmask_b32_e64 v13, 0, v13, s16
	v_cndmask_b32_e32 v4, v16, v4, vcc_lo
	v_cndmask_b32_e64 v13, v13, 0x6f, vcc_lo
	v_lshl_add_u32 v16, 0x200000, v13, -1
	v_lshlrev_b32_e64 v17, v13, 0x100000
	v_and_b32_e32 v16, v16, v4
	v_cmp_eq_u32_e64 s16, v16, v17
	v_lshrrev_b32_e32 v16, v13, v4
	v_add_nc_u32_e32 v4, 0xffffff91, v5
	v_lshrrev_b32_e32 v5, 23, v16
	v_cndmask_b32_e64 v4, v4, 0xffffff92, vcc_lo
	v_xor_b32_e32 v5, 1, v5
	v_add_nc_u32_e32 v4, v13, v4
	v_bfe_u32 v13, v16, 21, 1
	v_add_nc_u32_e32 v13, -1, v13
	v_cndmask_b32_e64 v13, 0, v13, s16
	s_mov_b32 s16, exec_lo
	v_add_nc_u32_e32 v13, v13, v16
	v_and_b32_e32 v13, 0x1fffff, v13
	v_add_nc_u32_e32 v13, v13, v16
                                        ; implicit-def: $vgpr16
	v_cmpx_ne_u32_e64 v4, v5
	s_xor_b32 s16, exec_lo, s16
; %bb.5403:                             ;   in Loop: Header=BB4_4792 Depth=3
	v_cmp_lt_u32_e32 vcc_lo, 0xffffff, v13
	v_sub_nc_u32_e32 v4, v4, v5
	v_cndmask_b32_e64 v5, 0, 1, vcc_lo
	v_add_co_ci_u32_e64 v16, null, 0, v4, vcc_lo
	v_lshrrev_b32_e32 v13, v5, v13
; %bb.5404:                             ;   in Loop: Header=BB4_4792 Depth=3
	s_andn2_saveexec_b32 s16, s16
; %bb.5405:                             ;   in Loop: Header=BB4_4792 Depth=3
	v_bfe_u32 v16, v13, 23, 1
; %bb.5406:                             ;   in Loop: Header=BB4_4792 Depth=3
	s_or_b32 exec_lo, exec_lo, s16
	v_lshrrev_b32_e32 v4, 21, v13
	v_min_i32_e32 v5, 31, v16
	v_cmp_gt_i32_e32 vcc_lo, 32, v16
	v_and_b32_sdwa v1, v1, v101 dst_sel:DWORD dst_unused:UNUSED_PAD src0_sel:BYTE_3 src1_sel:DWORD
	v_lshlrev_b32_e32 v5, 2, v5
	v_cndmask_b32_e32 v4, 3, v4, vcc_lo
	v_and_b32_e32 v5, 0xfc, v5
	v_or_b32_e32 v13, v16, v4
	v_and_b32_e32 v4, 3, v4
	v_cmp_ne_u32_e32 vcc_lo, 0, v13
	v_or3_b32 v1, v1, v5, v4
	v_lshlrev_b32_e32 v1, 8, v1
	v_cndmask_b32_e32 v13, 0, v1, vcc_lo
.LBB4_5407:                             ;   in Loop: Header=BB4_4792 Depth=3
	s_or_b32 exec_lo, exec_lo, s72
.LBB4_5408:                             ;   in Loop: Header=BB4_4792 Depth=3
	s_or_b32 exec_lo, exec_lo, s23
	v_or_b32_e32 v1, v123, v121
	s_mov_b32 s23, 0
	v_cmp_gt_i16_sdwa s16, v1, v100 src0_sel:BYTE_0 src1_sel:DWORD
	s_and_saveexec_b32 s72, s16
	s_xor_b32 s16, exec_lo, s72
	s_cbranch_execz .LBB4_5982
; %bb.5409:                             ;   in Loop: Header=BB4_4792 Depth=3
	v_cmp_eq_u16_sdwa s73, v1, v101 src0_sel:BYTE_0 src1_sel:DWORD
	s_mov_b32 s23, -1
	s_and_saveexec_b32 s72, s73
; %bb.5410:                             ;   in Loop: Header=BB4_4792 Depth=3
	s_xor_b32 s23, exec_lo, -1
; %bb.5411:                             ;   in Loop: Header=BB4_4792 Depth=3
	s_or_b32 exec_lo, exec_lo, s72
	s_and_b32 s23, s23, exec_lo
	s_or_saveexec_b32 s16, s16
	v_mov_b32_e32 v4, 0x7f800001
	s_xor_b32 exec_lo, exec_lo, s16
	s_cbranch_execnz .LBB4_5983
.LBB4_5412:                             ;   in Loop: Header=BB4_4792 Depth=3
	s_or_b32 exec_lo, exec_lo, s16
	s_and_saveexec_b32 s16, s23
	s_cbranch_execz .LBB4_5414
.LBB4_5413:                             ;   in Loop: Header=BB4_4792 Depth=3
	v_and_b32_e32 v4, 3, v1
	v_bfe_u32 v5, v1, 2, 5
	v_ffbh_u32_e32 v16, v4
	v_cmp_eq_u32_e32 vcc_lo, 0, v5
	v_min_u32_e32 v16, 32, v16
	v_subrev_nc_u32_e32 v17, 29, v16
	v_sub_nc_u32_e32 v16, 30, v16
	v_lshlrev_b32_e32 v17, v17, v1
	v_cndmask_b32_e32 v5, v5, v16, vcc_lo
	v_lshlrev_b32_e32 v16, 24, v1
	v_and_b32_e32 v17, 3, v17
	v_lshl_add_u32 v5, v5, 23, 0x37800000
	v_and_b32_e32 v16, 0x80000000, v16
	v_cndmask_b32_e32 v4, v4, v17, vcc_lo
	v_lshlrev_b32_e32 v4, 21, v4
	v_or3_b32 v4, v16, v5, v4
.LBB4_5414:                             ;   in Loop: Header=BB4_4792 Depth=3
	s_or_b32 exec_lo, exec_lo, s16
	v_cmp_gt_i16_sdwa s16, v14, v100 src0_sel:BYTE_0 src1_sel:DWORD
	s_mov_b32 s23, 0
	s_and_saveexec_b32 s72, s16
	s_xor_b32 s16, exec_lo, s72
	s_cbranch_execz .LBB4_5984
; %bb.5415:                             ;   in Loop: Header=BB4_4792 Depth=3
	v_cmp_eq_u16_sdwa s73, v14, v101 src0_sel:BYTE_0 src1_sel:DWORD
	s_mov_b32 s23, -1
	s_and_saveexec_b32 s72, s73
; %bb.5416:                             ;   in Loop: Header=BB4_4792 Depth=3
	s_xor_b32 s23, exec_lo, -1
; %bb.5417:                             ;   in Loop: Header=BB4_4792 Depth=3
	s_or_b32 exec_lo, exec_lo, s72
	s_and_b32 s23, s23, exec_lo
	s_or_saveexec_b32 s16, s16
	v_mov_b32_e32 v5, 0x7f800001
	s_xor_b32 exec_lo, exec_lo, s16
	s_cbranch_execnz .LBB4_5985
.LBB4_5418:                             ;   in Loop: Header=BB4_4792 Depth=3
	s_or_b32 exec_lo, exec_lo, s16
	s_and_saveexec_b32 s16, s23
	s_cbranch_execz .LBB4_5420
.LBB4_5419:                             ;   in Loop: Header=BB4_4792 Depth=3
	v_and_b32_e32 v5, 3, v14
	v_bfe_u32 v16, v14, 2, 5
	v_ffbh_u32_e32 v17, v5
	v_cmp_eq_u32_e32 vcc_lo, 0, v16
	v_min_u32_e32 v17, 32, v17
	v_subrev_nc_u32_e32 v18, 29, v17
	v_sub_nc_u32_e32 v17, 30, v17
	v_lshlrev_b32_e32 v18, v18, v14
	v_cndmask_b32_e32 v16, v16, v17, vcc_lo
	v_lshlrev_b32_e32 v17, 24, v14
	v_and_b32_e32 v18, 3, v18
	v_lshl_add_u32 v16, v16, 23, 0x37800000
	v_and_b32_e32 v17, 0x80000000, v17
	v_cndmask_b32_e32 v5, v5, v18, vcc_lo
	v_lshlrev_b32_e32 v5, 21, v5
	v_or3_b32 v5, v17, v16, v5
.LBB4_5420:                             ;   in Loop: Header=BB4_4792 Depth=3
	s_or_b32 exec_lo, exec_lo, s16
	v_add_f32_e32 v4, v4, v5
	v_mov_b32_e32 v121, 0x80
	s_mov_b32 s23, exec_lo
	v_and_b32_e32 v5, 0x7f800000, v4
	v_cmpx_ne_u32_e32 0x7f800000, v5
	s_cbranch_execz .LBB4_5428
; %bb.5421:                             ;   in Loop: Header=BB4_4792 Depth=3
	v_mov_b32_e32 v121, 0
	s_mov_b32 s72, exec_lo
	v_cmpx_ne_u32_e32 0, v4
	s_cbranch_execz .LBB4_5427
; %bb.5422:                             ;   in Loop: Header=BB4_4792 Depth=3
	v_bfe_u32 v16, v4, 23, 8
	v_and_b32_e32 v5, 0x7fffff, v4
	v_cmp_gt_u32_e64 s16, 0x71, v16
	v_sub_nc_u32_e32 v17, 0x70, v16
	v_cmp_eq_u32_e32 vcc_lo, 0, v16
	v_or_b32_e32 v18, 0x800000, v5
	v_cndmask_b32_e64 v17, 0, v17, s16
	v_cndmask_b32_e32 v5, v18, v5, vcc_lo
	v_cndmask_b32_e64 v17, v17, 0x6f, vcc_lo
	v_lshl_add_u32 v18, 0x200000, v17, -1
	v_lshlrev_b32_e64 v19, v17, 0x100000
	v_and_b32_e32 v18, v18, v5
	v_cmp_eq_u32_e64 s16, v18, v19
	v_lshrrev_b32_e32 v18, v17, v5
	v_add_nc_u32_e32 v5, 0xffffff91, v16
	v_lshrrev_b32_e32 v16, 23, v18
	v_cndmask_b32_e64 v5, v5, 0xffffff92, vcc_lo
	v_xor_b32_e32 v16, 1, v16
	v_add_nc_u32_e32 v5, v17, v5
	v_bfe_u32 v17, v18, 21, 1
	v_add_nc_u32_e32 v17, -1, v17
	v_cndmask_b32_e64 v17, 0, v17, s16
	s_mov_b32 s16, exec_lo
	v_add_nc_u32_e32 v17, v17, v18
	v_and_b32_e32 v17, 0x1fffff, v17
	v_add_nc_u32_e32 v17, v17, v18
                                        ; implicit-def: $vgpr18
	v_cmpx_ne_u32_e64 v5, v16
	s_xor_b32 s16, exec_lo, s16
; %bb.5423:                             ;   in Loop: Header=BB4_4792 Depth=3
	v_cmp_lt_u32_e32 vcc_lo, 0xffffff, v17
	v_sub_nc_u32_e32 v5, v5, v16
	v_cndmask_b32_e64 v16, 0, 1, vcc_lo
	v_add_co_ci_u32_e64 v18, null, 0, v5, vcc_lo
	v_lshrrev_b32_e32 v17, v16, v17
; %bb.5424:                             ;   in Loop: Header=BB4_4792 Depth=3
	s_andn2_saveexec_b32 s16, s16
; %bb.5425:                             ;   in Loop: Header=BB4_4792 Depth=3
	v_bfe_u32 v18, v17, 23, 1
; %bb.5426:                             ;   in Loop: Header=BB4_4792 Depth=3
	s_or_b32 exec_lo, exec_lo, s16
	v_lshrrev_b32_e32 v5, 21, v17
	v_min_i32_e32 v16, 31, v18
	v_cmp_gt_i32_e32 vcc_lo, 32, v18
	v_and_b32_sdwa v4, v4, v101 dst_sel:DWORD dst_unused:UNUSED_PAD src0_sel:BYTE_3 src1_sel:DWORD
	v_lshlrev_b32_e32 v16, 2, v16
	v_cndmask_b32_e32 v5, 3, v5, vcc_lo
	v_and_b32_e32 v16, 0xfc, v16
	v_or_b32_e32 v17, v18, v5
	v_and_b32_e32 v5, 3, v5
	v_cmp_ne_u32_e32 vcc_lo, 0, v17
	v_or3_b32 v4, v16, v4, v5
	v_cndmask_b32_e32 v121, 0, v4, vcc_lo
.LBB4_5427:                             ;   in Loop: Header=BB4_4792 Depth=3
	s_or_b32 exec_lo, exec_lo, s72
.LBB4_5428:                             ;   in Loop: Header=BB4_4792 Depth=3
	s_or_b32 exec_lo, exec_lo, s23
	v_cmp_gt_i16_sdwa s16, v1, v100 src0_sel:BYTE_1 src1_sel:DWORD
	s_mov_b32 s23, 0
	s_and_saveexec_b32 s72, s16
	s_xor_b32 s16, exec_lo, s72
	s_cbranch_execz .LBB4_5986
; %bb.5429:                             ;   in Loop: Header=BB4_4792 Depth=3
	v_cmp_eq_u16_sdwa s73, v1, v101 src0_sel:BYTE_1 src1_sel:DWORD
	s_mov_b32 s23, -1
	s_and_saveexec_b32 s72, s73
; %bb.5430:                             ;   in Loop: Header=BB4_4792 Depth=3
	s_xor_b32 s23, exec_lo, -1
; %bb.5431:                             ;   in Loop: Header=BB4_4792 Depth=3
	s_or_b32 exec_lo, exec_lo, s72
	s_and_b32 s23, s23, exec_lo
	s_or_saveexec_b32 s16, s16
	v_mov_b32_e32 v4, 0x7f800001
	s_xor_b32 exec_lo, exec_lo, s16
	s_cbranch_execnz .LBB4_5987
.LBB4_5432:                             ;   in Loop: Header=BB4_4792 Depth=3
	s_or_b32 exec_lo, exec_lo, s16
	s_and_saveexec_b32 s16, s23
	s_cbranch_execz .LBB4_5434
.LBB4_5433:                             ;   in Loop: Header=BB4_4792 Depth=3
	v_and_b32_sdwa v4, v102, v1 dst_sel:DWORD dst_unused:UNUSED_PAD src0_sel:DWORD src1_sel:BYTE_1
	v_and_b32_e32 v5, 3, v4
	v_bfe_u32 v18, v4, 2, 5
	v_ffbh_u32_e32 v16, v5
	v_cmp_eq_u32_e32 vcc_lo, 0, v18
	v_min_u32_e32 v16, 32, v16
	v_subrev_nc_u32_e32 v17, 29, v16
	v_sub_nc_u32_e32 v16, 30, v16
	v_lshlrev_b32_e32 v4, v17, v4
	v_lshlrev_b32_sdwa v17, v103, v1 dst_sel:DWORD dst_unused:UNUSED_PAD src0_sel:DWORD src1_sel:BYTE_1
	v_cndmask_b32_e32 v16, v18, v16, vcc_lo
	v_and_b32_e32 v4, 3, v4
	v_lshl_add_u32 v16, v16, 23, 0x37800000
	v_cndmask_b32_e32 v4, v5, v4, vcc_lo
	v_and_b32_e32 v5, 0x80000000, v17
	v_lshlrev_b32_e32 v4, 21, v4
	v_or3_b32 v4, v5, v16, v4
.LBB4_5434:                             ;   in Loop: Header=BB4_4792 Depth=3
	s_or_b32 exec_lo, exec_lo, s16
	v_cmp_gt_i16_sdwa s16, v14, v100 src0_sel:BYTE_1 src1_sel:DWORD
	s_mov_b32 s23, 0
	s_and_saveexec_b32 s72, s16
	s_xor_b32 s16, exec_lo, s72
	s_cbranch_execz .LBB4_5988
; %bb.5435:                             ;   in Loop: Header=BB4_4792 Depth=3
	v_cmp_eq_u16_sdwa s73, v14, v101 src0_sel:BYTE_1 src1_sel:DWORD
	s_mov_b32 s23, -1
	s_and_saveexec_b32 s72, s73
; %bb.5436:                             ;   in Loop: Header=BB4_4792 Depth=3
	s_xor_b32 s23, exec_lo, -1
; %bb.5437:                             ;   in Loop: Header=BB4_4792 Depth=3
	s_or_b32 exec_lo, exec_lo, s72
	s_and_b32 s23, s23, exec_lo
	s_or_saveexec_b32 s16, s16
	v_mov_b32_e32 v5, 0x7f800001
	s_xor_b32 exec_lo, exec_lo, s16
	s_cbranch_execnz .LBB4_5989
.LBB4_5438:                             ;   in Loop: Header=BB4_4792 Depth=3
	s_or_b32 exec_lo, exec_lo, s16
	s_and_saveexec_b32 s16, s23
	s_cbranch_execz .LBB4_5440
.LBB4_5439:                             ;   in Loop: Header=BB4_4792 Depth=3
	v_and_b32_sdwa v5, v102, v14 dst_sel:DWORD dst_unused:UNUSED_PAD src0_sel:DWORD src1_sel:BYTE_1
	v_and_b32_e32 v16, 3, v5
	v_bfe_u32 v19, v5, 2, 5
	v_ffbh_u32_e32 v17, v16
	v_cmp_eq_u32_e32 vcc_lo, 0, v19
	v_min_u32_e32 v17, 32, v17
	v_subrev_nc_u32_e32 v18, 29, v17
	v_sub_nc_u32_e32 v17, 30, v17
	v_lshlrev_b32_e32 v5, v18, v5
	v_lshlrev_b32_sdwa v18, v103, v14 dst_sel:DWORD dst_unused:UNUSED_PAD src0_sel:DWORD src1_sel:BYTE_1
	v_cndmask_b32_e32 v17, v19, v17, vcc_lo
	v_and_b32_e32 v5, 3, v5
	v_lshl_add_u32 v17, v17, 23, 0x37800000
	v_cndmask_b32_e32 v5, v16, v5, vcc_lo
	v_and_b32_e32 v16, 0x80000000, v18
	v_lshlrev_b32_e32 v5, 21, v5
	v_or3_b32 v5, v16, v17, v5
.LBB4_5440:                             ;   in Loop: Header=BB4_4792 Depth=3
	s_or_b32 exec_lo, exec_lo, s16
	v_add_f32_e32 v4, v4, v5
	v_mov_b32_e32 v123, 0x8000
	s_mov_b32 s23, exec_lo
	v_and_b32_e32 v5, 0x7f800000, v4
	v_cmpx_ne_u32_e32 0x7f800000, v5
	s_cbranch_execz .LBB4_5448
; %bb.5441:                             ;   in Loop: Header=BB4_4792 Depth=3
	v_mov_b32_e32 v123, 0
	s_mov_b32 s72, exec_lo
	v_cmpx_ne_u32_e32 0, v4
	s_cbranch_execz .LBB4_5447
; %bb.5442:                             ;   in Loop: Header=BB4_4792 Depth=3
	v_bfe_u32 v16, v4, 23, 8
	v_and_b32_e32 v5, 0x7fffff, v4
	v_cmp_gt_u32_e64 s16, 0x71, v16
	v_sub_nc_u32_e32 v17, 0x70, v16
	v_cmp_eq_u32_e32 vcc_lo, 0, v16
	v_or_b32_e32 v18, 0x800000, v5
	v_cndmask_b32_e64 v17, 0, v17, s16
	v_cndmask_b32_e32 v5, v18, v5, vcc_lo
	v_cndmask_b32_e64 v17, v17, 0x6f, vcc_lo
	v_lshl_add_u32 v18, 0x200000, v17, -1
	v_lshlrev_b32_e64 v19, v17, 0x100000
	v_and_b32_e32 v18, v18, v5
	v_cmp_eq_u32_e64 s16, v18, v19
	v_lshrrev_b32_e32 v18, v17, v5
	v_add_nc_u32_e32 v5, 0xffffff91, v16
	v_lshrrev_b32_e32 v16, 23, v18
	v_cndmask_b32_e64 v5, v5, 0xffffff92, vcc_lo
	v_xor_b32_e32 v16, 1, v16
	v_add_nc_u32_e32 v5, v17, v5
	v_bfe_u32 v17, v18, 21, 1
	v_add_nc_u32_e32 v17, -1, v17
	v_cndmask_b32_e64 v17, 0, v17, s16
	s_mov_b32 s16, exec_lo
	v_add_nc_u32_e32 v17, v17, v18
	v_and_b32_e32 v17, 0x1fffff, v17
	v_add_nc_u32_e32 v17, v17, v18
                                        ; implicit-def: $vgpr18
	v_cmpx_ne_u32_e64 v5, v16
	s_xor_b32 s16, exec_lo, s16
; %bb.5443:                             ;   in Loop: Header=BB4_4792 Depth=3
	v_cmp_lt_u32_e32 vcc_lo, 0xffffff, v17
	v_sub_nc_u32_e32 v5, v5, v16
	v_cndmask_b32_e64 v16, 0, 1, vcc_lo
	v_add_co_ci_u32_e64 v18, null, 0, v5, vcc_lo
	v_lshrrev_b32_e32 v17, v16, v17
; %bb.5444:                             ;   in Loop: Header=BB4_4792 Depth=3
	s_andn2_saveexec_b32 s16, s16
; %bb.5445:                             ;   in Loop: Header=BB4_4792 Depth=3
	v_bfe_u32 v18, v17, 23, 1
; %bb.5446:                             ;   in Loop: Header=BB4_4792 Depth=3
	s_or_b32 exec_lo, exec_lo, s16
	v_lshrrev_b32_e32 v5, 21, v17
	v_min_i32_e32 v16, 31, v18
	v_cmp_gt_i32_e32 vcc_lo, 32, v18
	v_and_b32_sdwa v4, v4, v101 dst_sel:DWORD dst_unused:UNUSED_PAD src0_sel:BYTE_3 src1_sel:DWORD
	v_lshlrev_b32_e32 v16, 2, v16
	v_cndmask_b32_e32 v5, 3, v5, vcc_lo
	v_and_b32_e32 v16, 0xfc, v16
	v_or_b32_e32 v17, v18, v5
	v_and_b32_e32 v5, 3, v5
	v_cmp_ne_u32_e32 vcc_lo, 0, v17
	v_or3_b32 v4, v4, v16, v5
	v_lshlrev_b32_e32 v4, 8, v4
	v_cndmask_b32_e32 v123, 0, v4, vcc_lo
.LBB4_5447:                             ;   in Loop: Header=BB4_4792 Depth=3
	s_or_b32 exec_lo, exec_lo, s72
.LBB4_5448:                             ;   in Loop: Header=BB4_4792 Depth=3
	s_or_b32 exec_lo, exec_lo, s23
	v_or_b32_e32 v5, v125, v124
	s_mov_b32 s23, 0
	v_cmp_gt_i16_sdwa s16, v5, v100 src0_sel:BYTE_0 src1_sel:DWORD
	s_and_saveexec_b32 s72, s16
	s_xor_b32 s16, exec_lo, s72
	s_cbranch_execz .LBB4_5990
; %bb.5449:                             ;   in Loop: Header=BB4_4792 Depth=3
	v_cmp_eq_u16_sdwa s73, v5, v101 src0_sel:BYTE_0 src1_sel:DWORD
	s_mov_b32 s23, -1
	s_and_saveexec_b32 s72, s73
; %bb.5450:                             ;   in Loop: Header=BB4_4792 Depth=3
	s_xor_b32 s23, exec_lo, -1
; %bb.5451:                             ;   in Loop: Header=BB4_4792 Depth=3
	s_or_b32 exec_lo, exec_lo, s72
	s_and_b32 s23, s23, exec_lo
	s_or_saveexec_b32 s16, s16
	v_mov_b32_e32 v4, 0x7f800001
	s_xor_b32 exec_lo, exec_lo, s16
	s_cbranch_execnz .LBB4_5991
.LBB4_5452:                             ;   in Loop: Header=BB4_4792 Depth=3
	s_or_b32 exec_lo, exec_lo, s16
	v_lshl_or_b32 v1, v5, 16, v1
	s_and_saveexec_b32 s16, s23
	s_cbranch_execz .LBB4_5454
.LBB4_5453:                             ;   in Loop: Header=BB4_4792 Depth=3
	v_bfe_u32 v4, v1, 16, 2
	v_bfe_u32 v5, v1, 18, 5
	v_ffbh_u32_e32 v16, v4
	v_cmp_eq_u32_e32 vcc_lo, 0, v5
	v_min_u32_e32 v16, 32, v16
	v_subrev_nc_u32_e32 v17, 29, v16
	v_sub_nc_u32_e32 v16, 30, v16
	v_lshlrev_b32_sdwa v17, v17, v1 dst_sel:DWORD dst_unused:UNUSED_PAD src0_sel:DWORD src1_sel:WORD_1
	v_cndmask_b32_e32 v5, v5, v16, vcc_lo
	v_lshlrev_b32_e32 v16, 8, v1
	v_and_b32_e32 v17, 3, v17
	v_lshl_add_u32 v5, v5, 23, 0x37800000
	v_and_b32_e32 v16, 0x80000000, v16
	v_cndmask_b32_e32 v4, v4, v17, vcc_lo
	v_lshlrev_b32_e32 v4, 21, v4
	v_or3_b32 v4, v16, v5, v4
.LBB4_5454:                             ;   in Loop: Header=BB4_4792 Depth=3
	s_or_b32 exec_lo, exec_lo, s16
	v_and_b32_sdwa v16, v14, v112 dst_sel:DWORD dst_unused:UNUSED_PAD src0_sel:WORD_1 src1_sel:DWORD
	s_mov_b32 s23, 0
	s_mov_b32 s16, exec_lo
	v_cmpx_lt_i16_e32 0x7f, v16
	s_xor_b32 s16, exec_lo, s16
	s_cbranch_execz .LBB4_5992
; %bb.5455:                             ;   in Loop: Header=BB4_4792 Depth=3
	s_mov_b32 s23, -1
	s_mov_b32 s72, exec_lo
	v_cmpx_eq_u16_e32 0x80, v16
; %bb.5456:                             ;   in Loop: Header=BB4_4792 Depth=3
	s_xor_b32 s23, exec_lo, -1
; %bb.5457:                             ;   in Loop: Header=BB4_4792 Depth=3
	s_or_b32 exec_lo, exec_lo, s72
	s_and_b32 s23, s23, exec_lo
                                        ; implicit-def: $vgpr16
	s_or_saveexec_b32 s16, s16
	v_mov_b32_e32 v5, 0x7f800001
	s_xor_b32 exec_lo, exec_lo, s16
	s_cbranch_execnz .LBB4_5993
.LBB4_5458:                             ;   in Loop: Header=BB4_4792 Depth=3
	s_or_b32 exec_lo, exec_lo, s16
	s_and_saveexec_b32 s16, s23
	s_cbranch_execz .LBB4_5460
.LBB4_5459:                             ;   in Loop: Header=BB4_4792 Depth=3
	v_bfe_u32 v5, v14, 16, 2
	v_bfe_u32 v16, v14, 18, 5
	v_ffbh_u32_e32 v17, v5
	v_cmp_eq_u32_e32 vcc_lo, 0, v16
	v_min_u32_e32 v17, 32, v17
	v_subrev_nc_u32_e32 v18, 29, v17
	v_sub_nc_u32_e32 v17, 30, v17
	v_lshlrev_b32_sdwa v18, v18, v14 dst_sel:DWORD dst_unused:UNUSED_PAD src0_sel:DWORD src1_sel:WORD_1
	v_cndmask_b32_e32 v16, v16, v17, vcc_lo
	v_lshlrev_b32_e32 v17, 8, v14
	v_and_b32_e32 v18, 3, v18
	v_lshl_add_u32 v16, v16, 23, 0x37800000
	v_and_b32_e32 v17, 0x80000000, v17
	v_cndmask_b32_e32 v5, v5, v18, vcc_lo
	v_lshlrev_b32_e32 v5, 21, v5
	v_or3_b32 v5, v17, v16, v5
.LBB4_5460:                             ;   in Loop: Header=BB4_4792 Depth=3
	s_or_b32 exec_lo, exec_lo, s16
	v_add_f32_e32 v4, v4, v5
	v_mov_b32_e32 v124, 0x80
	s_mov_b32 s23, exec_lo
	v_and_b32_e32 v5, 0x7f800000, v4
	v_cmpx_ne_u32_e32 0x7f800000, v5
	s_cbranch_execz .LBB4_5468
; %bb.5461:                             ;   in Loop: Header=BB4_4792 Depth=3
	v_mov_b32_e32 v124, 0
	s_mov_b32 s72, exec_lo
	v_cmpx_ne_u32_e32 0, v4
	s_cbranch_execz .LBB4_5467
; %bb.5462:                             ;   in Loop: Header=BB4_4792 Depth=3
	v_bfe_u32 v16, v4, 23, 8
	v_and_b32_e32 v5, 0x7fffff, v4
	v_cmp_gt_u32_e64 s16, 0x71, v16
	v_sub_nc_u32_e32 v17, 0x70, v16
	v_cmp_eq_u32_e32 vcc_lo, 0, v16
	v_or_b32_e32 v18, 0x800000, v5
	v_cndmask_b32_e64 v17, 0, v17, s16
	v_cndmask_b32_e32 v5, v18, v5, vcc_lo
	v_cndmask_b32_e64 v17, v17, 0x6f, vcc_lo
	v_lshl_add_u32 v18, 0x200000, v17, -1
	v_lshlrev_b32_e64 v19, v17, 0x100000
	v_and_b32_e32 v18, v18, v5
	v_cmp_eq_u32_e64 s16, v18, v19
	v_lshrrev_b32_e32 v18, v17, v5
	v_add_nc_u32_e32 v5, 0xffffff91, v16
	v_lshrrev_b32_e32 v16, 23, v18
	v_cndmask_b32_e64 v5, v5, 0xffffff92, vcc_lo
	v_xor_b32_e32 v16, 1, v16
	v_add_nc_u32_e32 v5, v17, v5
	v_bfe_u32 v17, v18, 21, 1
	v_add_nc_u32_e32 v17, -1, v17
	v_cndmask_b32_e64 v17, 0, v17, s16
	s_mov_b32 s16, exec_lo
	v_add_nc_u32_e32 v17, v17, v18
	v_and_b32_e32 v17, 0x1fffff, v17
	v_add_nc_u32_e32 v17, v17, v18
                                        ; implicit-def: $vgpr18
	v_cmpx_ne_u32_e64 v5, v16
	s_xor_b32 s16, exec_lo, s16
; %bb.5463:                             ;   in Loop: Header=BB4_4792 Depth=3
	v_cmp_lt_u32_e32 vcc_lo, 0xffffff, v17
	v_sub_nc_u32_e32 v5, v5, v16
	v_cndmask_b32_e64 v16, 0, 1, vcc_lo
	v_add_co_ci_u32_e64 v18, null, 0, v5, vcc_lo
	v_lshrrev_b32_e32 v17, v16, v17
; %bb.5464:                             ;   in Loop: Header=BB4_4792 Depth=3
	s_andn2_saveexec_b32 s16, s16
; %bb.5465:                             ;   in Loop: Header=BB4_4792 Depth=3
	v_bfe_u32 v18, v17, 23, 1
; %bb.5466:                             ;   in Loop: Header=BB4_4792 Depth=3
	s_or_b32 exec_lo, exec_lo, s16
	v_lshrrev_b32_e32 v5, 21, v17
	v_min_i32_e32 v16, 31, v18
	v_cmp_gt_i32_e32 vcc_lo, 32, v18
	v_and_b32_sdwa v4, v4, v101 dst_sel:DWORD dst_unused:UNUSED_PAD src0_sel:BYTE_3 src1_sel:DWORD
	v_lshlrev_b32_e32 v16, 2, v16
	v_cndmask_b32_e32 v5, 3, v5, vcc_lo
	v_and_b32_e32 v16, 0xfc, v16
	v_or_b32_e32 v17, v18, v5
	v_and_b32_e32 v5, 3, v5
	v_cmp_ne_u32_e32 vcc_lo, 0, v17
	v_or3_b32 v4, v16, v4, v5
	v_cndmask_b32_e32 v124, 0, v4, vcc_lo
.LBB4_5467:                             ;   in Loop: Header=BB4_4792 Depth=3
	s_or_b32 exec_lo, exec_lo, s72
.LBB4_5468:                             ;   in Loop: Header=BB4_4792 Depth=3
	s_or_b32 exec_lo, exec_lo, s23
	v_cmp_gt_i16_sdwa s16, v1, v100 src0_sel:BYTE_3 src1_sel:DWORD
	s_mov_b32 s23, 0
	s_and_saveexec_b32 s72, s16
	s_xor_b32 s16, exec_lo, s72
	s_cbranch_execz .LBB4_5994
; %bb.5469:                             ;   in Loop: Header=BB4_4792 Depth=3
	v_cmp_eq_u16_sdwa s73, v1, v101 src0_sel:BYTE_3 src1_sel:DWORD
	s_mov_b32 s23, -1
	s_and_saveexec_b32 s72, s73
; %bb.5470:                             ;   in Loop: Header=BB4_4792 Depth=3
	s_xor_b32 s23, exec_lo, -1
; %bb.5471:                             ;   in Loop: Header=BB4_4792 Depth=3
	s_or_b32 exec_lo, exec_lo, s72
	s_and_b32 s23, s23, exec_lo
	s_or_saveexec_b32 s16, s16
	v_mov_b32_e32 v4, 0x7f800001
	s_xor_b32 exec_lo, exec_lo, s16
	s_cbranch_execnz .LBB4_5995
.LBB4_5472:                             ;   in Loop: Header=BB4_4792 Depth=3
	s_or_b32 exec_lo, exec_lo, s16
	s_and_saveexec_b32 s16, s23
	s_cbranch_execz .LBB4_5474
.LBB4_5473:                             ;   in Loop: Header=BB4_4792 Depth=3
	v_bfe_u32 v4, v1, 24, 2
	v_bfe_u32 v17, v1, 26, 5
	v_ffbh_u32_e32 v5, v4
	v_cmp_eq_u32_e32 vcc_lo, 0, v17
	v_min_u32_e32 v5, 32, v5
	v_subrev_nc_u32_e32 v16, 29, v5
	v_sub_nc_u32_e32 v5, 30, v5
	v_lshlrev_b32_sdwa v16, v16, v1 dst_sel:DWORD dst_unused:UNUSED_PAD src0_sel:DWORD src1_sel:BYTE_3
	v_cndmask_b32_e32 v5, v17, v5, vcc_lo
	v_and_b32_e32 v1, 0x80000000, v1
	v_and_b32_e32 v16, 3, v16
	v_lshl_add_u32 v5, v5, 23, 0x37800000
	v_cndmask_b32_e32 v4, v4, v16, vcc_lo
	v_lshlrev_b32_e32 v4, 21, v4
	v_or3_b32 v4, v1, v5, v4
.LBB4_5474:                             ;   in Loop: Header=BB4_4792 Depth=3
	s_or_b32 exec_lo, exec_lo, s16
	v_cmp_gt_i16_sdwa s16, v14, v100 src0_sel:BYTE_3 src1_sel:DWORD
	s_mov_b32 s23, 0
	s_and_saveexec_b32 s72, s16
	s_xor_b32 s16, exec_lo, s72
	s_cbranch_execz .LBB4_5996
; %bb.5475:                             ;   in Loop: Header=BB4_4792 Depth=3
	v_cmp_eq_u16_sdwa s73, v14, v101 src0_sel:BYTE_3 src1_sel:DWORD
	s_mov_b32 s23, -1
	s_and_saveexec_b32 s72, s73
; %bb.5476:                             ;   in Loop: Header=BB4_4792 Depth=3
	s_xor_b32 s23, exec_lo, -1
; %bb.5477:                             ;   in Loop: Header=BB4_4792 Depth=3
	s_or_b32 exec_lo, exec_lo, s72
	s_and_b32 s23, s23, exec_lo
	s_or_saveexec_b32 s16, s16
	v_mov_b32_e32 v1, 0x7f800001
	s_xor_b32 exec_lo, exec_lo, s16
	s_cbranch_execnz .LBB4_5997
.LBB4_5478:                             ;   in Loop: Header=BB4_4792 Depth=3
	s_or_b32 exec_lo, exec_lo, s16
	s_and_saveexec_b32 s16, s23
	s_cbranch_execz .LBB4_5480
.LBB4_5479:                             ;   in Loop: Header=BB4_4792 Depth=3
	v_bfe_u32 v1, v14, 24, 2
	v_bfe_u32 v17, v14, 26, 5
	v_ffbh_u32_e32 v5, v1
	v_cmp_eq_u32_e32 vcc_lo, 0, v17
	v_min_u32_e32 v5, 32, v5
	v_subrev_nc_u32_e32 v16, 29, v5
	v_sub_nc_u32_e32 v5, 30, v5
	v_lshlrev_b32_sdwa v16, v16, v14 dst_sel:DWORD dst_unused:UNUSED_PAD src0_sel:DWORD src1_sel:BYTE_3
	v_cndmask_b32_e32 v5, v17, v5, vcc_lo
	v_and_b32_e32 v14, 0x80000000, v14
	v_and_b32_e32 v16, 3, v16
	v_lshl_add_u32 v5, v5, 23, 0x37800000
	v_cndmask_b32_e32 v1, v1, v16, vcc_lo
	v_lshlrev_b32_e32 v1, 21, v1
	v_or3_b32 v1, v14, v5, v1
.LBB4_5480:                             ;   in Loop: Header=BB4_4792 Depth=3
	s_or_b32 exec_lo, exec_lo, s16
	v_add_f32_e32 v1, v4, v1
	v_mov_b32_e32 v14, 0x8000
	s_mov_b32 s23, exec_lo
	v_and_b32_e32 v4, 0x7f800000, v1
	v_cmpx_ne_u32_e32 0x7f800000, v4
	s_cbranch_execz .LBB4_5488
; %bb.5481:                             ;   in Loop: Header=BB4_4792 Depth=3
	v_mov_b32_e32 v14, 0
	s_mov_b32 s72, exec_lo
	v_cmpx_ne_u32_e32 0, v1
	s_cbranch_execz .LBB4_5487
; %bb.5482:                             ;   in Loop: Header=BB4_4792 Depth=3
	v_bfe_u32 v5, v1, 23, 8
	v_and_b32_e32 v4, 0x7fffff, v1
	v_cmp_gt_u32_e64 s16, 0x71, v5
	v_sub_nc_u32_e32 v14, 0x70, v5
	v_cmp_eq_u32_e32 vcc_lo, 0, v5
	v_or_b32_e32 v16, 0x800000, v4
	v_cndmask_b32_e64 v14, 0, v14, s16
	v_cndmask_b32_e32 v4, v16, v4, vcc_lo
	v_cndmask_b32_e64 v14, v14, 0x6f, vcc_lo
	v_lshl_add_u32 v16, 0x200000, v14, -1
	v_lshlrev_b32_e64 v17, v14, 0x100000
	v_and_b32_e32 v16, v16, v4
	v_cmp_eq_u32_e64 s16, v16, v17
	v_lshrrev_b32_e32 v16, v14, v4
	v_add_nc_u32_e32 v4, 0xffffff91, v5
	v_lshrrev_b32_e32 v5, 23, v16
	v_cndmask_b32_e64 v4, v4, 0xffffff92, vcc_lo
	v_xor_b32_e32 v5, 1, v5
	v_add_nc_u32_e32 v4, v14, v4
	v_bfe_u32 v14, v16, 21, 1
	v_add_nc_u32_e32 v14, -1, v14
	v_cndmask_b32_e64 v14, 0, v14, s16
	s_mov_b32 s16, exec_lo
	v_add_nc_u32_e32 v14, v14, v16
	v_and_b32_e32 v14, 0x1fffff, v14
	v_add_nc_u32_e32 v14, v14, v16
                                        ; implicit-def: $vgpr16
	v_cmpx_ne_u32_e64 v4, v5
	s_xor_b32 s16, exec_lo, s16
; %bb.5483:                             ;   in Loop: Header=BB4_4792 Depth=3
	v_cmp_lt_u32_e32 vcc_lo, 0xffffff, v14
	v_sub_nc_u32_e32 v4, v4, v5
	v_cndmask_b32_e64 v5, 0, 1, vcc_lo
	v_add_co_ci_u32_e64 v16, null, 0, v4, vcc_lo
	v_lshrrev_b32_e32 v14, v5, v14
; %bb.5484:                             ;   in Loop: Header=BB4_4792 Depth=3
	s_andn2_saveexec_b32 s16, s16
; %bb.5485:                             ;   in Loop: Header=BB4_4792 Depth=3
	v_bfe_u32 v16, v14, 23, 1
; %bb.5486:                             ;   in Loop: Header=BB4_4792 Depth=3
	s_or_b32 exec_lo, exec_lo, s16
	v_lshrrev_b32_e32 v4, 21, v14
	v_min_i32_e32 v5, 31, v16
	v_cmp_gt_i32_e32 vcc_lo, 32, v16
	v_and_b32_sdwa v1, v1, v101 dst_sel:DWORD dst_unused:UNUSED_PAD src0_sel:BYTE_3 src1_sel:DWORD
	v_lshlrev_b32_e32 v5, 2, v5
	v_cndmask_b32_e32 v4, 3, v4, vcc_lo
	v_and_b32_e32 v5, 0xfc, v5
	v_or_b32_e32 v14, v16, v4
	v_and_b32_e32 v4, 3, v4
	v_cmp_ne_u32_e32 vcc_lo, 0, v14
	v_or3_b32 v1, v1, v5, v4
	v_lshlrev_b32_e32 v1, 8, v1
	v_cndmask_b32_e32 v14, 0, v1, vcc_lo
.LBB4_5487:                             ;   in Loop: Header=BB4_4792 Depth=3
	s_or_b32 exec_lo, exec_lo, s72
.LBB4_5488:                             ;   in Loop: Header=BB4_4792 Depth=3
	s_or_b32 exec_lo, exec_lo, s23
	v_or_b32_e32 v1, v122, v120
	s_mov_b32 s23, 0
	v_cmp_gt_i16_sdwa s16, v1, v100 src0_sel:BYTE_0 src1_sel:DWORD
	s_and_saveexec_b32 s72, s16
	s_xor_b32 s16, exec_lo, s72
	s_cbranch_execz .LBB4_5998
; %bb.5489:                             ;   in Loop: Header=BB4_4792 Depth=3
	v_cmp_eq_u16_sdwa s73, v1, v101 src0_sel:BYTE_0 src1_sel:DWORD
	s_mov_b32 s23, -1
	s_and_saveexec_b32 s72, s73
; %bb.5490:                             ;   in Loop: Header=BB4_4792 Depth=3
	s_xor_b32 s23, exec_lo, -1
; %bb.5491:                             ;   in Loop: Header=BB4_4792 Depth=3
	s_or_b32 exec_lo, exec_lo, s72
	s_and_b32 s23, s23, exec_lo
	s_or_saveexec_b32 s16, s16
	v_mov_b32_e32 v4, 0x7f800001
	s_xor_b32 exec_lo, exec_lo, s16
	s_cbranch_execnz .LBB4_5999
.LBB4_5492:                             ;   in Loop: Header=BB4_4792 Depth=3
	s_or_b32 exec_lo, exec_lo, s16
	s_and_saveexec_b32 s16, s23
	s_cbranch_execz .LBB4_5494
.LBB4_5493:                             ;   in Loop: Header=BB4_4792 Depth=3
	v_and_b32_e32 v4, 3, v1
	v_bfe_u32 v5, v1, 2, 5
	v_ffbh_u32_e32 v16, v4
	v_cmp_eq_u32_e32 vcc_lo, 0, v5
	v_min_u32_e32 v16, 32, v16
	v_subrev_nc_u32_e32 v17, 29, v16
	v_sub_nc_u32_e32 v16, 30, v16
	v_lshlrev_b32_e32 v17, v17, v1
	v_cndmask_b32_e32 v5, v5, v16, vcc_lo
	v_lshlrev_b32_e32 v16, 24, v1
	v_and_b32_e32 v17, 3, v17
	v_lshl_add_u32 v5, v5, 23, 0x37800000
	v_and_b32_e32 v16, 0x80000000, v16
	v_cndmask_b32_e32 v4, v4, v17, vcc_lo
	v_lshlrev_b32_e32 v4, 21, v4
	v_or3_b32 v4, v16, v5, v4
.LBB4_5494:                             ;   in Loop: Header=BB4_4792 Depth=3
	s_or_b32 exec_lo, exec_lo, s16
	v_cmp_gt_i16_sdwa s16, v15, v100 src0_sel:BYTE_0 src1_sel:DWORD
	s_mov_b32 s23, 0
	s_and_saveexec_b32 s72, s16
	s_xor_b32 s16, exec_lo, s72
	s_cbranch_execz .LBB4_6000
; %bb.5495:                             ;   in Loop: Header=BB4_4792 Depth=3
	v_cmp_eq_u16_sdwa s73, v15, v101 src0_sel:BYTE_0 src1_sel:DWORD
	s_mov_b32 s23, -1
	s_and_saveexec_b32 s72, s73
; %bb.5496:                             ;   in Loop: Header=BB4_4792 Depth=3
	s_xor_b32 s23, exec_lo, -1
; %bb.5497:                             ;   in Loop: Header=BB4_4792 Depth=3
	s_or_b32 exec_lo, exec_lo, s72
	s_and_b32 s23, s23, exec_lo
	s_or_saveexec_b32 s16, s16
	v_mov_b32_e32 v5, 0x7f800001
	s_xor_b32 exec_lo, exec_lo, s16
	s_cbranch_execnz .LBB4_6001
.LBB4_5498:                             ;   in Loop: Header=BB4_4792 Depth=3
	s_or_b32 exec_lo, exec_lo, s16
	s_and_saveexec_b32 s16, s23
	s_cbranch_execz .LBB4_5500
.LBB4_5499:                             ;   in Loop: Header=BB4_4792 Depth=3
	v_and_b32_e32 v5, 3, v15
	v_bfe_u32 v16, v15, 2, 5
	v_ffbh_u32_e32 v17, v5
	v_cmp_eq_u32_e32 vcc_lo, 0, v16
	v_min_u32_e32 v17, 32, v17
	v_subrev_nc_u32_e32 v18, 29, v17
	v_sub_nc_u32_e32 v17, 30, v17
	v_lshlrev_b32_e32 v18, v18, v15
	v_cndmask_b32_e32 v16, v16, v17, vcc_lo
	v_lshlrev_b32_e32 v17, 24, v15
	v_and_b32_e32 v18, 3, v18
	v_lshl_add_u32 v16, v16, 23, 0x37800000
	v_and_b32_e32 v17, 0x80000000, v17
	v_cndmask_b32_e32 v5, v5, v18, vcc_lo
	v_lshlrev_b32_e32 v5, 21, v5
	v_or3_b32 v5, v17, v16, v5
.LBB4_5500:                             ;   in Loop: Header=BB4_4792 Depth=3
	s_or_b32 exec_lo, exec_lo, s16
	v_add_f32_e32 v4, v4, v5
	v_mov_b32_e32 v18, 0x80
	s_mov_b32 s23, exec_lo
	v_and_b32_e32 v5, 0x7f800000, v4
	v_cmpx_ne_u32_e32 0x7f800000, v5
	s_cbranch_execz .LBB4_5508
; %bb.5501:                             ;   in Loop: Header=BB4_4792 Depth=3
	v_mov_b32_e32 v18, 0
	s_mov_b32 s72, exec_lo
	v_cmpx_ne_u32_e32 0, v4
	s_cbranch_execz .LBB4_5507
; %bb.5502:                             ;   in Loop: Header=BB4_4792 Depth=3
	v_bfe_u32 v16, v4, 23, 8
	v_and_b32_e32 v5, 0x7fffff, v4
	v_cmp_gt_u32_e64 s16, 0x71, v16
	v_sub_nc_u32_e32 v17, 0x70, v16
	v_cmp_eq_u32_e32 vcc_lo, 0, v16
	v_or_b32_e32 v18, 0x800000, v5
	v_cndmask_b32_e64 v17, 0, v17, s16
	v_cndmask_b32_e32 v5, v18, v5, vcc_lo
	v_cndmask_b32_e64 v17, v17, 0x6f, vcc_lo
	v_lshl_add_u32 v18, 0x200000, v17, -1
	v_lshlrev_b32_e64 v19, v17, 0x100000
	v_and_b32_e32 v18, v18, v5
	v_cmp_eq_u32_e64 s16, v18, v19
	v_lshrrev_b32_e32 v18, v17, v5
	v_add_nc_u32_e32 v5, 0xffffff91, v16
	v_lshrrev_b32_e32 v16, 23, v18
	v_cndmask_b32_e64 v5, v5, 0xffffff92, vcc_lo
	v_xor_b32_e32 v16, 1, v16
	v_add_nc_u32_e32 v5, v17, v5
	v_bfe_u32 v17, v18, 21, 1
	v_add_nc_u32_e32 v17, -1, v17
	v_cndmask_b32_e64 v17, 0, v17, s16
	s_mov_b32 s16, exec_lo
	v_add_nc_u32_e32 v17, v17, v18
	v_and_b32_e32 v17, 0x1fffff, v17
	v_add_nc_u32_e32 v17, v17, v18
                                        ; implicit-def: $vgpr18
	v_cmpx_ne_u32_e64 v5, v16
	s_xor_b32 s16, exec_lo, s16
; %bb.5503:                             ;   in Loop: Header=BB4_4792 Depth=3
	v_cmp_lt_u32_e32 vcc_lo, 0xffffff, v17
	v_sub_nc_u32_e32 v5, v5, v16
	v_cndmask_b32_e64 v16, 0, 1, vcc_lo
	v_add_co_ci_u32_e64 v18, null, 0, v5, vcc_lo
	v_lshrrev_b32_e32 v17, v16, v17
; %bb.5504:                             ;   in Loop: Header=BB4_4792 Depth=3
	s_andn2_saveexec_b32 s16, s16
; %bb.5505:                             ;   in Loop: Header=BB4_4792 Depth=3
	v_bfe_u32 v18, v17, 23, 1
; %bb.5506:                             ;   in Loop: Header=BB4_4792 Depth=3
	s_or_b32 exec_lo, exec_lo, s16
	v_lshrrev_b32_e32 v5, 21, v17
	v_min_i32_e32 v16, 31, v18
	v_cmp_gt_i32_e32 vcc_lo, 32, v18
	v_and_b32_sdwa v4, v4, v101 dst_sel:DWORD dst_unused:UNUSED_PAD src0_sel:BYTE_3 src1_sel:DWORD
	v_lshlrev_b32_e32 v16, 2, v16
	v_cndmask_b32_e32 v5, 3, v5, vcc_lo
	v_and_b32_e32 v16, 0xfc, v16
	v_or_b32_e32 v17, v18, v5
	v_and_b32_e32 v5, 3, v5
	v_cmp_ne_u32_e32 vcc_lo, 0, v17
	v_or3_b32 v4, v16, v4, v5
	v_cndmask_b32_e32 v18, 0, v4, vcc_lo
.LBB4_5507:                             ;   in Loop: Header=BB4_4792 Depth=3
	s_or_b32 exec_lo, exec_lo, s72
.LBB4_5508:                             ;   in Loop: Header=BB4_4792 Depth=3
	s_or_b32 exec_lo, exec_lo, s23
	v_cmp_gt_i16_sdwa s16, v1, v100 src0_sel:BYTE_1 src1_sel:DWORD
	s_mov_b32 s23, 0
	s_and_saveexec_b32 s72, s16
	s_xor_b32 s16, exec_lo, s72
	s_cbranch_execz .LBB4_6002
; %bb.5509:                             ;   in Loop: Header=BB4_4792 Depth=3
	v_cmp_eq_u16_sdwa s73, v1, v101 src0_sel:BYTE_1 src1_sel:DWORD
	s_mov_b32 s23, -1
	s_and_saveexec_b32 s72, s73
; %bb.5510:                             ;   in Loop: Header=BB4_4792 Depth=3
	s_xor_b32 s23, exec_lo, -1
; %bb.5511:                             ;   in Loop: Header=BB4_4792 Depth=3
	s_or_b32 exec_lo, exec_lo, s72
	s_and_b32 s23, s23, exec_lo
	s_or_saveexec_b32 s16, s16
	v_mov_b32_e32 v4, 0x7f800001
	s_xor_b32 exec_lo, exec_lo, s16
	s_cbranch_execnz .LBB4_6003
.LBB4_5512:                             ;   in Loop: Header=BB4_4792 Depth=3
	s_or_b32 exec_lo, exec_lo, s16
	s_and_saveexec_b32 s16, s23
	s_cbranch_execz .LBB4_5514
.LBB4_5513:                             ;   in Loop: Header=BB4_4792 Depth=3
	v_and_b32_sdwa v4, v102, v1 dst_sel:DWORD dst_unused:UNUSED_PAD src0_sel:DWORD src1_sel:BYTE_1
	v_and_b32_e32 v5, 3, v4
	v_bfe_u32 v19, v4, 2, 5
	v_ffbh_u32_e32 v16, v5
	v_cmp_eq_u32_e32 vcc_lo, 0, v19
	v_min_u32_e32 v16, 32, v16
	v_subrev_nc_u32_e32 v17, 29, v16
	v_sub_nc_u32_e32 v16, 30, v16
	v_lshlrev_b32_e32 v4, v17, v4
	v_lshlrev_b32_sdwa v17, v103, v1 dst_sel:DWORD dst_unused:UNUSED_PAD src0_sel:DWORD src1_sel:BYTE_1
	v_cndmask_b32_e32 v16, v19, v16, vcc_lo
	v_and_b32_e32 v4, 3, v4
	v_lshl_add_u32 v16, v16, 23, 0x37800000
	v_cndmask_b32_e32 v4, v5, v4, vcc_lo
	v_and_b32_e32 v5, 0x80000000, v17
	v_lshlrev_b32_e32 v4, 21, v4
	v_or3_b32 v4, v5, v16, v4
.LBB4_5514:                             ;   in Loop: Header=BB4_4792 Depth=3
	s_or_b32 exec_lo, exec_lo, s16
	v_cmp_gt_i16_sdwa s16, v15, v100 src0_sel:BYTE_1 src1_sel:DWORD
	s_mov_b32 s23, 0
	s_and_saveexec_b32 s72, s16
	s_xor_b32 s16, exec_lo, s72
	s_cbranch_execz .LBB4_6004
; %bb.5515:                             ;   in Loop: Header=BB4_4792 Depth=3
	v_cmp_eq_u16_sdwa s73, v15, v101 src0_sel:BYTE_1 src1_sel:DWORD
	s_mov_b32 s23, -1
	s_and_saveexec_b32 s72, s73
; %bb.5516:                             ;   in Loop: Header=BB4_4792 Depth=3
	s_xor_b32 s23, exec_lo, -1
; %bb.5517:                             ;   in Loop: Header=BB4_4792 Depth=3
	s_or_b32 exec_lo, exec_lo, s72
	s_and_b32 s23, s23, exec_lo
	s_or_saveexec_b32 s16, s16
	v_mov_b32_e32 v5, 0x7f800001
	s_xor_b32 exec_lo, exec_lo, s16
	s_cbranch_execnz .LBB4_6005
.LBB4_5518:                             ;   in Loop: Header=BB4_4792 Depth=3
	s_or_b32 exec_lo, exec_lo, s16
	s_and_saveexec_b32 s16, s23
	s_cbranch_execz .LBB4_5520
.LBB4_5519:                             ;   in Loop: Header=BB4_4792 Depth=3
	v_and_b32_sdwa v5, v102, v15 dst_sel:DWORD dst_unused:UNUSED_PAD src0_sel:DWORD src1_sel:BYTE_1
	v_and_b32_e32 v16, 3, v5
	v_bfe_u32 v20, v5, 2, 5
	v_ffbh_u32_e32 v17, v16
	v_cmp_eq_u32_e32 vcc_lo, 0, v20
	v_min_u32_e32 v17, 32, v17
	v_subrev_nc_u32_e32 v19, 29, v17
	v_sub_nc_u32_e32 v17, 30, v17
	v_lshlrev_b32_e32 v5, v19, v5
	v_lshlrev_b32_sdwa v19, v103, v15 dst_sel:DWORD dst_unused:UNUSED_PAD src0_sel:DWORD src1_sel:BYTE_1
	v_cndmask_b32_e32 v17, v20, v17, vcc_lo
	v_and_b32_e32 v5, 3, v5
	v_lshl_add_u32 v17, v17, 23, 0x37800000
	v_cndmask_b32_e32 v5, v16, v5, vcc_lo
	v_and_b32_e32 v16, 0x80000000, v19
	v_lshlrev_b32_e32 v5, 21, v5
	v_or3_b32 v5, v16, v17, v5
.LBB4_5520:                             ;   in Loop: Header=BB4_4792 Depth=3
	s_or_b32 exec_lo, exec_lo, s16
	v_add_f32_e32 v4, v4, v5
	v_mov_b32_e32 v19, 0x8000
	s_mov_b32 s23, exec_lo
	v_and_b32_e32 v5, 0x7f800000, v4
	v_cmpx_ne_u32_e32 0x7f800000, v5
	s_cbranch_execz .LBB4_5528
; %bb.5521:                             ;   in Loop: Header=BB4_4792 Depth=3
	v_mov_b32_e32 v19, 0
	s_mov_b32 s72, exec_lo
	v_cmpx_ne_u32_e32 0, v4
	s_cbranch_execz .LBB4_5527
; %bb.5522:                             ;   in Loop: Header=BB4_4792 Depth=3
	v_bfe_u32 v16, v4, 23, 8
	v_and_b32_e32 v5, 0x7fffff, v4
	v_cmp_gt_u32_e64 s16, 0x71, v16
	v_sub_nc_u32_e32 v17, 0x70, v16
	v_cmp_eq_u32_e32 vcc_lo, 0, v16
	v_or_b32_e32 v19, 0x800000, v5
	v_cndmask_b32_e64 v17, 0, v17, s16
	v_cndmask_b32_e32 v5, v19, v5, vcc_lo
	v_cndmask_b32_e64 v17, v17, 0x6f, vcc_lo
	v_lshl_add_u32 v19, 0x200000, v17, -1
	v_lshlrev_b32_e64 v20, v17, 0x100000
	v_and_b32_e32 v19, v19, v5
	v_cmp_eq_u32_e64 s16, v19, v20
	v_lshrrev_b32_e32 v19, v17, v5
	v_add_nc_u32_e32 v5, 0xffffff91, v16
	v_lshrrev_b32_e32 v16, 23, v19
	v_cndmask_b32_e64 v5, v5, 0xffffff92, vcc_lo
	v_xor_b32_e32 v16, 1, v16
	v_add_nc_u32_e32 v5, v17, v5
	v_bfe_u32 v17, v19, 21, 1
	v_add_nc_u32_e32 v17, -1, v17
	v_cndmask_b32_e64 v17, 0, v17, s16
	s_mov_b32 s16, exec_lo
	v_add_nc_u32_e32 v17, v17, v19
	v_and_b32_e32 v17, 0x1fffff, v17
	v_add_nc_u32_e32 v17, v17, v19
                                        ; implicit-def: $vgpr19
	v_cmpx_ne_u32_e64 v5, v16
	s_xor_b32 s16, exec_lo, s16
; %bb.5523:                             ;   in Loop: Header=BB4_4792 Depth=3
	v_cmp_lt_u32_e32 vcc_lo, 0xffffff, v17
	v_sub_nc_u32_e32 v5, v5, v16
	v_cndmask_b32_e64 v16, 0, 1, vcc_lo
	v_add_co_ci_u32_e64 v19, null, 0, v5, vcc_lo
	v_lshrrev_b32_e32 v17, v16, v17
; %bb.5524:                             ;   in Loop: Header=BB4_4792 Depth=3
	s_andn2_saveexec_b32 s16, s16
; %bb.5525:                             ;   in Loop: Header=BB4_4792 Depth=3
	v_bfe_u32 v19, v17, 23, 1
; %bb.5526:                             ;   in Loop: Header=BB4_4792 Depth=3
	s_or_b32 exec_lo, exec_lo, s16
	v_lshrrev_b32_e32 v5, 21, v17
	v_min_i32_e32 v16, 31, v19
	v_cmp_gt_i32_e32 vcc_lo, 32, v19
	v_and_b32_sdwa v4, v4, v101 dst_sel:DWORD dst_unused:UNUSED_PAD src0_sel:BYTE_3 src1_sel:DWORD
	v_lshlrev_b32_e32 v16, 2, v16
	v_cndmask_b32_e32 v5, 3, v5, vcc_lo
	v_and_b32_e32 v16, 0xfc, v16
	v_or_b32_e32 v17, v19, v5
	v_and_b32_e32 v5, 3, v5
	v_cmp_ne_u32_e32 vcc_lo, 0, v17
	v_or3_b32 v4, v4, v16, v5
	v_lshlrev_b32_e32 v4, 8, v4
	v_cndmask_b32_e32 v19, 0, v4, vcc_lo
.LBB4_5527:                             ;   in Loop: Header=BB4_4792 Depth=3
	s_or_b32 exec_lo, exec_lo, s72
.LBB4_5528:                             ;   in Loop: Header=BB4_4792 Depth=3
	s_or_b32 exec_lo, exec_lo, s23
	v_or_b32_e32 v5, v111, v110
	s_mov_b32 s23, 0
	v_cmp_gt_i16_sdwa s16, v5, v100 src0_sel:BYTE_0 src1_sel:DWORD
	s_and_saveexec_b32 s72, s16
	s_xor_b32 s16, exec_lo, s72
	s_cbranch_execz .LBB4_6006
; %bb.5529:                             ;   in Loop: Header=BB4_4792 Depth=3
	v_cmp_eq_u16_sdwa s73, v5, v101 src0_sel:BYTE_0 src1_sel:DWORD
	s_mov_b32 s23, -1
	s_and_saveexec_b32 s72, s73
; %bb.5530:                             ;   in Loop: Header=BB4_4792 Depth=3
	s_xor_b32 s23, exec_lo, -1
; %bb.5531:                             ;   in Loop: Header=BB4_4792 Depth=3
	s_or_b32 exec_lo, exec_lo, s72
	s_and_b32 s23, s23, exec_lo
	s_or_saveexec_b32 s16, s16
	v_mov_b32_e32 v4, 0x7f800001
	s_xor_b32 exec_lo, exec_lo, s16
	s_cbranch_execnz .LBB4_6007
.LBB4_5532:                             ;   in Loop: Header=BB4_4792 Depth=3
	s_or_b32 exec_lo, exec_lo, s16
	v_lshl_or_b32 v1, v5, 16, v1
	s_and_saveexec_b32 s16, s23
	s_cbranch_execz .LBB4_5534
.LBB4_5533:                             ;   in Loop: Header=BB4_4792 Depth=3
	v_bfe_u32 v4, v1, 16, 2
	v_bfe_u32 v5, v1, 18, 5
	v_ffbh_u32_e32 v16, v4
	v_cmp_eq_u32_e32 vcc_lo, 0, v5
	v_min_u32_e32 v16, 32, v16
	v_subrev_nc_u32_e32 v17, 29, v16
	v_sub_nc_u32_e32 v16, 30, v16
	v_lshlrev_b32_sdwa v17, v17, v1 dst_sel:DWORD dst_unused:UNUSED_PAD src0_sel:DWORD src1_sel:WORD_1
	v_cndmask_b32_e32 v5, v5, v16, vcc_lo
	v_lshlrev_b32_e32 v16, 8, v1
	v_and_b32_e32 v17, 3, v17
	v_lshl_add_u32 v5, v5, 23, 0x37800000
	v_and_b32_e32 v16, 0x80000000, v16
	v_cndmask_b32_e32 v4, v4, v17, vcc_lo
	v_lshlrev_b32_e32 v4, 21, v4
	v_or3_b32 v4, v16, v5, v4
.LBB4_5534:                             ;   in Loop: Header=BB4_4792 Depth=3
	s_or_b32 exec_lo, exec_lo, s16
	v_and_b32_sdwa v16, v15, v112 dst_sel:DWORD dst_unused:UNUSED_PAD src0_sel:WORD_1 src1_sel:DWORD
	s_mov_b32 s23, 0
	s_mov_b32 s16, exec_lo
	v_cmpx_lt_i16_e32 0x7f, v16
	s_xor_b32 s16, exec_lo, s16
	s_cbranch_execz .LBB4_6008
; %bb.5535:                             ;   in Loop: Header=BB4_4792 Depth=3
	s_mov_b32 s23, -1
	s_mov_b32 s72, exec_lo
	v_cmpx_eq_u16_e32 0x80, v16
; %bb.5536:                             ;   in Loop: Header=BB4_4792 Depth=3
	s_xor_b32 s23, exec_lo, -1
; %bb.5537:                             ;   in Loop: Header=BB4_4792 Depth=3
	s_or_b32 exec_lo, exec_lo, s72
	s_and_b32 s23, s23, exec_lo
                                        ; implicit-def: $vgpr16
	s_or_saveexec_b32 s16, s16
	v_mov_b32_e32 v5, 0x7f800001
	s_xor_b32 exec_lo, exec_lo, s16
	s_cbranch_execnz .LBB4_6009
.LBB4_5538:                             ;   in Loop: Header=BB4_4792 Depth=3
	s_or_b32 exec_lo, exec_lo, s16
	s_and_saveexec_b32 s16, s23
	s_cbranch_execz .LBB4_5540
.LBB4_5539:                             ;   in Loop: Header=BB4_4792 Depth=3
	v_bfe_u32 v5, v15, 16, 2
	v_bfe_u32 v16, v15, 18, 5
	v_ffbh_u32_e32 v17, v5
	v_cmp_eq_u32_e32 vcc_lo, 0, v16
	v_min_u32_e32 v17, 32, v17
	v_subrev_nc_u32_e32 v20, 29, v17
	v_sub_nc_u32_e32 v17, 30, v17
	v_lshlrev_b32_sdwa v20, v20, v15 dst_sel:DWORD dst_unused:UNUSED_PAD src0_sel:DWORD src1_sel:WORD_1
	v_cndmask_b32_e32 v16, v16, v17, vcc_lo
	v_lshlrev_b32_e32 v17, 8, v15
	v_and_b32_e32 v20, 3, v20
	v_lshl_add_u32 v16, v16, 23, 0x37800000
	v_and_b32_e32 v17, 0x80000000, v17
	v_cndmask_b32_e32 v5, v5, v20, vcc_lo
	v_lshlrev_b32_e32 v5, 21, v5
	v_or3_b32 v5, v17, v16, v5
.LBB4_5540:                             ;   in Loop: Header=BB4_4792 Depth=3
	s_or_b32 exec_lo, exec_lo, s16
	v_add_f32_e32 v4, v4, v5
	v_mov_b32_e32 v30, 0x80
	s_mov_b32 s23, exec_lo
	v_and_b32_e32 v5, 0x7f800000, v4
	v_cmpx_ne_u32_e32 0x7f800000, v5
	s_cbranch_execz .LBB4_5548
; %bb.5541:                             ;   in Loop: Header=BB4_4792 Depth=3
	v_mov_b32_e32 v30, 0
	s_mov_b32 s72, exec_lo
	v_cmpx_ne_u32_e32 0, v4
	s_cbranch_execz .LBB4_5547
; %bb.5542:                             ;   in Loop: Header=BB4_4792 Depth=3
	v_bfe_u32 v16, v4, 23, 8
	v_and_b32_e32 v5, 0x7fffff, v4
	v_cmp_gt_u32_e64 s16, 0x71, v16
	v_sub_nc_u32_e32 v17, 0x70, v16
	v_cmp_eq_u32_e32 vcc_lo, 0, v16
	v_or_b32_e32 v20, 0x800000, v5
	v_cndmask_b32_e64 v17, 0, v17, s16
	v_cndmask_b32_e32 v5, v20, v5, vcc_lo
	v_cndmask_b32_e64 v17, v17, 0x6f, vcc_lo
	v_lshl_add_u32 v20, 0x200000, v17, -1
	v_lshlrev_b32_e64 v21, v17, 0x100000
	v_and_b32_e32 v20, v20, v5
	v_cmp_eq_u32_e64 s16, v20, v21
	v_lshrrev_b32_e32 v20, v17, v5
	v_add_nc_u32_e32 v5, 0xffffff91, v16
	v_lshrrev_b32_e32 v16, 23, v20
	v_cndmask_b32_e64 v5, v5, 0xffffff92, vcc_lo
	v_xor_b32_e32 v16, 1, v16
	v_add_nc_u32_e32 v5, v17, v5
	v_bfe_u32 v17, v20, 21, 1
	v_add_nc_u32_e32 v17, -1, v17
	v_cndmask_b32_e64 v17, 0, v17, s16
	s_mov_b32 s16, exec_lo
	v_add_nc_u32_e32 v17, v17, v20
	v_and_b32_e32 v17, 0x1fffff, v17
	v_add_nc_u32_e32 v17, v17, v20
                                        ; implicit-def: $vgpr20
	v_cmpx_ne_u32_e64 v5, v16
	s_xor_b32 s16, exec_lo, s16
; %bb.5543:                             ;   in Loop: Header=BB4_4792 Depth=3
	v_cmp_lt_u32_e32 vcc_lo, 0xffffff, v17
	v_sub_nc_u32_e32 v5, v5, v16
	v_cndmask_b32_e64 v16, 0, 1, vcc_lo
	v_add_co_ci_u32_e64 v20, null, 0, v5, vcc_lo
	v_lshrrev_b32_e32 v17, v16, v17
; %bb.5544:                             ;   in Loop: Header=BB4_4792 Depth=3
	s_andn2_saveexec_b32 s16, s16
; %bb.5545:                             ;   in Loop: Header=BB4_4792 Depth=3
	v_bfe_u32 v20, v17, 23, 1
; %bb.5546:                             ;   in Loop: Header=BB4_4792 Depth=3
	s_or_b32 exec_lo, exec_lo, s16
	v_lshrrev_b32_e32 v5, 21, v17
	v_min_i32_e32 v16, 31, v20
	v_cmp_gt_i32_e32 vcc_lo, 32, v20
	v_and_b32_sdwa v4, v4, v101 dst_sel:DWORD dst_unused:UNUSED_PAD src0_sel:BYTE_3 src1_sel:DWORD
	v_lshlrev_b32_e32 v16, 2, v16
	v_cndmask_b32_e32 v5, 3, v5, vcc_lo
	v_and_b32_e32 v16, 0xfc, v16
	v_or_b32_e32 v17, v20, v5
	v_and_b32_e32 v5, 3, v5
	v_cmp_ne_u32_e32 vcc_lo, 0, v17
	v_or3_b32 v4, v16, v4, v5
	v_cndmask_b32_e32 v30, 0, v4, vcc_lo
.LBB4_5547:                             ;   in Loop: Header=BB4_4792 Depth=3
	s_or_b32 exec_lo, exec_lo, s72
.LBB4_5548:                             ;   in Loop: Header=BB4_4792 Depth=3
	s_or_b32 exec_lo, exec_lo, s23
	v_cmp_gt_i16_sdwa s16, v1, v100 src0_sel:BYTE_3 src1_sel:DWORD
	s_mov_b32 s23, 0
	s_and_saveexec_b32 s72, s16
	s_xor_b32 s16, exec_lo, s72
	s_cbranch_execz .LBB4_6010
; %bb.5549:                             ;   in Loop: Header=BB4_4792 Depth=3
	v_cmp_eq_u16_sdwa s73, v1, v101 src0_sel:BYTE_3 src1_sel:DWORD
	s_mov_b32 s23, -1
	s_and_saveexec_b32 s72, s73
; %bb.5550:                             ;   in Loop: Header=BB4_4792 Depth=3
	s_xor_b32 s23, exec_lo, -1
; %bb.5551:                             ;   in Loop: Header=BB4_4792 Depth=3
	s_or_b32 exec_lo, exec_lo, s72
	s_and_b32 s23, s23, exec_lo
	s_or_saveexec_b32 s16, s16
	v_mov_b32_e32 v4, 0x7f800001
	s_xor_b32 exec_lo, exec_lo, s16
	s_cbranch_execnz .LBB4_6011
.LBB4_5552:                             ;   in Loop: Header=BB4_4792 Depth=3
	s_or_b32 exec_lo, exec_lo, s16
	s_and_saveexec_b32 s16, s23
	s_cbranch_execz .LBB4_5554
.LBB4_5553:                             ;   in Loop: Header=BB4_4792 Depth=3
	v_bfe_u32 v4, v1, 24, 2
	v_bfe_u32 v17, v1, 26, 5
	v_ffbh_u32_e32 v5, v4
	v_cmp_eq_u32_e32 vcc_lo, 0, v17
	v_min_u32_e32 v5, 32, v5
	v_subrev_nc_u32_e32 v16, 29, v5
	v_sub_nc_u32_e32 v5, 30, v5
	v_lshlrev_b32_sdwa v16, v16, v1 dst_sel:DWORD dst_unused:UNUSED_PAD src0_sel:DWORD src1_sel:BYTE_3
	v_cndmask_b32_e32 v5, v17, v5, vcc_lo
	v_and_b32_e32 v1, 0x80000000, v1
	v_and_b32_e32 v16, 3, v16
	v_lshl_add_u32 v5, v5, 23, 0x37800000
	v_cndmask_b32_e32 v4, v4, v16, vcc_lo
	v_lshlrev_b32_e32 v4, 21, v4
	v_or3_b32 v4, v1, v5, v4
.LBB4_5554:                             ;   in Loop: Header=BB4_4792 Depth=3
	s_or_b32 exec_lo, exec_lo, s16
	v_cmp_gt_i16_sdwa s16, v15, v100 src0_sel:BYTE_3 src1_sel:DWORD
	s_mov_b32 s23, 0
	s_and_saveexec_b32 s72, s16
	s_xor_b32 s16, exec_lo, s72
	s_cbranch_execz .LBB4_6012
; %bb.5555:                             ;   in Loop: Header=BB4_4792 Depth=3
	v_cmp_eq_u16_sdwa s73, v15, v101 src0_sel:BYTE_3 src1_sel:DWORD
	s_mov_b32 s23, -1
	s_and_saveexec_b32 s72, s73
; %bb.5556:                             ;   in Loop: Header=BB4_4792 Depth=3
	s_xor_b32 s23, exec_lo, -1
; %bb.5557:                             ;   in Loop: Header=BB4_4792 Depth=3
	s_or_b32 exec_lo, exec_lo, s72
	s_and_b32 s23, s23, exec_lo
	s_or_saveexec_b32 s16, s16
	v_mov_b32_e32 v1, 0x7f800001
	s_xor_b32 exec_lo, exec_lo, s16
	s_cbranch_execnz .LBB4_6013
.LBB4_5558:                             ;   in Loop: Header=BB4_4792 Depth=3
	s_or_b32 exec_lo, exec_lo, s16
	s_and_saveexec_b32 s16, s23
	s_cbranch_execz .LBB4_5560
.LBB4_5559:                             ;   in Loop: Header=BB4_4792 Depth=3
	v_bfe_u32 v1, v15, 24, 2
	v_bfe_u32 v17, v15, 26, 5
	v_ffbh_u32_e32 v5, v1
	v_cmp_eq_u32_e32 vcc_lo, 0, v17
	v_min_u32_e32 v5, 32, v5
	v_subrev_nc_u32_e32 v16, 29, v5
	v_sub_nc_u32_e32 v5, 30, v5
	v_lshlrev_b32_sdwa v16, v16, v15 dst_sel:DWORD dst_unused:UNUSED_PAD src0_sel:DWORD src1_sel:BYTE_3
	v_cndmask_b32_e32 v5, v17, v5, vcc_lo
	v_and_b32_e32 v15, 0x80000000, v15
	v_and_b32_e32 v16, 3, v16
	v_lshl_add_u32 v5, v5, 23, 0x37800000
	v_cndmask_b32_e32 v1, v1, v16, vcc_lo
	v_lshlrev_b32_e32 v1, 21, v1
	v_or3_b32 v1, v15, v5, v1
.LBB4_5560:                             ;   in Loop: Header=BB4_4792 Depth=3
	s_or_b32 exec_lo, exec_lo, s16
	v_add_f32_e32 v1, v4, v1
	v_mov_b32_e32 v15, 0x8000
	s_mov_b32 s23, exec_lo
	v_and_b32_e32 v4, 0x7f800000, v1
	v_cmpx_ne_u32_e32 0x7f800000, v4
	s_cbranch_execz .LBB4_5568
; %bb.5561:                             ;   in Loop: Header=BB4_4792 Depth=3
	v_mov_b32_e32 v15, 0
	s_mov_b32 s72, exec_lo
	v_cmpx_ne_u32_e32 0, v1
	s_cbranch_execz .LBB4_5567
; %bb.5562:                             ;   in Loop: Header=BB4_4792 Depth=3
	v_bfe_u32 v5, v1, 23, 8
	v_and_b32_e32 v4, 0x7fffff, v1
	v_cmp_gt_u32_e64 s16, 0x71, v5
	v_sub_nc_u32_e32 v15, 0x70, v5
	v_cmp_eq_u32_e32 vcc_lo, 0, v5
	v_or_b32_e32 v16, 0x800000, v4
	v_cndmask_b32_e64 v15, 0, v15, s16
	v_cndmask_b32_e32 v4, v16, v4, vcc_lo
	v_cndmask_b32_e64 v15, v15, 0x6f, vcc_lo
	v_lshl_add_u32 v16, 0x200000, v15, -1
	v_lshlrev_b32_e64 v17, v15, 0x100000
	v_and_b32_e32 v16, v16, v4
	v_cmp_eq_u32_e64 s16, v16, v17
	v_lshrrev_b32_e32 v16, v15, v4
	v_add_nc_u32_e32 v4, 0xffffff91, v5
	v_lshrrev_b32_e32 v5, 23, v16
	v_cndmask_b32_e64 v4, v4, 0xffffff92, vcc_lo
	v_xor_b32_e32 v5, 1, v5
	v_add_nc_u32_e32 v4, v15, v4
	v_bfe_u32 v15, v16, 21, 1
	v_add_nc_u32_e32 v15, -1, v15
	v_cndmask_b32_e64 v15, 0, v15, s16
	s_mov_b32 s16, exec_lo
	v_add_nc_u32_e32 v15, v15, v16
	v_and_b32_e32 v15, 0x1fffff, v15
	v_add_nc_u32_e32 v15, v15, v16
                                        ; implicit-def: $vgpr16
	v_cmpx_ne_u32_e64 v4, v5
	s_xor_b32 s16, exec_lo, s16
; %bb.5563:                             ;   in Loop: Header=BB4_4792 Depth=3
	v_cmp_lt_u32_e32 vcc_lo, 0xffffff, v15
	v_sub_nc_u32_e32 v4, v4, v5
	v_cndmask_b32_e64 v5, 0, 1, vcc_lo
	v_add_co_ci_u32_e64 v16, null, 0, v4, vcc_lo
	v_lshrrev_b32_e32 v15, v5, v15
; %bb.5564:                             ;   in Loop: Header=BB4_4792 Depth=3
	s_andn2_saveexec_b32 s16, s16
; %bb.5565:                             ;   in Loop: Header=BB4_4792 Depth=3
	v_bfe_u32 v16, v15, 23, 1
; %bb.5566:                             ;   in Loop: Header=BB4_4792 Depth=3
	s_or_b32 exec_lo, exec_lo, s16
	v_lshrrev_b32_e32 v4, 21, v15
	v_min_i32_e32 v5, 31, v16
	v_cmp_gt_i32_e32 vcc_lo, 32, v16
	v_and_b32_sdwa v1, v1, v101 dst_sel:DWORD dst_unused:UNUSED_PAD src0_sel:BYTE_3 src1_sel:DWORD
	v_lshlrev_b32_e32 v5, 2, v5
	v_cndmask_b32_e32 v4, 3, v4, vcc_lo
	v_and_b32_e32 v5, 0xfc, v5
	v_or_b32_e32 v15, v16, v4
	v_and_b32_e32 v4, 3, v4
	v_cmp_ne_u32_e32 vcc_lo, 0, v15
	v_or3_b32 v1, v1, v5, v4
	v_lshlrev_b32_e32 v1, 8, v1
	v_cndmask_b32_e32 v15, 0, v1, vcc_lo
.LBB4_5567:                             ;   in Loop: Header=BB4_4792 Depth=3
	s_or_b32 exec_lo, exec_lo, s72
.LBB4_5568:                             ;   in Loop: Header=BB4_4792 Depth=3
	s_or_b32 exec_lo, exec_lo, s23
	v_or_b32_e32 v1, v109, v108
	s_mov_b32 s23, 0
	v_cmp_gt_i16_sdwa s16, v1, v100 src0_sel:BYTE_0 src1_sel:DWORD
	s_and_saveexec_b32 s72, s16
	s_xor_b32 s16, exec_lo, s72
	s_cbranch_execz .LBB4_6014
; %bb.5569:                             ;   in Loop: Header=BB4_4792 Depth=3
	v_cmp_eq_u16_sdwa s73, v1, v101 src0_sel:BYTE_0 src1_sel:DWORD
	s_mov_b32 s23, -1
	s_and_saveexec_b32 s72, s73
; %bb.5570:                             ;   in Loop: Header=BB4_4792 Depth=3
	s_xor_b32 s23, exec_lo, -1
; %bb.5571:                             ;   in Loop: Header=BB4_4792 Depth=3
	s_or_b32 exec_lo, exec_lo, s72
	s_and_b32 s23, s23, exec_lo
	s_or_saveexec_b32 s16, s16
	v_mov_b32_e32 v4, 0x7f800001
	s_xor_b32 exec_lo, exec_lo, s16
	s_cbranch_execnz .LBB4_6015
.LBB4_5572:                             ;   in Loop: Header=BB4_4792 Depth=3
	s_or_b32 exec_lo, exec_lo, s16
	s_and_saveexec_b32 s16, s23
	s_cbranch_execz .LBB4_5574
.LBB4_5573:                             ;   in Loop: Header=BB4_4792 Depth=3
	v_and_b32_e32 v4, 3, v1
	v_bfe_u32 v5, v1, 2, 5
	v_ffbh_u32_e32 v16, v4
	v_cmp_eq_u32_e32 vcc_lo, 0, v5
	v_min_u32_e32 v16, 32, v16
	v_subrev_nc_u32_e32 v17, 29, v16
	v_sub_nc_u32_e32 v16, 30, v16
	v_lshlrev_b32_e32 v17, v17, v1
	v_cndmask_b32_e32 v5, v5, v16, vcc_lo
	v_lshlrev_b32_e32 v16, 24, v1
	v_and_b32_e32 v17, 3, v17
	v_lshl_add_u32 v5, v5, 23, 0x37800000
	v_and_b32_e32 v16, 0x80000000, v16
	v_cndmask_b32_e32 v4, v4, v17, vcc_lo
	v_lshlrev_b32_e32 v4, 21, v4
	v_or3_b32 v4, v16, v5, v4
.LBB4_5574:                             ;   in Loop: Header=BB4_4792 Depth=3
	s_or_b32 exec_lo, exec_lo, s16
	s_waitcnt vmcnt(0)
	v_cmp_gt_i16_sdwa s16, v8, v100 src0_sel:BYTE_0 src1_sel:DWORD
	s_mov_b32 s23, 0
	s_and_saveexec_b32 s72, s16
	s_xor_b32 s16, exec_lo, s72
	s_cbranch_execz .LBB4_6016
; %bb.5575:                             ;   in Loop: Header=BB4_4792 Depth=3
	v_cmp_eq_u16_sdwa s73, v8, v101 src0_sel:BYTE_0 src1_sel:DWORD
	s_mov_b32 s23, -1
	s_and_saveexec_b32 s72, s73
; %bb.5576:                             ;   in Loop: Header=BB4_4792 Depth=3
	s_xor_b32 s23, exec_lo, -1
; %bb.5577:                             ;   in Loop: Header=BB4_4792 Depth=3
	s_or_b32 exec_lo, exec_lo, s72
	s_and_b32 s23, s23, exec_lo
	s_or_saveexec_b32 s16, s16
	v_mov_b32_e32 v5, 0x7f800001
	s_xor_b32 exec_lo, exec_lo, s16
	s_cbranch_execnz .LBB4_6017
.LBB4_5578:                             ;   in Loop: Header=BB4_4792 Depth=3
	s_or_b32 exec_lo, exec_lo, s16
	s_and_saveexec_b32 s16, s23
	s_cbranch_execz .LBB4_5580
.LBB4_5579:                             ;   in Loop: Header=BB4_4792 Depth=3
	v_and_b32_e32 v5, 3, v8
	v_bfe_u32 v16, v8, 2, 5
	v_ffbh_u32_e32 v17, v5
	v_cmp_eq_u32_e32 vcc_lo, 0, v16
	v_min_u32_e32 v17, 32, v17
	v_subrev_nc_u32_e32 v20, 29, v17
	v_sub_nc_u32_e32 v17, 30, v17
	v_lshlrev_b32_e32 v20, v20, v8
	v_cndmask_b32_e32 v16, v16, v17, vcc_lo
	v_lshlrev_b32_e32 v17, 24, v8
	v_and_b32_e32 v20, 3, v20
	v_lshl_add_u32 v16, v16, 23, 0x37800000
	v_and_b32_e32 v17, 0x80000000, v17
	v_cndmask_b32_e32 v5, v5, v20, vcc_lo
	v_lshlrev_b32_e32 v5, 21, v5
	v_or3_b32 v5, v17, v16, v5
.LBB4_5580:                             ;   in Loop: Header=BB4_4792 Depth=3
	s_or_b32 exec_lo, exec_lo, s16
	v_add_f32_e32 v4, v4, v5
	v_mov_b32_e32 v16, 0x80
	s_mov_b32 s23, exec_lo
	v_and_b32_e32 v5, 0x7f800000, v4
	v_cmpx_ne_u32_e32 0x7f800000, v5
	s_cbranch_execz .LBB4_5588
; %bb.5581:                             ;   in Loop: Header=BB4_4792 Depth=3
	v_mov_b32_e32 v16, 0
	s_mov_b32 s72, exec_lo
	v_cmpx_ne_u32_e32 0, v4
	s_cbranch_execz .LBB4_5587
; %bb.5582:                             ;   in Loop: Header=BB4_4792 Depth=3
	v_bfe_u32 v16, v4, 23, 8
	v_and_b32_e32 v5, 0x7fffff, v4
	v_cmp_gt_u32_e64 s16, 0x71, v16
	v_sub_nc_u32_e32 v17, 0x70, v16
	v_cmp_eq_u32_e32 vcc_lo, 0, v16
	v_or_b32_e32 v20, 0x800000, v5
	v_cndmask_b32_e64 v17, 0, v17, s16
	v_cndmask_b32_e32 v5, v20, v5, vcc_lo
	v_cndmask_b32_e64 v17, v17, 0x6f, vcc_lo
	v_lshl_add_u32 v20, 0x200000, v17, -1
	v_lshlrev_b32_e64 v21, v17, 0x100000
	v_and_b32_e32 v20, v20, v5
	v_cmp_eq_u32_e64 s16, v20, v21
	v_lshrrev_b32_e32 v20, v17, v5
	v_add_nc_u32_e32 v5, 0xffffff91, v16
	v_lshrrev_b32_e32 v16, 23, v20
	v_cndmask_b32_e64 v5, v5, 0xffffff92, vcc_lo
	v_xor_b32_e32 v16, 1, v16
	v_add_nc_u32_e32 v5, v17, v5
	v_bfe_u32 v17, v20, 21, 1
	v_add_nc_u32_e32 v17, -1, v17
	v_cndmask_b32_e64 v17, 0, v17, s16
	s_mov_b32 s16, exec_lo
	v_add_nc_u32_e32 v17, v17, v20
	v_and_b32_e32 v17, 0x1fffff, v17
	v_add_nc_u32_e32 v17, v17, v20
                                        ; implicit-def: $vgpr20
	v_cmpx_ne_u32_e64 v5, v16
	s_xor_b32 s16, exec_lo, s16
; %bb.5583:                             ;   in Loop: Header=BB4_4792 Depth=3
	v_cmp_lt_u32_e32 vcc_lo, 0xffffff, v17
	v_sub_nc_u32_e32 v5, v5, v16
	v_cndmask_b32_e64 v16, 0, 1, vcc_lo
	v_add_co_ci_u32_e64 v20, null, 0, v5, vcc_lo
	v_lshrrev_b32_e32 v17, v16, v17
; %bb.5584:                             ;   in Loop: Header=BB4_4792 Depth=3
	s_andn2_saveexec_b32 s16, s16
; %bb.5585:                             ;   in Loop: Header=BB4_4792 Depth=3
	v_bfe_u32 v20, v17, 23, 1
; %bb.5586:                             ;   in Loop: Header=BB4_4792 Depth=3
	s_or_b32 exec_lo, exec_lo, s16
	v_lshrrev_b32_e32 v5, 21, v17
	v_min_i32_e32 v16, 31, v20
	v_cmp_gt_i32_e32 vcc_lo, 32, v20
	v_and_b32_sdwa v4, v4, v101 dst_sel:DWORD dst_unused:UNUSED_PAD src0_sel:BYTE_3 src1_sel:DWORD
	v_lshlrev_b32_e32 v16, 2, v16
	v_cndmask_b32_e32 v5, 3, v5, vcc_lo
	v_and_b32_e32 v16, 0xfc, v16
	v_or_b32_e32 v17, v20, v5
	v_and_b32_e32 v5, 3, v5
	v_cmp_ne_u32_e32 vcc_lo, 0, v17
	v_or3_b32 v4, v16, v4, v5
	v_cndmask_b32_e32 v16, 0, v4, vcc_lo
.LBB4_5587:                             ;   in Loop: Header=BB4_4792 Depth=3
	s_or_b32 exec_lo, exec_lo, s72
.LBB4_5588:                             ;   in Loop: Header=BB4_4792 Depth=3
	s_or_b32 exec_lo, exec_lo, s23
	v_cmp_gt_i16_sdwa s23, v1, v100 src0_sel:BYTE_1 src1_sel:DWORD
	s_mov_b32 s16, 0
	s_and_saveexec_b32 s72, s23
	s_xor_b32 s23, exec_lo, s72
	s_cbranch_execz .LBB4_6018
; %bb.5589:                             ;   in Loop: Header=BB4_4792 Depth=3
	v_cmp_eq_u16_sdwa s73, v1, v101 src0_sel:BYTE_1 src1_sel:DWORD
	s_mov_b32 s16, -1
	s_and_saveexec_b32 s72, s73
; %bb.5590:                             ;   in Loop: Header=BB4_4792 Depth=3
	s_xor_b32 s16, exec_lo, -1
; %bb.5591:                             ;   in Loop: Header=BB4_4792 Depth=3
	s_or_b32 exec_lo, exec_lo, s72
	s_and_b32 s16, s16, exec_lo
	s_or_saveexec_b32 s23, s23
	v_mov_b32_e32 v4, 0x7f800001
	s_xor_b32 exec_lo, exec_lo, s23
	s_cbranch_execnz .LBB4_6019
.LBB4_5592:                             ;   in Loop: Header=BB4_4792 Depth=3
	s_or_b32 exec_lo, exec_lo, s23
	s_and_saveexec_b32 s23, s16
	s_cbranch_execz .LBB4_5594
.LBB4_5593:                             ;   in Loop: Header=BB4_4792 Depth=3
	v_and_b32_sdwa v4, v102, v1 dst_sel:DWORD dst_unused:UNUSED_PAD src0_sel:DWORD src1_sel:BYTE_1
	v_and_b32_e32 v5, 3, v4
	v_bfe_u32 v21, v4, 2, 5
	v_ffbh_u32_e32 v17, v5
	v_cmp_eq_u32_e32 vcc_lo, 0, v21
	v_min_u32_e32 v17, 32, v17
	v_subrev_nc_u32_e32 v20, 29, v17
	v_sub_nc_u32_e32 v17, 30, v17
	v_lshlrev_b32_e32 v4, v20, v4
	v_lshlrev_b32_sdwa v20, v103, v1 dst_sel:DWORD dst_unused:UNUSED_PAD src0_sel:DWORD src1_sel:BYTE_1
	v_cndmask_b32_e32 v17, v21, v17, vcc_lo
	v_and_b32_e32 v4, 3, v4
	v_lshl_add_u32 v17, v17, 23, 0x37800000
	v_cndmask_b32_e32 v4, v5, v4, vcc_lo
	v_and_b32_e32 v5, 0x80000000, v20
	v_lshlrev_b32_e32 v4, 21, v4
	v_or3_b32 v4, v5, v17, v4
.LBB4_5594:                             ;   in Loop: Header=BB4_4792 Depth=3
	s_or_b32 exec_lo, exec_lo, s23
	v_cmp_gt_i16_sdwa s23, v8, v100 src0_sel:BYTE_1 src1_sel:DWORD
	s_mov_b32 s16, 0
	s_and_saveexec_b32 s72, s23
	s_xor_b32 s23, exec_lo, s72
	s_cbranch_execz .LBB4_6020
; %bb.5595:                             ;   in Loop: Header=BB4_4792 Depth=3
	v_cmp_eq_u16_sdwa s73, v8, v101 src0_sel:BYTE_1 src1_sel:DWORD
	s_mov_b32 s16, -1
	s_and_saveexec_b32 s72, s73
; %bb.5596:                             ;   in Loop: Header=BB4_4792 Depth=3
	s_xor_b32 s16, exec_lo, -1
; %bb.5597:                             ;   in Loop: Header=BB4_4792 Depth=3
	s_or_b32 exec_lo, exec_lo, s72
	s_and_b32 s16, s16, exec_lo
	s_or_saveexec_b32 s23, s23
	v_mov_b32_e32 v5, 0x7f800001
	s_xor_b32 exec_lo, exec_lo, s23
	s_cbranch_execnz .LBB4_6021
.LBB4_5598:                             ;   in Loop: Header=BB4_4792 Depth=3
	s_or_b32 exec_lo, exec_lo, s23
	s_and_saveexec_b32 s23, s16
	s_cbranch_execz .LBB4_5600
.LBB4_5599:                             ;   in Loop: Header=BB4_4792 Depth=3
	v_and_b32_sdwa v5, v102, v8 dst_sel:DWORD dst_unused:UNUSED_PAD src0_sel:DWORD src1_sel:BYTE_1
	v_and_b32_e32 v17, 3, v5
	v_bfe_u32 v31, v5, 2, 5
	v_ffbh_u32_e32 v20, v17
	v_cmp_eq_u32_e32 vcc_lo, 0, v31
	v_min_u32_e32 v20, 32, v20
	v_subrev_nc_u32_e32 v21, 29, v20
	v_sub_nc_u32_e32 v20, 30, v20
	v_lshlrev_b32_e32 v5, v21, v5
	v_lshlrev_b32_sdwa v21, v103, v8 dst_sel:DWORD dst_unused:UNUSED_PAD src0_sel:DWORD src1_sel:BYTE_1
	v_cndmask_b32_e32 v20, v31, v20, vcc_lo
	v_and_b32_e32 v5, 3, v5
	v_lshl_add_u32 v20, v20, 23, 0x37800000
	v_cndmask_b32_e32 v5, v17, v5, vcc_lo
	v_and_b32_e32 v17, 0x80000000, v21
	v_lshlrev_b32_e32 v5, 21, v5
	v_or3_b32 v5, v17, v20, v5
.LBB4_5600:                             ;   in Loop: Header=BB4_4792 Depth=3
	s_or_b32 exec_lo, exec_lo, s23
	v_add_f32_e32 v4, v4, v5
	v_mov_b32_e32 v17, 0x8000
	s_mov_b32 s23, exec_lo
	v_and_b32_e32 v5, 0x7f800000, v4
	v_cmpx_ne_u32_e32 0x7f800000, v5
	s_cbranch_execz .LBB4_5608
; %bb.5601:                             ;   in Loop: Header=BB4_4792 Depth=3
	v_mov_b32_e32 v17, 0
	s_mov_b32 s72, exec_lo
	v_cmpx_ne_u32_e32 0, v4
	s_cbranch_execz .LBB4_5607
; %bb.5602:                             ;   in Loop: Header=BB4_4792 Depth=3
	v_bfe_u32 v17, v4, 23, 8
	v_and_b32_e32 v5, 0x7fffff, v4
	v_cmp_gt_u32_e64 s16, 0x71, v17
	v_sub_nc_u32_e32 v20, 0x70, v17
	v_cmp_eq_u32_e32 vcc_lo, 0, v17
	v_or_b32_e32 v21, 0x800000, v5
	v_cndmask_b32_e64 v20, 0, v20, s16
	v_cndmask_b32_e32 v5, v21, v5, vcc_lo
	v_cndmask_b32_e64 v20, v20, 0x6f, vcc_lo
	v_lshl_add_u32 v21, 0x200000, v20, -1
	v_lshlrev_b32_e64 v31, v20, 0x100000
	v_and_b32_e32 v21, v21, v5
	v_cmp_eq_u32_e64 s16, v21, v31
	v_lshrrev_b32_e32 v21, v20, v5
	v_add_nc_u32_e32 v5, 0xffffff91, v17
	v_lshrrev_b32_e32 v17, 23, v21
	v_cndmask_b32_e64 v5, v5, 0xffffff92, vcc_lo
	v_xor_b32_e32 v17, 1, v17
	v_add_nc_u32_e32 v5, v20, v5
	v_bfe_u32 v20, v21, 21, 1
	v_add_nc_u32_e32 v20, -1, v20
	v_cndmask_b32_e64 v20, 0, v20, s16
	s_mov_b32 s16, exec_lo
	v_add_nc_u32_e32 v20, v20, v21
	v_and_b32_e32 v20, 0x1fffff, v20
	v_add_nc_u32_e32 v20, v20, v21
                                        ; implicit-def: $vgpr21
	v_cmpx_ne_u32_e64 v5, v17
	s_xor_b32 s16, exec_lo, s16
; %bb.5603:                             ;   in Loop: Header=BB4_4792 Depth=3
	v_cmp_lt_u32_e32 vcc_lo, 0xffffff, v20
	v_sub_nc_u32_e32 v5, v5, v17
	v_cndmask_b32_e64 v17, 0, 1, vcc_lo
	v_add_co_ci_u32_e64 v21, null, 0, v5, vcc_lo
	v_lshrrev_b32_e32 v20, v17, v20
; %bb.5604:                             ;   in Loop: Header=BB4_4792 Depth=3
	s_andn2_saveexec_b32 s16, s16
; %bb.5605:                             ;   in Loop: Header=BB4_4792 Depth=3
	v_bfe_u32 v21, v20, 23, 1
; %bb.5606:                             ;   in Loop: Header=BB4_4792 Depth=3
	s_or_b32 exec_lo, exec_lo, s16
	v_lshrrev_b32_e32 v5, 21, v20
	v_min_i32_e32 v17, 31, v21
	v_cmp_gt_i32_e32 vcc_lo, 32, v21
	v_and_b32_sdwa v4, v4, v101 dst_sel:DWORD dst_unused:UNUSED_PAD src0_sel:BYTE_3 src1_sel:DWORD
	v_lshlrev_b32_e32 v17, 2, v17
	v_cndmask_b32_e32 v5, 3, v5, vcc_lo
	v_and_b32_e32 v17, 0xfc, v17
	v_or_b32_e32 v20, v21, v5
	v_and_b32_e32 v5, 3, v5
	v_cmp_ne_u32_e32 vcc_lo, 0, v20
	v_or3_b32 v4, v4, v17, v5
	v_lshlrev_b32_e32 v4, 8, v4
	v_cndmask_b32_e32 v17, 0, v4, vcc_lo
.LBB4_5607:                             ;   in Loop: Header=BB4_4792 Depth=3
	s_or_b32 exec_lo, exec_lo, s72
.LBB4_5608:                             ;   in Loop: Header=BB4_4792 Depth=3
	s_or_b32 exec_lo, exec_lo, s23
	v_or_b32_e32 v5, v106, v105
	s_mov_b32 s23, 0
	v_cmp_gt_i16_sdwa s16, v5, v100 src0_sel:BYTE_0 src1_sel:DWORD
	s_and_saveexec_b32 s72, s16
	s_xor_b32 s16, exec_lo, s72
	s_cbranch_execz .LBB4_6022
; %bb.5609:                             ;   in Loop: Header=BB4_4792 Depth=3
	v_cmp_eq_u16_sdwa s73, v5, v101 src0_sel:BYTE_0 src1_sel:DWORD
	s_mov_b32 s23, -1
	s_and_saveexec_b32 s72, s73
; %bb.5610:                             ;   in Loop: Header=BB4_4792 Depth=3
	s_xor_b32 s23, exec_lo, -1
; %bb.5611:                             ;   in Loop: Header=BB4_4792 Depth=3
	s_or_b32 exec_lo, exec_lo, s72
	s_and_b32 s23, s23, exec_lo
	s_or_saveexec_b32 s16, s16
	v_mov_b32_e32 v4, 0x7f800001
	s_xor_b32 exec_lo, exec_lo, s16
	s_cbranch_execnz .LBB4_6023
.LBB4_5612:                             ;   in Loop: Header=BB4_4792 Depth=3
	s_or_b32 exec_lo, exec_lo, s16
	v_lshl_or_b32 v1, v5, 16, v1
	s_and_saveexec_b32 s16, s23
	s_cbranch_execz .LBB4_5614
.LBB4_5613:                             ;   in Loop: Header=BB4_4792 Depth=3
	v_bfe_u32 v4, v1, 16, 2
	v_bfe_u32 v5, v1, 18, 5
	v_ffbh_u32_e32 v20, v4
	v_cmp_eq_u32_e32 vcc_lo, 0, v5
	v_min_u32_e32 v20, 32, v20
	v_subrev_nc_u32_e32 v21, 29, v20
	v_sub_nc_u32_e32 v20, 30, v20
	v_lshlrev_b32_sdwa v21, v21, v1 dst_sel:DWORD dst_unused:UNUSED_PAD src0_sel:DWORD src1_sel:WORD_1
	v_cndmask_b32_e32 v5, v5, v20, vcc_lo
	v_lshlrev_b32_e32 v20, 8, v1
	v_and_b32_e32 v21, 3, v21
	v_lshl_add_u32 v5, v5, 23, 0x37800000
	v_and_b32_e32 v20, 0x80000000, v20
	v_cndmask_b32_e32 v4, v4, v21, vcc_lo
	v_lshlrev_b32_e32 v4, 21, v4
	v_or3_b32 v4, v20, v5, v4
.LBB4_5614:                             ;   in Loop: Header=BB4_4792 Depth=3
	s_or_b32 exec_lo, exec_lo, s16
	v_and_b32_sdwa v20, v8, v112 dst_sel:DWORD dst_unused:UNUSED_PAD src0_sel:WORD_1 src1_sel:DWORD
	s_mov_b32 s23, 0
	s_mov_b32 s16, exec_lo
	v_cmpx_lt_i16_e32 0x7f, v20
	s_xor_b32 s16, exec_lo, s16
	s_cbranch_execz .LBB4_6024
; %bb.5615:                             ;   in Loop: Header=BB4_4792 Depth=3
	s_mov_b32 s23, -1
	s_mov_b32 s72, exec_lo
	v_cmpx_eq_u16_e32 0x80, v20
; %bb.5616:                             ;   in Loop: Header=BB4_4792 Depth=3
	s_xor_b32 s23, exec_lo, -1
; %bb.5617:                             ;   in Loop: Header=BB4_4792 Depth=3
	s_or_b32 exec_lo, exec_lo, s72
	s_and_b32 s23, s23, exec_lo
                                        ; implicit-def: $vgpr20
	s_or_saveexec_b32 s16, s16
	v_mov_b32_e32 v5, 0x7f800001
	s_xor_b32 exec_lo, exec_lo, s16
	s_cbranch_execnz .LBB4_6025
.LBB4_5618:                             ;   in Loop: Header=BB4_4792 Depth=3
	s_or_b32 exec_lo, exec_lo, s16
	s_and_saveexec_b32 s16, s23
	s_cbranch_execz .LBB4_5620
.LBB4_5619:                             ;   in Loop: Header=BB4_4792 Depth=3
	v_bfe_u32 v5, v8, 16, 2
	v_bfe_u32 v20, v8, 18, 5
	v_ffbh_u32_e32 v21, v5
	v_cmp_eq_u32_e32 vcc_lo, 0, v20
	v_min_u32_e32 v21, 32, v21
	v_subrev_nc_u32_e32 v31, 29, v21
	v_sub_nc_u32_e32 v21, 30, v21
	v_lshlrev_b32_sdwa v31, v31, v8 dst_sel:DWORD dst_unused:UNUSED_PAD src0_sel:DWORD src1_sel:WORD_1
	v_cndmask_b32_e32 v20, v20, v21, vcc_lo
	v_lshlrev_b32_e32 v21, 8, v8
	v_and_b32_e32 v31, 3, v31
	v_lshl_add_u32 v20, v20, 23, 0x37800000
	v_and_b32_e32 v21, 0x80000000, v21
	v_cndmask_b32_e32 v5, v5, v31, vcc_lo
	v_lshlrev_b32_e32 v5, 21, v5
	v_or3_b32 v5, v21, v20, v5
.LBB4_5620:                             ;   in Loop: Header=BB4_4792 Depth=3
	s_or_b32 exec_lo, exec_lo, s16
	v_add_f32_e32 v4, v4, v5
	v_mov_b32_e32 v20, 0x80
	s_mov_b32 s23, exec_lo
	v_and_b32_e32 v5, 0x7f800000, v4
	v_cmpx_ne_u32_e32 0x7f800000, v5
	s_cbranch_execz .LBB4_5628
; %bb.5621:                             ;   in Loop: Header=BB4_4792 Depth=3
	v_mov_b32_e32 v20, 0
	s_mov_b32 s72, exec_lo
	v_cmpx_ne_u32_e32 0, v4
	s_cbranch_execz .LBB4_5627
; %bb.5622:                             ;   in Loop: Header=BB4_4792 Depth=3
	v_bfe_u32 v20, v4, 23, 8
	v_and_b32_e32 v5, 0x7fffff, v4
	v_cmp_gt_u32_e64 s16, 0x71, v20
	v_sub_nc_u32_e32 v21, 0x70, v20
	v_cmp_eq_u32_e32 vcc_lo, 0, v20
	v_or_b32_e32 v31, 0x800000, v5
	v_cndmask_b32_e64 v21, 0, v21, s16
	v_cndmask_b32_e32 v5, v31, v5, vcc_lo
	v_cndmask_b32_e64 v21, v21, 0x6f, vcc_lo
	v_lshl_add_u32 v31, 0x200000, v21, -1
	v_lshlrev_b32_e64 v34, v21, 0x100000
	v_and_b32_e32 v31, v31, v5
	v_cmp_eq_u32_e64 s16, v31, v34
	v_lshrrev_b32_e32 v31, v21, v5
	v_add_nc_u32_e32 v5, 0xffffff91, v20
	v_lshrrev_b32_e32 v20, 23, v31
	v_cndmask_b32_e64 v5, v5, 0xffffff92, vcc_lo
	v_xor_b32_e32 v20, 1, v20
	v_add_nc_u32_e32 v5, v21, v5
	v_bfe_u32 v21, v31, 21, 1
	v_add_nc_u32_e32 v21, -1, v21
	v_cndmask_b32_e64 v21, 0, v21, s16
	s_mov_b32 s16, exec_lo
	v_add_nc_u32_e32 v21, v21, v31
	v_and_b32_e32 v21, 0x1fffff, v21
	v_add_nc_u32_e32 v21, v21, v31
                                        ; implicit-def: $vgpr31
	v_cmpx_ne_u32_e64 v5, v20
	s_xor_b32 s16, exec_lo, s16
; %bb.5623:                             ;   in Loop: Header=BB4_4792 Depth=3
	v_cmp_lt_u32_e32 vcc_lo, 0xffffff, v21
	v_sub_nc_u32_e32 v5, v5, v20
	v_cndmask_b32_e64 v20, 0, 1, vcc_lo
	v_add_co_ci_u32_e64 v31, null, 0, v5, vcc_lo
	v_lshrrev_b32_e32 v21, v20, v21
; %bb.5624:                             ;   in Loop: Header=BB4_4792 Depth=3
	s_andn2_saveexec_b32 s16, s16
; %bb.5625:                             ;   in Loop: Header=BB4_4792 Depth=3
	v_bfe_u32 v31, v21, 23, 1
; %bb.5626:                             ;   in Loop: Header=BB4_4792 Depth=3
	s_or_b32 exec_lo, exec_lo, s16
	v_lshrrev_b32_e32 v5, 21, v21
	v_min_i32_e32 v20, 31, v31
	v_cmp_gt_i32_e32 vcc_lo, 32, v31
	v_and_b32_sdwa v4, v4, v101 dst_sel:DWORD dst_unused:UNUSED_PAD src0_sel:BYTE_3 src1_sel:DWORD
	v_lshlrev_b32_e32 v20, 2, v20
	v_cndmask_b32_e32 v5, 3, v5, vcc_lo
	v_and_b32_e32 v20, 0xfc, v20
	v_or_b32_e32 v21, v31, v5
	v_and_b32_e32 v5, 3, v5
	v_cmp_ne_u32_e32 vcc_lo, 0, v21
	v_or3_b32 v4, v20, v4, v5
	v_cndmask_b32_e32 v20, 0, v4, vcc_lo
.LBB4_5627:                             ;   in Loop: Header=BB4_4792 Depth=3
	s_or_b32 exec_lo, exec_lo, s72
.LBB4_5628:                             ;   in Loop: Header=BB4_4792 Depth=3
	s_or_b32 exec_lo, exec_lo, s23
	v_cmp_gt_i16_sdwa s23, v1, v100 src0_sel:BYTE_3 src1_sel:DWORD
	s_mov_b32 s16, 0
	s_and_saveexec_b32 s72, s23
	s_xor_b32 s23, exec_lo, s72
	s_cbranch_execz .LBB4_6026
; %bb.5629:                             ;   in Loop: Header=BB4_4792 Depth=3
	v_cmp_eq_u16_sdwa s73, v1, v101 src0_sel:BYTE_3 src1_sel:DWORD
	s_mov_b32 s16, -1
	s_and_saveexec_b32 s72, s73
; %bb.5630:                             ;   in Loop: Header=BB4_4792 Depth=3
	s_xor_b32 s16, exec_lo, -1
; %bb.5631:                             ;   in Loop: Header=BB4_4792 Depth=3
	s_or_b32 exec_lo, exec_lo, s72
	s_and_b32 s16, s16, exec_lo
	s_or_saveexec_b32 s23, s23
	v_mov_b32_e32 v4, 0x7f800001
	s_xor_b32 exec_lo, exec_lo, s23
	s_cbranch_execnz .LBB4_6027
.LBB4_5632:                             ;   in Loop: Header=BB4_4792 Depth=3
	s_or_b32 exec_lo, exec_lo, s23
	s_and_saveexec_b32 s23, s16
	s_cbranch_execz .LBB4_5634
.LBB4_5633:                             ;   in Loop: Header=BB4_4792 Depth=3
	v_bfe_u32 v4, v1, 24, 2
	v_bfe_u32 v31, v1, 26, 5
	v_ffbh_u32_e32 v5, v4
	v_cmp_eq_u32_e32 vcc_lo, 0, v31
	v_min_u32_e32 v5, 32, v5
	v_subrev_nc_u32_e32 v21, 29, v5
	v_sub_nc_u32_e32 v5, 30, v5
	v_lshlrev_b32_sdwa v21, v21, v1 dst_sel:DWORD dst_unused:UNUSED_PAD src0_sel:DWORD src1_sel:BYTE_3
	v_cndmask_b32_e32 v5, v31, v5, vcc_lo
	v_and_b32_e32 v1, 0x80000000, v1
	v_and_b32_e32 v21, 3, v21
	v_lshl_add_u32 v5, v5, 23, 0x37800000
	v_cndmask_b32_e32 v4, v4, v21, vcc_lo
	v_lshlrev_b32_e32 v4, 21, v4
	v_or3_b32 v4, v1, v5, v4
.LBB4_5634:                             ;   in Loop: Header=BB4_4792 Depth=3
	s_or_b32 exec_lo, exec_lo, s23
	v_cmp_gt_i16_sdwa s23, v8, v100 src0_sel:BYTE_3 src1_sel:DWORD
	s_mov_b32 s16, 0
	s_and_saveexec_b32 s72, s23
	s_xor_b32 s23, exec_lo, s72
	s_cbranch_execz .LBB4_6028
; %bb.5635:                             ;   in Loop: Header=BB4_4792 Depth=3
	v_cmp_eq_u16_sdwa s73, v8, v101 src0_sel:BYTE_3 src1_sel:DWORD
	s_mov_b32 s16, -1
	s_and_saveexec_b32 s72, s73
; %bb.5636:                             ;   in Loop: Header=BB4_4792 Depth=3
	s_xor_b32 s16, exec_lo, -1
; %bb.5637:                             ;   in Loop: Header=BB4_4792 Depth=3
	s_or_b32 exec_lo, exec_lo, s72
	s_and_b32 s16, s16, exec_lo
	s_or_saveexec_b32 s23, s23
	v_mov_b32_e32 v1, 0x7f800001
	s_xor_b32 exec_lo, exec_lo, s23
	s_cbranch_execnz .LBB4_6029
.LBB4_5638:                             ;   in Loop: Header=BB4_4792 Depth=3
	s_or_b32 exec_lo, exec_lo, s23
	s_and_saveexec_b32 s23, s16
	s_cbranch_execz .LBB4_5640
.LBB4_5639:                             ;   in Loop: Header=BB4_4792 Depth=3
	v_bfe_u32 v1, v8, 24, 2
	v_bfe_u32 v31, v8, 26, 5
	v_ffbh_u32_e32 v5, v1
	v_cmp_eq_u32_e32 vcc_lo, 0, v31
	v_min_u32_e32 v5, 32, v5
	v_subrev_nc_u32_e32 v21, 29, v5
	v_sub_nc_u32_e32 v5, 30, v5
	v_lshlrev_b32_sdwa v21, v21, v8 dst_sel:DWORD dst_unused:UNUSED_PAD src0_sel:DWORD src1_sel:BYTE_3
	v_cndmask_b32_e32 v5, v31, v5, vcc_lo
	v_and_b32_e32 v8, 0x80000000, v8
	v_and_b32_e32 v21, 3, v21
	v_lshl_add_u32 v5, v5, 23, 0x37800000
	v_cndmask_b32_e32 v1, v1, v21, vcc_lo
	v_lshlrev_b32_e32 v1, 21, v1
	v_or3_b32 v1, v8, v5, v1
.LBB4_5640:                             ;   in Loop: Header=BB4_4792 Depth=3
	s_or_b32 exec_lo, exec_lo, s23
	v_add_f32_e32 v1, v4, v1
	v_mov_b32_e32 v8, 0x8000
	s_mov_b32 s23, exec_lo
	v_and_b32_e32 v4, 0x7f800000, v1
	v_cmpx_ne_u32_e32 0x7f800000, v4
	s_cbranch_execz .LBB4_5648
; %bb.5641:                             ;   in Loop: Header=BB4_4792 Depth=3
	v_mov_b32_e32 v8, 0
	s_mov_b32 s72, exec_lo
	v_cmpx_ne_u32_e32 0, v1
	s_cbranch_execz .LBB4_5647
; %bb.5642:                             ;   in Loop: Header=BB4_4792 Depth=3
	v_bfe_u32 v5, v1, 23, 8
	v_and_b32_e32 v4, 0x7fffff, v1
	v_cmp_gt_u32_e64 s16, 0x71, v5
	v_sub_nc_u32_e32 v8, 0x70, v5
	v_cmp_eq_u32_e32 vcc_lo, 0, v5
	v_or_b32_e32 v21, 0x800000, v4
	v_cndmask_b32_e64 v8, 0, v8, s16
	v_cndmask_b32_e32 v4, v21, v4, vcc_lo
	v_cndmask_b32_e64 v8, v8, 0x6f, vcc_lo
	v_lshl_add_u32 v21, 0x200000, v8, -1
	v_lshlrev_b32_e64 v31, v8, 0x100000
	v_and_b32_e32 v21, v21, v4
	v_cmp_eq_u32_e64 s16, v21, v31
	v_lshrrev_b32_e32 v21, v8, v4
	v_add_nc_u32_e32 v4, 0xffffff91, v5
	v_lshrrev_b32_e32 v5, 23, v21
	v_cndmask_b32_e64 v4, v4, 0xffffff92, vcc_lo
	v_xor_b32_e32 v5, 1, v5
	v_add_nc_u32_e32 v4, v8, v4
	v_bfe_u32 v8, v21, 21, 1
	v_add_nc_u32_e32 v8, -1, v8
	v_cndmask_b32_e64 v8, 0, v8, s16
	s_mov_b32 s16, exec_lo
	v_add_nc_u32_e32 v8, v8, v21
	v_and_b32_e32 v8, 0x1fffff, v8
	v_add_nc_u32_e32 v8, v8, v21
                                        ; implicit-def: $vgpr21
	v_cmpx_ne_u32_e64 v4, v5
	s_xor_b32 s16, exec_lo, s16
; %bb.5643:                             ;   in Loop: Header=BB4_4792 Depth=3
	v_cmp_lt_u32_e32 vcc_lo, 0xffffff, v8
	v_sub_nc_u32_e32 v4, v4, v5
	v_cndmask_b32_e64 v5, 0, 1, vcc_lo
	v_add_co_ci_u32_e64 v21, null, 0, v4, vcc_lo
	v_lshrrev_b32_e32 v8, v5, v8
; %bb.5644:                             ;   in Loop: Header=BB4_4792 Depth=3
	s_andn2_saveexec_b32 s16, s16
; %bb.5645:                             ;   in Loop: Header=BB4_4792 Depth=3
	v_bfe_u32 v21, v8, 23, 1
; %bb.5646:                             ;   in Loop: Header=BB4_4792 Depth=3
	s_or_b32 exec_lo, exec_lo, s16
	v_lshrrev_b32_e32 v4, 21, v8
	v_min_i32_e32 v5, 31, v21
	v_cmp_gt_i32_e32 vcc_lo, 32, v21
	v_and_b32_sdwa v1, v1, v101 dst_sel:DWORD dst_unused:UNUSED_PAD src0_sel:BYTE_3 src1_sel:DWORD
	v_lshlrev_b32_e32 v5, 2, v5
	v_cndmask_b32_e32 v4, 3, v4, vcc_lo
	v_and_b32_e32 v5, 0xfc, v5
	v_or_b32_e32 v8, v21, v4
	v_and_b32_e32 v4, 3, v4
	v_cmp_ne_u32_e32 vcc_lo, 0, v8
	v_or3_b32 v1, v1, v5, v4
	v_lshlrev_b32_e32 v1, 8, v1
	v_cndmask_b32_e32 v8, 0, v1, vcc_lo
.LBB4_5647:                             ;   in Loop: Header=BB4_4792 Depth=3
	s_or_b32 exec_lo, exec_lo, s72
.LBB4_5648:                             ;   in Loop: Header=BB4_4792 Depth=3
	s_or_b32 exec_lo, exec_lo, s23
	v_or_b32_e32 v1, v95, v94
	s_mov_b32 s23, 0
	v_cmp_gt_i16_sdwa s16, v1, v100 src0_sel:BYTE_0 src1_sel:DWORD
	s_and_saveexec_b32 s72, s16
	s_xor_b32 s16, exec_lo, s72
	s_cbranch_execz .LBB4_6030
; %bb.5649:                             ;   in Loop: Header=BB4_4792 Depth=3
	v_cmp_eq_u16_sdwa s73, v1, v101 src0_sel:BYTE_0 src1_sel:DWORD
	s_mov_b32 s23, -1
	s_and_saveexec_b32 s72, s73
; %bb.5650:                             ;   in Loop: Header=BB4_4792 Depth=3
	s_xor_b32 s23, exec_lo, -1
; %bb.5651:                             ;   in Loop: Header=BB4_4792 Depth=3
	s_or_b32 exec_lo, exec_lo, s72
	s_and_b32 s23, s23, exec_lo
	s_or_saveexec_b32 s16, s16
	v_mov_b32_e32 v4, 0x7f800001
	s_xor_b32 exec_lo, exec_lo, s16
	s_cbranch_execnz .LBB4_6031
.LBB4_5652:                             ;   in Loop: Header=BB4_4792 Depth=3
	s_or_b32 exec_lo, exec_lo, s16
	s_and_saveexec_b32 s16, s23
	s_cbranch_execz .LBB4_5654
.LBB4_5653:                             ;   in Loop: Header=BB4_4792 Depth=3
	v_and_b32_e32 v4, 3, v1
	v_bfe_u32 v5, v1, 2, 5
	v_ffbh_u32_e32 v21, v4
	v_cmp_eq_u32_e32 vcc_lo, 0, v5
	v_min_u32_e32 v21, 32, v21
	v_subrev_nc_u32_e32 v31, 29, v21
	v_sub_nc_u32_e32 v21, 30, v21
	v_lshlrev_b32_e32 v31, v31, v1
	v_cndmask_b32_e32 v5, v5, v21, vcc_lo
	v_lshlrev_b32_e32 v21, 24, v1
	v_and_b32_e32 v31, 3, v31
	v_lshl_add_u32 v5, v5, 23, 0x37800000
	v_and_b32_e32 v21, 0x80000000, v21
	v_cndmask_b32_e32 v4, v4, v31, vcc_lo
	v_lshlrev_b32_e32 v4, 21, v4
	v_or3_b32 v4, v21, v5, v4
.LBB4_5654:                             ;   in Loop: Header=BB4_4792 Depth=3
	s_or_b32 exec_lo, exec_lo, s16
	v_cmp_gt_i16_sdwa s16, v9, v100 src0_sel:BYTE_0 src1_sel:DWORD
	s_mov_b32 s23, 0
	s_and_saveexec_b32 s72, s16
	s_xor_b32 s16, exec_lo, s72
	s_cbranch_execz .LBB4_6032
; %bb.5655:                             ;   in Loop: Header=BB4_4792 Depth=3
	v_cmp_eq_u16_sdwa s73, v9, v101 src0_sel:BYTE_0 src1_sel:DWORD
	s_mov_b32 s23, -1
	s_and_saveexec_b32 s72, s73
; %bb.5656:                             ;   in Loop: Header=BB4_4792 Depth=3
	s_xor_b32 s23, exec_lo, -1
; %bb.5657:                             ;   in Loop: Header=BB4_4792 Depth=3
	s_or_b32 exec_lo, exec_lo, s72
	s_and_b32 s23, s23, exec_lo
	s_or_saveexec_b32 s16, s16
	v_mov_b32_e32 v5, 0x7f800001
	s_xor_b32 exec_lo, exec_lo, s16
	s_cbranch_execnz .LBB4_6033
.LBB4_5658:                             ;   in Loop: Header=BB4_4792 Depth=3
	s_or_b32 exec_lo, exec_lo, s16
	s_and_saveexec_b32 s16, s23
	s_cbranch_execz .LBB4_5660
.LBB4_5659:                             ;   in Loop: Header=BB4_4792 Depth=3
	v_and_b32_e32 v5, 3, v9
	v_bfe_u32 v21, v9, 2, 5
	v_ffbh_u32_e32 v31, v5
	v_cmp_eq_u32_e32 vcc_lo, 0, v21
	v_min_u32_e32 v31, 32, v31
	v_subrev_nc_u32_e32 v34, 29, v31
	v_sub_nc_u32_e32 v31, 30, v31
	v_lshlrev_b32_e32 v34, v34, v9
	v_cndmask_b32_e32 v21, v21, v31, vcc_lo
	v_lshlrev_b32_e32 v31, 24, v9
	v_and_b32_e32 v34, 3, v34
	v_lshl_add_u32 v21, v21, 23, 0x37800000
	v_and_b32_e32 v31, 0x80000000, v31
	v_cndmask_b32_e32 v5, v5, v34, vcc_lo
	v_lshlrev_b32_e32 v5, 21, v5
	v_or3_b32 v5, v31, v21, v5
.LBB4_5660:                             ;   in Loop: Header=BB4_4792 Depth=3
	s_or_b32 exec_lo, exec_lo, s16
	v_add_f32_e32 v4, v4, v5
	v_mov_b32_e32 v21, 0x80
	s_mov_b32 s23, exec_lo
	v_and_b32_e32 v5, 0x7f800000, v4
	v_cmpx_ne_u32_e32 0x7f800000, v5
	s_cbranch_execz .LBB4_5668
; %bb.5661:                             ;   in Loop: Header=BB4_4792 Depth=3
	v_mov_b32_e32 v21, 0
	s_mov_b32 s72, exec_lo
	v_cmpx_ne_u32_e32 0, v4
	s_cbranch_execz .LBB4_5667
; %bb.5662:                             ;   in Loop: Header=BB4_4792 Depth=3
	v_bfe_u32 v21, v4, 23, 8
	v_and_b32_e32 v5, 0x7fffff, v4
	v_cmp_gt_u32_e64 s16, 0x71, v21
	v_sub_nc_u32_e32 v31, 0x70, v21
	v_cmp_eq_u32_e32 vcc_lo, 0, v21
	v_or_b32_e32 v34, 0x800000, v5
	v_cndmask_b32_e64 v31, 0, v31, s16
	v_cndmask_b32_e32 v5, v34, v5, vcc_lo
	v_cndmask_b32_e64 v31, v31, 0x6f, vcc_lo
	v_lshl_add_u32 v34, 0x200000, v31, -1
	v_lshlrev_b32_e64 v35, v31, 0x100000
	v_and_b32_e32 v34, v34, v5
	v_cmp_eq_u32_e64 s16, v34, v35
	v_lshrrev_b32_e32 v34, v31, v5
	v_add_nc_u32_e32 v5, 0xffffff91, v21
	v_lshrrev_b32_e32 v21, 23, v34
	v_cndmask_b32_e64 v5, v5, 0xffffff92, vcc_lo
	v_xor_b32_e32 v21, 1, v21
	v_add_nc_u32_e32 v5, v31, v5
	v_bfe_u32 v31, v34, 21, 1
	v_add_nc_u32_e32 v31, -1, v31
	v_cndmask_b32_e64 v31, 0, v31, s16
	s_mov_b32 s16, exec_lo
	v_add_nc_u32_e32 v31, v31, v34
	v_and_b32_e32 v31, 0x1fffff, v31
	v_add_nc_u32_e32 v31, v31, v34
                                        ; implicit-def: $vgpr34
	v_cmpx_ne_u32_e64 v5, v21
	s_xor_b32 s16, exec_lo, s16
; %bb.5663:                             ;   in Loop: Header=BB4_4792 Depth=3
	v_cmp_lt_u32_e32 vcc_lo, 0xffffff, v31
	v_sub_nc_u32_e32 v5, v5, v21
	v_cndmask_b32_e64 v21, 0, 1, vcc_lo
	v_add_co_ci_u32_e64 v34, null, 0, v5, vcc_lo
	v_lshrrev_b32_e32 v31, v21, v31
; %bb.5664:                             ;   in Loop: Header=BB4_4792 Depth=3
	s_andn2_saveexec_b32 s16, s16
; %bb.5665:                             ;   in Loop: Header=BB4_4792 Depth=3
	v_bfe_u32 v34, v31, 23, 1
; %bb.5666:                             ;   in Loop: Header=BB4_4792 Depth=3
	s_or_b32 exec_lo, exec_lo, s16
	v_lshrrev_b32_e32 v5, 21, v31
	v_min_i32_e32 v21, 31, v34
	v_cmp_gt_i32_e32 vcc_lo, 32, v34
	v_and_b32_sdwa v4, v4, v101 dst_sel:DWORD dst_unused:UNUSED_PAD src0_sel:BYTE_3 src1_sel:DWORD
	v_lshlrev_b32_e32 v21, 2, v21
	v_cndmask_b32_e32 v5, 3, v5, vcc_lo
	v_and_b32_e32 v21, 0xfc, v21
	v_or_b32_e32 v31, v34, v5
	v_and_b32_e32 v5, 3, v5
	v_cmp_ne_u32_e32 vcc_lo, 0, v31
	v_or3_b32 v4, v21, v4, v5
	v_cndmask_b32_e32 v21, 0, v4, vcc_lo
.LBB4_5667:                             ;   in Loop: Header=BB4_4792 Depth=3
	s_or_b32 exec_lo, exec_lo, s72
.LBB4_5668:                             ;   in Loop: Header=BB4_4792 Depth=3
	s_or_b32 exec_lo, exec_lo, s23
	v_cmp_gt_i16_sdwa s23, v1, v100 src0_sel:BYTE_1 src1_sel:DWORD
	s_mov_b32 s16, 0
	s_and_saveexec_b32 s72, s23
	s_xor_b32 s23, exec_lo, s72
	s_cbranch_execz .LBB4_6034
; %bb.5669:                             ;   in Loop: Header=BB4_4792 Depth=3
	v_cmp_eq_u16_sdwa s73, v1, v101 src0_sel:BYTE_1 src1_sel:DWORD
	s_mov_b32 s16, -1
	s_and_saveexec_b32 s72, s73
; %bb.5670:                             ;   in Loop: Header=BB4_4792 Depth=3
	s_xor_b32 s16, exec_lo, -1
; %bb.5671:                             ;   in Loop: Header=BB4_4792 Depth=3
	s_or_b32 exec_lo, exec_lo, s72
	s_and_b32 s16, s16, exec_lo
	s_or_saveexec_b32 s23, s23
	v_mov_b32_e32 v4, 0x7f800001
	s_xor_b32 exec_lo, exec_lo, s23
	s_cbranch_execnz .LBB4_6035
.LBB4_5672:                             ;   in Loop: Header=BB4_4792 Depth=3
	s_or_b32 exec_lo, exec_lo, s23
	s_and_saveexec_b32 s23, s16
	s_cbranch_execz .LBB4_5674
.LBB4_5673:                             ;   in Loop: Header=BB4_4792 Depth=3
	v_and_b32_sdwa v4, v102, v1 dst_sel:DWORD dst_unused:UNUSED_PAD src0_sel:DWORD src1_sel:BYTE_1
	v_and_b32_e32 v5, 3, v4
	v_bfe_u32 v35, v4, 2, 5
	v_ffbh_u32_e32 v31, v5
	v_cmp_eq_u32_e32 vcc_lo, 0, v35
	v_min_u32_e32 v31, 32, v31
	v_subrev_nc_u32_e32 v34, 29, v31
	v_sub_nc_u32_e32 v31, 30, v31
	v_lshlrev_b32_e32 v4, v34, v4
	v_lshlrev_b32_sdwa v34, v103, v1 dst_sel:DWORD dst_unused:UNUSED_PAD src0_sel:DWORD src1_sel:BYTE_1
	v_cndmask_b32_e32 v31, v35, v31, vcc_lo
	v_and_b32_e32 v4, 3, v4
	v_lshl_add_u32 v31, v31, 23, 0x37800000
	v_cndmask_b32_e32 v4, v5, v4, vcc_lo
	v_and_b32_e32 v5, 0x80000000, v34
	v_lshlrev_b32_e32 v4, 21, v4
	v_or3_b32 v4, v5, v31, v4
.LBB4_5674:                             ;   in Loop: Header=BB4_4792 Depth=3
	s_or_b32 exec_lo, exec_lo, s23
	v_cmp_gt_i16_sdwa s23, v9, v100 src0_sel:BYTE_1 src1_sel:DWORD
	s_mov_b32 s16, 0
	s_and_saveexec_b32 s72, s23
	s_xor_b32 s23, exec_lo, s72
	s_cbranch_execz .LBB4_6036
; %bb.5675:                             ;   in Loop: Header=BB4_4792 Depth=3
	v_cmp_eq_u16_sdwa s73, v9, v101 src0_sel:BYTE_1 src1_sel:DWORD
	s_mov_b32 s16, -1
	s_and_saveexec_b32 s72, s73
; %bb.5676:                             ;   in Loop: Header=BB4_4792 Depth=3
	s_xor_b32 s16, exec_lo, -1
; %bb.5677:                             ;   in Loop: Header=BB4_4792 Depth=3
	s_or_b32 exec_lo, exec_lo, s72
	s_and_b32 s16, s16, exec_lo
	s_or_saveexec_b32 s23, s23
	v_mov_b32_e32 v5, 0x7f800001
	s_xor_b32 exec_lo, exec_lo, s23
	s_cbranch_execnz .LBB4_6037
.LBB4_5678:                             ;   in Loop: Header=BB4_4792 Depth=3
	s_or_b32 exec_lo, exec_lo, s23
	s_and_saveexec_b32 s23, s16
	s_cbranch_execz .LBB4_5680
.LBB4_5679:                             ;   in Loop: Header=BB4_4792 Depth=3
	v_and_b32_sdwa v5, v102, v9 dst_sel:DWORD dst_unused:UNUSED_PAD src0_sel:DWORD src1_sel:BYTE_1
	v_and_b32_e32 v31, 3, v5
	v_bfe_u32 v36, v5, 2, 5
	v_ffbh_u32_e32 v34, v31
	v_cmp_eq_u32_e32 vcc_lo, 0, v36
	v_min_u32_e32 v34, 32, v34
	v_subrev_nc_u32_e32 v35, 29, v34
	v_sub_nc_u32_e32 v34, 30, v34
	v_lshlrev_b32_e32 v5, v35, v5
	v_lshlrev_b32_sdwa v35, v103, v9 dst_sel:DWORD dst_unused:UNUSED_PAD src0_sel:DWORD src1_sel:BYTE_1
	v_cndmask_b32_e32 v34, v36, v34, vcc_lo
	v_and_b32_e32 v5, 3, v5
	v_lshl_add_u32 v34, v34, 23, 0x37800000
	v_cndmask_b32_e32 v5, v31, v5, vcc_lo
	v_and_b32_e32 v31, 0x80000000, v35
	v_lshlrev_b32_e32 v5, 21, v5
	v_or3_b32 v5, v31, v34, v5
.LBB4_5680:                             ;   in Loop: Header=BB4_4792 Depth=3
	s_or_b32 exec_lo, exec_lo, s23
	v_add_f32_e32 v5, v4, v5
	v_and_b32_e32 v4, 0x7f800000, v5
	v_cmp_ne_u32_e32 vcc_lo, 0x7f800000, v4
	v_mov_b32_e32 v4, 0x8000
	s_and_saveexec_b32 s23, vcc_lo
	s_cbranch_execz .LBB4_5688
; %bb.5681:                             ;   in Loop: Header=BB4_4792 Depth=3
	v_mov_b32_e32 v4, 0
	s_mov_b32 s72, exec_lo
	v_cmpx_ne_u32_e32 0, v5
	s_cbranch_execz .LBB4_5687
; %bb.5682:                             ;   in Loop: Header=BB4_4792 Depth=3
	v_bfe_u32 v31, v5, 23, 8
	v_and_b32_e32 v4, 0x7fffff, v5
	v_cmp_gt_u32_e64 s16, 0x71, v31
	v_sub_nc_u32_e32 v34, 0x70, v31
	v_cmp_eq_u32_e32 vcc_lo, 0, v31
	v_or_b32_e32 v35, 0x800000, v4
	v_cndmask_b32_e64 v34, 0, v34, s16
	v_cndmask_b32_e32 v4, v35, v4, vcc_lo
	v_cndmask_b32_e64 v34, v34, 0x6f, vcc_lo
	v_lshl_add_u32 v35, 0x200000, v34, -1
	v_lshlrev_b32_e64 v36, v34, 0x100000
	v_and_b32_e32 v35, v35, v4
	v_cmp_eq_u32_e64 s16, v35, v36
	v_lshrrev_b32_e32 v35, v34, v4
	v_add_nc_u32_e32 v4, 0xffffff91, v31
	v_lshrrev_b32_e32 v31, 23, v35
	v_cndmask_b32_e64 v4, v4, 0xffffff92, vcc_lo
	v_xor_b32_e32 v31, 1, v31
	v_add_nc_u32_e32 v4, v34, v4
	v_bfe_u32 v34, v35, 21, 1
	v_add_nc_u32_e32 v34, -1, v34
	v_cndmask_b32_e64 v34, 0, v34, s16
	s_mov_b32 s16, exec_lo
	v_add_nc_u32_e32 v34, v34, v35
	v_and_b32_e32 v34, 0x1fffff, v34
	v_add_nc_u32_e32 v34, v34, v35
                                        ; implicit-def: $vgpr35
	v_cmpx_ne_u32_e64 v4, v31
	s_xor_b32 s16, exec_lo, s16
; %bb.5683:                             ;   in Loop: Header=BB4_4792 Depth=3
	v_cmp_lt_u32_e32 vcc_lo, 0xffffff, v34
	v_sub_nc_u32_e32 v4, v4, v31
	v_cndmask_b32_e64 v31, 0, 1, vcc_lo
	v_add_co_ci_u32_e64 v35, null, 0, v4, vcc_lo
	v_lshrrev_b32_e32 v34, v31, v34
; %bb.5684:                             ;   in Loop: Header=BB4_4792 Depth=3
	s_andn2_saveexec_b32 s16, s16
; %bb.5685:                             ;   in Loop: Header=BB4_4792 Depth=3
	v_bfe_u32 v35, v34, 23, 1
; %bb.5686:                             ;   in Loop: Header=BB4_4792 Depth=3
	s_or_b32 exec_lo, exec_lo, s16
	v_and_b32_sdwa v4, v5, v101 dst_sel:DWORD dst_unused:UNUSED_PAD src0_sel:BYTE_3 src1_sel:DWORD
	v_lshrrev_b32_e32 v5, 21, v34
	v_min_i32_e32 v31, 31, v35
	v_cmp_gt_i32_e32 vcc_lo, 32, v35
	v_lshlrev_b32_e32 v31, 2, v31
	v_cndmask_b32_e32 v5, 3, v5, vcc_lo
	v_and_b32_e32 v31, 0xfc, v31
	v_or_b32_e32 v34, v35, v5
	v_and_b32_e32 v5, 3, v5
	v_cmp_ne_u32_e32 vcc_lo, 0, v34
	v_or3_b32 v4, v4, v31, v5
	v_lshlrev_b32_e32 v4, 8, v4
	v_cndmask_b32_e32 v4, 0, v4, vcc_lo
.LBB4_5687:                             ;   in Loop: Header=BB4_4792 Depth=3
	s_or_b32 exec_lo, exec_lo, s72
.LBB4_5688:                             ;   in Loop: Header=BB4_4792 Depth=3
	s_or_b32 exec_lo, exec_lo, s23
	v_or_b32_e32 v31, v92, v91
	s_mov_b32 s23, 0
	v_cmp_gt_i16_sdwa s16, v31, v100 src0_sel:BYTE_0 src1_sel:DWORD
	s_and_saveexec_b32 s72, s16
	s_xor_b32 s16, exec_lo, s72
	s_cbranch_execz .LBB4_6038
; %bb.5689:                             ;   in Loop: Header=BB4_4792 Depth=3
	v_cmp_eq_u16_sdwa s73, v31, v101 src0_sel:BYTE_0 src1_sel:DWORD
	s_mov_b32 s23, -1
	s_and_saveexec_b32 s72, s73
; %bb.5690:                             ;   in Loop: Header=BB4_4792 Depth=3
	s_xor_b32 s23, exec_lo, -1
; %bb.5691:                             ;   in Loop: Header=BB4_4792 Depth=3
	s_or_b32 exec_lo, exec_lo, s72
	s_and_b32 s23, s23, exec_lo
	s_or_saveexec_b32 s16, s16
	v_mov_b32_e32 v5, 0x7f800001
	s_xor_b32 exec_lo, exec_lo, s16
	s_cbranch_execnz .LBB4_6039
.LBB4_5692:                             ;   in Loop: Header=BB4_4792 Depth=3
	s_or_b32 exec_lo, exec_lo, s16
	v_lshl_or_b32 v1, v31, 16, v1
	s_and_saveexec_b32 s16, s23
	s_cbranch_execz .LBB4_5694
.LBB4_5693:                             ;   in Loop: Header=BB4_4792 Depth=3
	v_bfe_u32 v5, v1, 16, 2
	v_bfe_u32 v31, v1, 18, 5
	v_ffbh_u32_e32 v34, v5
	v_cmp_eq_u32_e32 vcc_lo, 0, v31
	v_min_u32_e32 v34, 32, v34
	v_subrev_nc_u32_e32 v35, 29, v34
	v_sub_nc_u32_e32 v34, 30, v34
	v_lshlrev_b32_sdwa v35, v35, v1 dst_sel:DWORD dst_unused:UNUSED_PAD src0_sel:DWORD src1_sel:WORD_1
	v_cndmask_b32_e32 v31, v31, v34, vcc_lo
	v_lshlrev_b32_e32 v34, 8, v1
	v_and_b32_e32 v35, 3, v35
	v_lshl_add_u32 v31, v31, 23, 0x37800000
	v_and_b32_e32 v34, 0x80000000, v34
	v_cndmask_b32_e32 v5, v5, v35, vcc_lo
	v_lshlrev_b32_e32 v5, 21, v5
	v_or3_b32 v5, v34, v31, v5
.LBB4_5694:                             ;   in Loop: Header=BB4_4792 Depth=3
	s_or_b32 exec_lo, exec_lo, s16
	v_and_b32_sdwa v34, v9, v112 dst_sel:DWORD dst_unused:UNUSED_PAD src0_sel:WORD_1 src1_sel:DWORD
	s_mov_b32 s23, 0
	s_mov_b32 s16, exec_lo
	v_cmpx_lt_i16_e32 0x7f, v34
	s_xor_b32 s16, exec_lo, s16
	s_cbranch_execz .LBB4_6040
; %bb.5695:                             ;   in Loop: Header=BB4_4792 Depth=3
	s_mov_b32 s23, -1
	s_mov_b32 s72, exec_lo
	v_cmpx_eq_u16_e32 0x80, v34
; %bb.5696:                             ;   in Loop: Header=BB4_4792 Depth=3
	s_xor_b32 s23, exec_lo, -1
; %bb.5697:                             ;   in Loop: Header=BB4_4792 Depth=3
	s_or_b32 exec_lo, exec_lo, s72
	s_and_b32 s23, s23, exec_lo
                                        ; implicit-def: $vgpr34
	s_or_saveexec_b32 s16, s16
	v_mov_b32_e32 v31, 0x7f800001
	s_xor_b32 exec_lo, exec_lo, s16
	s_cbranch_execnz .LBB4_6041
.LBB4_5698:                             ;   in Loop: Header=BB4_4792 Depth=3
	s_or_b32 exec_lo, exec_lo, s16
	s_and_saveexec_b32 s16, s23
	s_cbranch_execz .LBB4_5700
.LBB4_5699:                             ;   in Loop: Header=BB4_4792 Depth=3
	v_bfe_u32 v31, v9, 16, 2
	v_bfe_u32 v34, v9, 18, 5
	v_ffbh_u32_e32 v35, v31
	v_cmp_eq_u32_e32 vcc_lo, 0, v34
	v_min_u32_e32 v35, 32, v35
	v_subrev_nc_u32_e32 v36, 29, v35
	v_sub_nc_u32_e32 v35, 30, v35
	v_lshlrev_b32_sdwa v36, v36, v9 dst_sel:DWORD dst_unused:UNUSED_PAD src0_sel:DWORD src1_sel:WORD_1
	v_cndmask_b32_e32 v34, v34, v35, vcc_lo
	v_lshlrev_b32_e32 v35, 8, v9
	v_and_b32_e32 v36, 3, v36
	v_lshl_add_u32 v34, v34, 23, 0x37800000
	v_and_b32_e32 v35, 0x80000000, v35
	v_cndmask_b32_e32 v31, v31, v36, vcc_lo
	v_lshlrev_b32_e32 v31, 21, v31
	v_or3_b32 v31, v35, v34, v31
.LBB4_5700:                             ;   in Loop: Header=BB4_4792 Depth=3
	s_or_b32 exec_lo, exec_lo, s16
	v_add_f32_e32 v31, v5, v31
	v_and_b32_e32 v5, 0x7f800000, v31
	v_cmp_ne_u32_e32 vcc_lo, 0x7f800000, v5
	v_mov_b32_e32 v5, 0x80
	s_and_saveexec_b32 s23, vcc_lo
	s_cbranch_execz .LBB4_5708
; %bb.5701:                             ;   in Loop: Header=BB4_4792 Depth=3
	v_mov_b32_e32 v5, 0
	s_mov_b32 s72, exec_lo
	v_cmpx_ne_u32_e32 0, v31
	s_cbranch_execz .LBB4_5707
; %bb.5702:                             ;   in Loop: Header=BB4_4792 Depth=3
	v_bfe_u32 v34, v31, 23, 8
	v_and_b32_e32 v5, 0x7fffff, v31
	v_cmp_gt_u32_e64 s16, 0x71, v34
	v_sub_nc_u32_e32 v35, 0x70, v34
	v_cmp_eq_u32_e32 vcc_lo, 0, v34
	v_or_b32_e32 v36, 0x800000, v5
	v_cndmask_b32_e64 v35, 0, v35, s16
	v_cndmask_b32_e32 v5, v36, v5, vcc_lo
	v_cndmask_b32_e64 v35, v35, 0x6f, vcc_lo
	v_lshl_add_u32 v36, 0x200000, v35, -1
	v_lshlrev_b32_e64 v37, v35, 0x100000
	v_and_b32_e32 v36, v36, v5
	v_cmp_eq_u32_e64 s16, v36, v37
	v_lshrrev_b32_e32 v36, v35, v5
	v_add_nc_u32_e32 v5, 0xffffff91, v34
	v_lshrrev_b32_e32 v34, 23, v36
	v_cndmask_b32_e64 v5, v5, 0xffffff92, vcc_lo
	v_xor_b32_e32 v34, 1, v34
	v_add_nc_u32_e32 v5, v35, v5
	v_bfe_u32 v35, v36, 21, 1
	v_add_nc_u32_e32 v35, -1, v35
	v_cndmask_b32_e64 v35, 0, v35, s16
	s_mov_b32 s16, exec_lo
	v_add_nc_u32_e32 v35, v35, v36
	v_and_b32_e32 v35, 0x1fffff, v35
	v_add_nc_u32_e32 v35, v35, v36
                                        ; implicit-def: $vgpr36
	v_cmpx_ne_u32_e64 v5, v34
	s_xor_b32 s16, exec_lo, s16
; %bb.5703:                             ;   in Loop: Header=BB4_4792 Depth=3
	v_cmp_lt_u32_e32 vcc_lo, 0xffffff, v35
	v_sub_nc_u32_e32 v5, v5, v34
	v_cndmask_b32_e64 v34, 0, 1, vcc_lo
	v_add_co_ci_u32_e64 v36, null, 0, v5, vcc_lo
	v_lshrrev_b32_e32 v35, v34, v35
; %bb.5704:                             ;   in Loop: Header=BB4_4792 Depth=3
	s_andn2_saveexec_b32 s16, s16
; %bb.5705:                             ;   in Loop: Header=BB4_4792 Depth=3
	v_bfe_u32 v36, v35, 23, 1
; %bb.5706:                             ;   in Loop: Header=BB4_4792 Depth=3
	s_or_b32 exec_lo, exec_lo, s16
	v_and_b32_sdwa v5, v31, v101 dst_sel:DWORD dst_unused:UNUSED_PAD src0_sel:BYTE_3 src1_sel:DWORD
	v_lshrrev_b32_e32 v31, 21, v35
	v_min_i32_e32 v34, 31, v36
	v_cmp_gt_i32_e32 vcc_lo, 32, v36
	v_lshlrev_b32_e32 v34, 2, v34
	v_cndmask_b32_e32 v31, 3, v31, vcc_lo
	v_and_b32_e32 v34, 0xfc, v34
	v_or_b32_e32 v35, v36, v31
	v_and_b32_e32 v31, 3, v31
	v_cmp_ne_u32_e32 vcc_lo, 0, v35
	v_or3_b32 v5, v34, v5, v31
	v_cndmask_b32_e32 v5, 0, v5, vcc_lo
.LBB4_5707:                             ;   in Loop: Header=BB4_4792 Depth=3
	s_or_b32 exec_lo, exec_lo, s72
.LBB4_5708:                             ;   in Loop: Header=BB4_4792 Depth=3
	s_or_b32 exec_lo, exec_lo, s23
	v_cmp_gt_i16_sdwa s23, v1, v100 src0_sel:BYTE_3 src1_sel:DWORD
	s_mov_b32 s16, 0
	s_and_saveexec_b32 s72, s23
	s_xor_b32 s23, exec_lo, s72
	s_cbranch_execz .LBB4_6042
; %bb.5709:                             ;   in Loop: Header=BB4_4792 Depth=3
	v_cmp_eq_u16_sdwa s73, v1, v101 src0_sel:BYTE_3 src1_sel:DWORD
	s_mov_b32 s16, -1
	s_and_saveexec_b32 s72, s73
; %bb.5710:                             ;   in Loop: Header=BB4_4792 Depth=3
	s_xor_b32 s16, exec_lo, -1
; %bb.5711:                             ;   in Loop: Header=BB4_4792 Depth=3
	s_or_b32 exec_lo, exec_lo, s72
	s_and_b32 s16, s16, exec_lo
	s_or_saveexec_b32 s23, s23
	v_mov_b32_e32 v31, 0x7f800001
	s_xor_b32 exec_lo, exec_lo, s23
	s_cbranch_execnz .LBB4_6043
.LBB4_5712:                             ;   in Loop: Header=BB4_4792 Depth=3
	s_or_b32 exec_lo, exec_lo, s23
	s_and_saveexec_b32 s23, s16
	s_cbranch_execz .LBB4_5714
.LBB4_5713:                             ;   in Loop: Header=BB4_4792 Depth=3
	v_bfe_u32 v31, v1, 24, 2
	v_bfe_u32 v36, v1, 26, 5
	v_ffbh_u32_e32 v34, v31
	v_cmp_eq_u32_e32 vcc_lo, 0, v36
	v_min_u32_e32 v34, 32, v34
	v_subrev_nc_u32_e32 v35, 29, v34
	v_sub_nc_u32_e32 v34, 30, v34
	v_lshlrev_b32_sdwa v35, v35, v1 dst_sel:DWORD dst_unused:UNUSED_PAD src0_sel:DWORD src1_sel:BYTE_3
	v_cndmask_b32_e32 v34, v36, v34, vcc_lo
	v_and_b32_e32 v1, 0x80000000, v1
	v_and_b32_e32 v35, 3, v35
	v_lshl_add_u32 v34, v34, 23, 0x37800000
	v_cndmask_b32_e32 v31, v31, v35, vcc_lo
	v_lshlrev_b32_e32 v31, 21, v31
	v_or3_b32 v31, v1, v34, v31
.LBB4_5714:                             ;   in Loop: Header=BB4_4792 Depth=3
	s_or_b32 exec_lo, exec_lo, s23
	v_cmp_gt_i16_sdwa s23, v9, v100 src0_sel:BYTE_3 src1_sel:DWORD
	s_mov_b32 s16, 0
	s_and_saveexec_b32 s72, s23
	s_xor_b32 s23, exec_lo, s72
	s_cbranch_execz .LBB4_6044
; %bb.5715:                             ;   in Loop: Header=BB4_4792 Depth=3
	v_cmp_eq_u16_sdwa s73, v9, v101 src0_sel:BYTE_3 src1_sel:DWORD
	s_mov_b32 s16, -1
	s_and_saveexec_b32 s72, s73
; %bb.5716:                             ;   in Loop: Header=BB4_4792 Depth=3
	s_xor_b32 s16, exec_lo, -1
; %bb.5717:                             ;   in Loop: Header=BB4_4792 Depth=3
	s_or_b32 exec_lo, exec_lo, s72
	s_and_b32 s16, s16, exec_lo
	s_or_saveexec_b32 s23, s23
	v_mov_b32_e32 v1, 0x7f800001
	s_xor_b32 exec_lo, exec_lo, s23
	s_cbranch_execnz .LBB4_6045
.LBB4_5718:                             ;   in Loop: Header=BB4_4792 Depth=3
	s_or_b32 exec_lo, exec_lo, s23
	s_and_saveexec_b32 s23, s16
	s_cbranch_execz .LBB4_5720
.LBB4_5719:                             ;   in Loop: Header=BB4_4792 Depth=3
	v_bfe_u32 v1, v9, 24, 2
	v_bfe_u32 v36, v9, 26, 5
	v_ffbh_u32_e32 v34, v1
	v_cmp_eq_u32_e32 vcc_lo, 0, v36
	v_min_u32_e32 v34, 32, v34
	v_subrev_nc_u32_e32 v35, 29, v34
	v_sub_nc_u32_e32 v34, 30, v34
	v_lshlrev_b32_sdwa v35, v35, v9 dst_sel:DWORD dst_unused:UNUSED_PAD src0_sel:DWORD src1_sel:BYTE_3
	v_cndmask_b32_e32 v34, v36, v34, vcc_lo
	v_and_b32_e32 v9, 0x80000000, v9
	v_and_b32_e32 v35, 3, v35
	v_lshl_add_u32 v34, v34, 23, 0x37800000
	v_cndmask_b32_e32 v1, v1, v35, vcc_lo
	v_lshlrev_b32_e32 v1, 21, v1
	v_or3_b32 v1, v9, v34, v1
.LBB4_5720:                             ;   in Loop: Header=BB4_4792 Depth=3
	s_or_b32 exec_lo, exec_lo, s23
	v_add_f32_e32 v1, v31, v1
	v_and_b32_e32 v9, 0x7f800000, v1
	v_cmp_ne_u32_e32 vcc_lo, 0x7f800000, v9
	v_mov_b32_e32 v9, 0x8000
	s_and_saveexec_b32 s23, vcc_lo
	s_cbranch_execz .LBB4_5728
; %bb.5721:                             ;   in Loop: Header=BB4_4792 Depth=3
	v_mov_b32_e32 v9, 0
	s_mov_b32 s72, exec_lo
	v_cmpx_ne_u32_e32 0, v1
	s_cbranch_execz .LBB4_5727
; %bb.5722:                             ;   in Loop: Header=BB4_4792 Depth=3
	v_bfe_u32 v31, v1, 23, 8
	v_and_b32_e32 v9, 0x7fffff, v1
	v_cmp_gt_u32_e64 s16, 0x71, v31
	v_sub_nc_u32_e32 v34, 0x70, v31
	v_cmp_eq_u32_e32 vcc_lo, 0, v31
	v_or_b32_e32 v35, 0x800000, v9
	v_cndmask_b32_e64 v34, 0, v34, s16
	v_cndmask_b32_e32 v9, v35, v9, vcc_lo
	v_cndmask_b32_e64 v34, v34, 0x6f, vcc_lo
	v_lshl_add_u32 v35, 0x200000, v34, -1
	v_lshlrev_b32_e64 v36, v34, 0x100000
	v_and_b32_e32 v35, v35, v9
	v_cmp_eq_u32_e64 s16, v35, v36
	v_lshrrev_b32_e32 v35, v34, v9
	v_add_nc_u32_e32 v9, 0xffffff91, v31
	v_lshrrev_b32_e32 v31, 23, v35
	v_cndmask_b32_e64 v9, v9, 0xffffff92, vcc_lo
	v_xor_b32_e32 v31, 1, v31
	v_add_nc_u32_e32 v9, v34, v9
	v_bfe_u32 v34, v35, 21, 1
	v_add_nc_u32_e32 v34, -1, v34
	v_cndmask_b32_e64 v34, 0, v34, s16
	s_mov_b32 s16, exec_lo
	v_add_nc_u32_e32 v34, v34, v35
	v_and_b32_e32 v34, 0x1fffff, v34
	v_add_nc_u32_e32 v35, v34, v35
                                        ; implicit-def: $vgpr34
	v_cmpx_ne_u32_e64 v9, v31
	s_xor_b32 s16, exec_lo, s16
; %bb.5723:                             ;   in Loop: Header=BB4_4792 Depth=3
	v_cmp_lt_u32_e32 vcc_lo, 0xffffff, v35
	v_sub_nc_u32_e32 v9, v9, v31
	v_cndmask_b32_e64 v31, 0, 1, vcc_lo
	v_add_co_ci_u32_e64 v34, null, 0, v9, vcc_lo
	v_lshrrev_b32_e32 v35, v31, v35
; %bb.5724:                             ;   in Loop: Header=BB4_4792 Depth=3
	s_andn2_saveexec_b32 s16, s16
; %bb.5725:                             ;   in Loop: Header=BB4_4792 Depth=3
	v_bfe_u32 v34, v35, 23, 1
; %bb.5726:                             ;   in Loop: Header=BB4_4792 Depth=3
	s_or_b32 exec_lo, exec_lo, s16
	v_lshrrev_b32_e32 v9, 21, v35
	v_min_i32_e32 v31, 31, v34
	v_cmp_gt_i32_e32 vcc_lo, 32, v34
	v_and_b32_sdwa v1, v1, v101 dst_sel:DWORD dst_unused:UNUSED_PAD src0_sel:BYTE_3 src1_sel:DWORD
	v_lshlrev_b32_e32 v31, 2, v31
	v_cndmask_b32_e32 v9, 3, v9, vcc_lo
	v_and_b32_e32 v31, 0xfc, v31
	v_and_b32_e32 v35, 3, v9
	v_or_b32_e32 v9, v34, v9
	v_or3_b32 v1, v1, v31, v35
	v_cmp_ne_u32_e32 vcc_lo, 0, v9
	v_lshlrev_b32_e32 v1, 8, v1
	v_cndmask_b32_e32 v9, 0, v1, vcc_lo
.LBB4_5727:                             ;   in Loop: Header=BB4_4792 Depth=3
	s_or_b32 exec_lo, exec_lo, s72
.LBB4_5728:                             ;   in Loop: Header=BB4_4792 Depth=3
	s_or_b32 exec_lo, exec_lo, s23
	v_or_b32_e32 v1, v90, v89
	s_mov_b32 s16, 0
	v_cmp_gt_i16_sdwa s23, v1, v100 src0_sel:BYTE_0 src1_sel:DWORD
	s_and_saveexec_b32 s72, s23
	s_xor_b32 s23, exec_lo, s72
	s_cbranch_execz .LBB4_6046
; %bb.5729:                             ;   in Loop: Header=BB4_4792 Depth=3
	v_cmp_eq_u16_sdwa s73, v1, v101 src0_sel:BYTE_0 src1_sel:DWORD
	s_mov_b32 s16, -1
	s_and_saveexec_b32 s72, s73
; %bb.5730:                             ;   in Loop: Header=BB4_4792 Depth=3
	s_xor_b32 s16, exec_lo, -1
; %bb.5731:                             ;   in Loop: Header=BB4_4792 Depth=3
	s_or_b32 exec_lo, exec_lo, s72
	s_and_b32 s16, s16, exec_lo
	s_or_saveexec_b32 s23, s23
	v_mov_b32_e32 v31, 0x7f800001
	s_xor_b32 exec_lo, exec_lo, s23
	s_cbranch_execnz .LBB4_6047
.LBB4_5732:                             ;   in Loop: Header=BB4_4792 Depth=3
	s_or_b32 exec_lo, exec_lo, s23
	s_and_saveexec_b32 s23, s16
	s_cbranch_execz .LBB4_5734
.LBB4_5733:                             ;   in Loop: Header=BB4_4792 Depth=3
	v_and_b32_e32 v31, 3, v1
	v_bfe_u32 v36, v1, 2, 5
	v_lshlrev_b32_e32 v37, 24, v1
	v_ffbh_u32_e32 v34, v31
	v_cmp_eq_u32_e32 vcc_lo, 0, v36
	v_min_u32_e32 v34, 32, v34
	v_subrev_nc_u32_e32 v35, 29, v34
	v_sub_nc_u32_e32 v34, 30, v34
	v_lshlrev_b32_e32 v35, v35, v1
	v_cndmask_b32_e32 v34, v36, v34, vcc_lo
	v_and_b32_e32 v35, 3, v35
	v_lshl_add_u32 v34, v34, 23, 0x37800000
	v_cndmask_b32_e32 v31, v31, v35, vcc_lo
	v_and_b32_e32 v35, 0x80000000, v37
	v_lshlrev_b32_e32 v31, 21, v31
	v_or3_b32 v31, v35, v34, v31
.LBB4_5734:                             ;   in Loop: Header=BB4_4792 Depth=3
	s_or_b32 exec_lo, exec_lo, s23
	v_cmp_gt_i16_sdwa s16, v10, v100 src0_sel:BYTE_0 src1_sel:DWORD
	s_mov_b32 s23, 0
	s_and_saveexec_b32 s72, s16
	s_xor_b32 s16, exec_lo, s72
	s_cbranch_execz .LBB4_6048
; %bb.5735:                             ;   in Loop: Header=BB4_4792 Depth=3
	v_cmp_eq_u16_sdwa s73, v10, v101 src0_sel:BYTE_0 src1_sel:DWORD
	s_mov_b32 s23, -1
	s_and_saveexec_b32 s72, s73
; %bb.5736:                             ;   in Loop: Header=BB4_4792 Depth=3
	s_xor_b32 s23, exec_lo, -1
; %bb.5737:                             ;   in Loop: Header=BB4_4792 Depth=3
	s_or_b32 exec_lo, exec_lo, s72
	s_and_b32 s23, s23, exec_lo
	s_or_saveexec_b32 s16, s16
	v_mov_b32_e32 v34, 0x7f800001
	s_xor_b32 exec_lo, exec_lo, s16
	s_cbranch_execnz .LBB4_6049
.LBB4_5738:                             ;   in Loop: Header=BB4_4792 Depth=3
	s_or_b32 exec_lo, exec_lo, s16
	s_and_saveexec_b32 s16, s23
	s_cbranch_execz .LBB4_5740
.LBB4_5739:                             ;   in Loop: Header=BB4_4792 Depth=3
	v_and_b32_e32 v34, 3, v10
	v_bfe_u32 v35, v10, 2, 5
	v_ffbh_u32_e32 v36, v34
	v_cmp_eq_u32_e32 vcc_lo, 0, v35
	v_min_u32_e32 v36, 32, v36
	v_subrev_nc_u32_e32 v37, 29, v36
	v_sub_nc_u32_e32 v36, 30, v36
	v_lshlrev_b32_e32 v37, v37, v10
	v_cndmask_b32_e32 v35, v35, v36, vcc_lo
	v_lshlrev_b32_e32 v36, 24, v10
	v_and_b32_e32 v37, 3, v37
	v_lshl_add_u32 v35, v35, 23, 0x37800000
	v_and_b32_e32 v36, 0x80000000, v36
	v_cndmask_b32_e32 v34, v34, v37, vcc_lo
	v_lshlrev_b32_e32 v34, 21, v34
	v_or3_b32 v34, v36, v35, v34
.LBB4_5740:                             ;   in Loop: Header=BB4_4792 Depth=3
	s_or_b32 exec_lo, exec_lo, s16
	v_add_f32_e32 v31, v31, v34
	v_and_b32_e32 v34, 0x7f800000, v31
	v_cmp_ne_u32_e32 vcc_lo, 0x7f800000, v34
	v_mov_b32_e32 v34, 0x80
	s_and_saveexec_b32 s23, vcc_lo
	s_cbranch_execz .LBB4_5748
; %bb.5741:                             ;   in Loop: Header=BB4_4792 Depth=3
	v_mov_b32_e32 v34, 0
	s_mov_b32 s72, exec_lo
	v_cmpx_ne_u32_e32 0, v31
	s_cbranch_execz .LBB4_5747
; %bb.5742:                             ;   in Loop: Header=BB4_4792 Depth=3
	v_bfe_u32 v35, v31, 23, 8
	v_and_b32_e32 v34, 0x7fffff, v31
	v_cmp_gt_u32_e64 s16, 0x71, v35
	v_sub_nc_u32_e32 v36, 0x70, v35
	v_cmp_eq_u32_e32 vcc_lo, 0, v35
	v_or_b32_e32 v37, 0x800000, v34
	v_cndmask_b32_e64 v36, 0, v36, s16
	v_cndmask_b32_e32 v34, v37, v34, vcc_lo
	v_cndmask_b32_e64 v36, v36, 0x6f, vcc_lo
	v_lshl_add_u32 v37, 0x200000, v36, -1
	v_lshlrev_b32_e64 v50, v36, 0x100000
	v_and_b32_e32 v37, v37, v34
	v_cmp_eq_u32_e64 s16, v37, v50
	v_lshrrev_b32_e32 v37, v36, v34
	v_add_nc_u32_e32 v34, 0xffffff91, v35
	v_lshrrev_b32_e32 v35, 23, v37
	v_cndmask_b32_e64 v34, v34, 0xffffff92, vcc_lo
	v_xor_b32_e32 v35, 1, v35
	v_add_nc_u32_e32 v34, v36, v34
	v_bfe_u32 v36, v37, 21, 1
	v_add_nc_u32_e32 v36, -1, v36
	v_cndmask_b32_e64 v36, 0, v36, s16
	s_mov_b32 s16, exec_lo
	v_add_nc_u32_e32 v36, v36, v37
	v_and_b32_e32 v36, 0x1fffff, v36
	v_add_nc_u32_e32 v37, v36, v37
                                        ; implicit-def: $vgpr36
	v_cmpx_ne_u32_e64 v34, v35
	s_xor_b32 s16, exec_lo, s16
; %bb.5743:                             ;   in Loop: Header=BB4_4792 Depth=3
	v_cmp_lt_u32_e32 vcc_lo, 0xffffff, v37
	v_sub_nc_u32_e32 v34, v34, v35
	v_cndmask_b32_e64 v35, 0, 1, vcc_lo
	v_add_co_ci_u32_e64 v36, null, 0, v34, vcc_lo
	v_lshrrev_b32_e32 v37, v35, v37
; %bb.5744:                             ;   in Loop: Header=BB4_4792 Depth=3
	s_andn2_saveexec_b32 s16, s16
; %bb.5745:                             ;   in Loop: Header=BB4_4792 Depth=3
	v_bfe_u32 v36, v37, 23, 1
; %bb.5746:                             ;   in Loop: Header=BB4_4792 Depth=3
	s_or_b32 exec_lo, exec_lo, s16
	v_lshrrev_b32_e32 v34, 21, v37
	v_min_i32_e32 v35, 31, v36
	v_cmp_gt_i32_e32 vcc_lo, 32, v36
	v_and_b32_sdwa v31, v31, v101 dst_sel:DWORD dst_unused:UNUSED_PAD src0_sel:BYTE_3 src1_sel:DWORD
	v_lshlrev_b32_e32 v35, 2, v35
	v_cndmask_b32_e32 v34, 3, v34, vcc_lo
	v_and_b32_e32 v35, 0xfc, v35
	v_and_b32_e32 v37, 3, v34
	v_or_b32_e32 v34, v36, v34
	v_or3_b32 v31, v35, v31, v37
	v_cmp_ne_u32_e32 vcc_lo, 0, v34
	v_cndmask_b32_e32 v34, 0, v31, vcc_lo
.LBB4_5747:                             ;   in Loop: Header=BB4_4792 Depth=3
	s_or_b32 exec_lo, exec_lo, s72
.LBB4_5748:                             ;   in Loop: Header=BB4_4792 Depth=3
	s_or_b32 exec_lo, exec_lo, s23
	v_cmp_gt_i16_sdwa s23, v1, v100 src0_sel:BYTE_1 src1_sel:DWORD
	s_mov_b32 s16, 0
	s_and_saveexec_b32 s72, s23
	s_xor_b32 s23, exec_lo, s72
	s_cbranch_execz .LBB4_6050
; %bb.5749:                             ;   in Loop: Header=BB4_4792 Depth=3
	v_cmp_eq_u16_sdwa s73, v1, v101 src0_sel:BYTE_1 src1_sel:DWORD
	s_mov_b32 s16, -1
	s_and_saveexec_b32 s72, s73
; %bb.5750:                             ;   in Loop: Header=BB4_4792 Depth=3
	s_xor_b32 s16, exec_lo, -1
; %bb.5751:                             ;   in Loop: Header=BB4_4792 Depth=3
	s_or_b32 exec_lo, exec_lo, s72
	s_and_b32 s16, s16, exec_lo
	s_or_saveexec_b32 s23, s23
	v_mov_b32_e32 v31, 0x7f800001
	s_xor_b32 exec_lo, exec_lo, s23
	s_cbranch_execnz .LBB4_6051
.LBB4_5752:                             ;   in Loop: Header=BB4_4792 Depth=3
	s_or_b32 exec_lo, exec_lo, s23
	s_and_saveexec_b32 s23, s16
	s_cbranch_execz .LBB4_5754
.LBB4_5753:                             ;   in Loop: Header=BB4_4792 Depth=3
	v_and_b32_sdwa v31, v102, v1 dst_sel:DWORD dst_unused:UNUSED_PAD src0_sel:DWORD src1_sel:BYTE_1
	v_and_b32_e32 v35, 3, v31
	v_bfe_u32 v50, v31, 2, 5
	v_ffbh_u32_e32 v36, v35
	v_cmp_eq_u32_e32 vcc_lo, 0, v50
	v_min_u32_e32 v36, 32, v36
	v_subrev_nc_u32_e32 v37, 29, v36
	v_sub_nc_u32_e32 v36, 30, v36
	v_lshlrev_b32_e32 v31, v37, v31
	v_lshlrev_b32_sdwa v37, v103, v1 dst_sel:DWORD dst_unused:UNUSED_PAD src0_sel:DWORD src1_sel:BYTE_1
	v_cndmask_b32_e32 v36, v50, v36, vcc_lo
	v_and_b32_e32 v31, 3, v31
	v_lshl_add_u32 v36, v36, 23, 0x37800000
	v_cndmask_b32_e32 v31, v35, v31, vcc_lo
	v_and_b32_e32 v35, 0x80000000, v37
	v_lshlrev_b32_e32 v31, 21, v31
	v_or3_b32 v31, v35, v36, v31
.LBB4_5754:                             ;   in Loop: Header=BB4_4792 Depth=3
	s_or_b32 exec_lo, exec_lo, s23
	v_cmp_gt_i16_sdwa s23, v10, v100 src0_sel:BYTE_1 src1_sel:DWORD
	s_mov_b32 s16, 0
	s_and_saveexec_b32 s72, s23
	s_xor_b32 s23, exec_lo, s72
	s_cbranch_execz .LBB4_6052
; %bb.5755:                             ;   in Loop: Header=BB4_4792 Depth=3
	v_cmp_eq_u16_sdwa s73, v10, v101 src0_sel:BYTE_1 src1_sel:DWORD
	s_mov_b32 s16, -1
	s_and_saveexec_b32 s72, s73
; %bb.5756:                             ;   in Loop: Header=BB4_4792 Depth=3
	s_xor_b32 s16, exec_lo, -1
; %bb.5757:                             ;   in Loop: Header=BB4_4792 Depth=3
	s_or_b32 exec_lo, exec_lo, s72
	s_and_b32 s16, s16, exec_lo
	s_or_saveexec_b32 s23, s23
	v_mov_b32_e32 v35, 0x7f800001
	s_xor_b32 exec_lo, exec_lo, s23
	s_cbranch_execnz .LBB4_6053
.LBB4_5758:                             ;   in Loop: Header=BB4_4792 Depth=3
	s_or_b32 exec_lo, exec_lo, s23
	s_and_saveexec_b32 s23, s16
	s_cbranch_execz .LBB4_5760
.LBB4_5759:                             ;   in Loop: Header=BB4_4792 Depth=3
	v_and_b32_sdwa v35, v102, v10 dst_sel:DWORD dst_unused:UNUSED_PAD src0_sel:DWORD src1_sel:BYTE_1
	v_and_b32_e32 v36, 3, v35
	v_bfe_u32 v51, v35, 2, 5
	v_ffbh_u32_e32 v37, v36
	v_cmp_eq_u32_e32 vcc_lo, 0, v51
	v_min_u32_e32 v37, 32, v37
	v_subrev_nc_u32_e32 v50, 29, v37
	v_sub_nc_u32_e32 v37, 30, v37
	v_lshlrev_b32_e32 v35, v50, v35
	v_lshlrev_b32_sdwa v50, v103, v10 dst_sel:DWORD dst_unused:UNUSED_PAD src0_sel:DWORD src1_sel:BYTE_1
	v_cndmask_b32_e32 v37, v51, v37, vcc_lo
	v_and_b32_e32 v35, 3, v35
	v_lshl_add_u32 v37, v37, 23, 0x37800000
	v_cndmask_b32_e32 v35, v36, v35, vcc_lo
	v_and_b32_e32 v36, 0x80000000, v50
	v_lshlrev_b32_e32 v35, 21, v35
	v_or3_b32 v35, v36, v37, v35
.LBB4_5760:                             ;   in Loop: Header=BB4_4792 Depth=3
	s_or_b32 exec_lo, exec_lo, s23
	v_add_f32_e32 v31, v31, v35
	v_and_b32_e32 v35, 0x7f800000, v31
	v_cmp_ne_u32_e32 vcc_lo, 0x7f800000, v35
	v_mov_b32_e32 v35, 0x8000
	s_and_saveexec_b32 s23, vcc_lo
	s_cbranch_execz .LBB4_5768
; %bb.5761:                             ;   in Loop: Header=BB4_4792 Depth=3
	v_mov_b32_e32 v35, 0
	s_mov_b32 s72, exec_lo
	v_cmpx_ne_u32_e32 0, v31
	s_cbranch_execz .LBB4_5767
; %bb.5762:                             ;   in Loop: Header=BB4_4792 Depth=3
	v_bfe_u32 v36, v31, 23, 8
	v_and_b32_e32 v35, 0x7fffff, v31
	v_cmp_gt_u32_e64 s16, 0x71, v36
	v_sub_nc_u32_e32 v37, 0x70, v36
	v_cmp_eq_u32_e32 vcc_lo, 0, v36
	v_or_b32_e32 v50, 0x800000, v35
	v_cndmask_b32_e64 v37, 0, v37, s16
	v_cndmask_b32_e32 v35, v50, v35, vcc_lo
	v_cndmask_b32_e64 v37, v37, 0x6f, vcc_lo
	v_lshl_add_u32 v50, 0x200000, v37, -1
	v_lshlrev_b32_e64 v51, v37, 0x100000
	v_and_b32_e32 v50, v50, v35
	v_cmp_eq_u32_e64 s16, v50, v51
	v_lshrrev_b32_e32 v50, v37, v35
	v_add_nc_u32_e32 v35, 0xffffff91, v36
	v_lshrrev_b32_e32 v36, 23, v50
	v_cndmask_b32_e64 v35, v35, 0xffffff92, vcc_lo
	v_xor_b32_e32 v36, 1, v36
	v_add_nc_u32_e32 v35, v37, v35
	v_bfe_u32 v37, v50, 21, 1
	v_add_nc_u32_e32 v37, -1, v37
	v_cndmask_b32_e64 v37, 0, v37, s16
	s_mov_b32 s16, exec_lo
	v_add_nc_u32_e32 v37, v37, v50
	v_and_b32_e32 v37, 0x1fffff, v37
	v_add_nc_u32_e32 v37, v37, v50
                                        ; implicit-def: $vgpr50
	v_cmpx_ne_u32_e64 v35, v36
	s_xor_b32 s16, exec_lo, s16
; %bb.5763:                             ;   in Loop: Header=BB4_4792 Depth=3
	v_cmp_lt_u32_e32 vcc_lo, 0xffffff, v37
	v_sub_nc_u32_e32 v35, v35, v36
	v_cndmask_b32_e64 v36, 0, 1, vcc_lo
	v_add_co_ci_u32_e64 v50, null, 0, v35, vcc_lo
	v_lshrrev_b32_e32 v37, v36, v37
; %bb.5764:                             ;   in Loop: Header=BB4_4792 Depth=3
	s_andn2_saveexec_b32 s16, s16
; %bb.5765:                             ;   in Loop: Header=BB4_4792 Depth=3
	v_bfe_u32 v50, v37, 23, 1
; %bb.5766:                             ;   in Loop: Header=BB4_4792 Depth=3
	s_or_b32 exec_lo, exec_lo, s16
	v_lshrrev_b32_e32 v35, 21, v37
	v_min_i32_e32 v36, 31, v50
	v_cmp_gt_i32_e32 vcc_lo, 32, v50
	v_and_b32_sdwa v31, v31, v101 dst_sel:DWORD dst_unused:UNUSED_PAD src0_sel:BYTE_3 src1_sel:DWORD
	v_lshlrev_b32_e32 v36, 2, v36
	v_cndmask_b32_e32 v35, 3, v35, vcc_lo
	v_and_b32_e32 v36, 0xfc, v36
	v_or_b32_e32 v37, v50, v35
	v_and_b32_e32 v35, 3, v35
	v_cmp_ne_u32_e32 vcc_lo, 0, v37
	v_or3_b32 v31, v31, v36, v35
	v_lshlrev_b32_e32 v31, 8, v31
	v_cndmask_b32_e32 v35, 0, v31, vcc_lo
.LBB4_5767:                             ;   in Loop: Header=BB4_4792 Depth=3
	s_or_b32 exec_lo, exec_lo, s72
.LBB4_5768:                             ;   in Loop: Header=BB4_4792 Depth=3
	s_or_b32 exec_lo, exec_lo, s23
	v_or_b32_e32 v36, v79, v78
	s_mov_b32 s16, 0
	v_cmp_gt_i16_sdwa s23, v36, v100 src0_sel:BYTE_0 src1_sel:DWORD
	s_and_saveexec_b32 s72, s23
	s_xor_b32 s23, exec_lo, s72
	s_cbranch_execz .LBB4_6054
; %bb.5769:                             ;   in Loop: Header=BB4_4792 Depth=3
	v_cmp_eq_u16_sdwa s73, v36, v101 src0_sel:BYTE_0 src1_sel:DWORD
	s_mov_b32 s16, -1
	s_and_saveexec_b32 s72, s73
; %bb.5770:                             ;   in Loop: Header=BB4_4792 Depth=3
	s_xor_b32 s16, exec_lo, -1
; %bb.5771:                             ;   in Loop: Header=BB4_4792 Depth=3
	s_or_b32 exec_lo, exec_lo, s72
	s_and_b32 s16, s16, exec_lo
	s_or_saveexec_b32 s23, s23
	v_mov_b32_e32 v31, 0x7f800001
	s_xor_b32 exec_lo, exec_lo, s23
	s_cbranch_execnz .LBB4_6055
.LBB4_5772:                             ;   in Loop: Header=BB4_4792 Depth=3
	s_or_b32 exec_lo, exec_lo, s23
	v_lshl_or_b32 v1, v36, 16, v1
	s_and_saveexec_b32 s23, s16
	s_cbranch_execz .LBB4_5774
.LBB4_5773:                             ;   in Loop: Header=BB4_4792 Depth=3
	v_bfe_u32 v31, v1, 16, 2
	v_bfe_u32 v50, v1, 18, 5
	v_lshlrev_b32_e32 v51, 8, v1
	v_ffbh_u32_e32 v36, v31
	v_cmp_eq_u32_e32 vcc_lo, 0, v50
	v_min_u32_e32 v36, 32, v36
	v_subrev_nc_u32_e32 v37, 29, v36
	v_sub_nc_u32_e32 v36, 30, v36
	v_lshlrev_b32_sdwa v37, v37, v1 dst_sel:DWORD dst_unused:UNUSED_PAD src0_sel:DWORD src1_sel:WORD_1
	v_cndmask_b32_e32 v36, v50, v36, vcc_lo
	v_and_b32_e32 v37, 3, v37
	v_lshl_add_u32 v36, v36, 23, 0x37800000
	v_cndmask_b32_e32 v31, v31, v37, vcc_lo
	v_and_b32_e32 v37, 0x80000000, v51
	v_lshlrev_b32_e32 v31, 21, v31
	v_or3_b32 v31, v37, v36, v31
.LBB4_5774:                             ;   in Loop: Header=BB4_4792 Depth=3
	s_or_b32 exec_lo, exec_lo, s23
	v_and_b32_sdwa v37, v10, v112 dst_sel:DWORD dst_unused:UNUSED_PAD src0_sel:WORD_1 src1_sel:DWORD
	s_mov_b32 s23, 0
	s_mov_b32 s16, exec_lo
	v_cmpx_lt_i16_e32 0x7f, v37
	s_xor_b32 s16, exec_lo, s16
	s_cbranch_execz .LBB4_6056
; %bb.5775:                             ;   in Loop: Header=BB4_4792 Depth=3
	s_mov_b32 s23, -1
	s_mov_b32 s72, exec_lo
	v_cmpx_eq_u16_e32 0x80, v37
; %bb.5776:                             ;   in Loop: Header=BB4_4792 Depth=3
	s_xor_b32 s23, exec_lo, -1
; %bb.5777:                             ;   in Loop: Header=BB4_4792 Depth=3
	s_or_b32 exec_lo, exec_lo, s72
	s_and_b32 s23, s23, exec_lo
                                        ; implicit-def: $vgpr37
	s_or_saveexec_b32 s16, s16
	v_mov_b32_e32 v36, 0x7f800001
	s_xor_b32 exec_lo, exec_lo, s16
	s_cbranch_execnz .LBB4_6057
.LBB4_5778:                             ;   in Loop: Header=BB4_4792 Depth=3
	s_or_b32 exec_lo, exec_lo, s16
	s_and_saveexec_b32 s16, s23
	s_cbranch_execz .LBB4_5780
.LBB4_5779:                             ;   in Loop: Header=BB4_4792 Depth=3
	v_bfe_u32 v36, v10, 16, 2
	v_bfe_u32 v37, v10, 18, 5
	v_ffbh_u32_e32 v50, v36
	v_cmp_eq_u32_e32 vcc_lo, 0, v37
	v_min_u32_e32 v50, 32, v50
	v_subrev_nc_u32_e32 v51, 29, v50
	v_sub_nc_u32_e32 v50, 30, v50
	v_lshlrev_b32_sdwa v51, v51, v10 dst_sel:DWORD dst_unused:UNUSED_PAD src0_sel:DWORD src1_sel:WORD_1
	v_cndmask_b32_e32 v37, v37, v50, vcc_lo
	v_lshlrev_b32_e32 v50, 8, v10
	v_and_b32_e32 v51, 3, v51
	v_lshl_add_u32 v37, v37, 23, 0x37800000
	v_and_b32_e32 v50, 0x80000000, v50
	v_cndmask_b32_e32 v36, v36, v51, vcc_lo
	v_lshlrev_b32_e32 v36, 21, v36
	v_or3_b32 v36, v50, v37, v36
.LBB4_5780:                             ;   in Loop: Header=BB4_4792 Depth=3
	s_or_b32 exec_lo, exec_lo, s16
	v_add_f32_e32 v36, v31, v36
	v_and_b32_e32 v31, 0x7f800000, v36
	v_cmp_ne_u32_e32 vcc_lo, 0x7f800000, v31
	v_mov_b32_e32 v31, 0x80
	s_and_saveexec_b32 s23, vcc_lo
	s_cbranch_execz .LBB4_5788
; %bb.5781:                             ;   in Loop: Header=BB4_4792 Depth=3
	v_mov_b32_e32 v31, 0
	s_mov_b32 s72, exec_lo
	v_cmpx_ne_u32_e32 0, v36
	s_cbranch_execz .LBB4_5787
; %bb.5782:                             ;   in Loop: Header=BB4_4792 Depth=3
	v_bfe_u32 v37, v36, 23, 8
	v_and_b32_e32 v31, 0x7fffff, v36
	v_cmp_gt_u32_e64 s16, 0x71, v37
	v_sub_nc_u32_e32 v50, 0x70, v37
	v_cmp_eq_u32_e32 vcc_lo, 0, v37
	v_or_b32_e32 v51, 0x800000, v31
	v_cndmask_b32_e64 v50, 0, v50, s16
	v_cndmask_b32_e32 v31, v51, v31, vcc_lo
	v_cndmask_b32_e64 v50, v50, 0x6f, vcc_lo
	v_lshl_add_u32 v51, 0x200000, v50, -1
	v_lshlrev_b32_e64 v96, v50, 0x100000
	v_and_b32_e32 v51, v51, v31
	v_cmp_eq_u32_e64 s16, v51, v96
	v_lshrrev_b32_e32 v51, v50, v31
	v_add_nc_u32_e32 v31, 0xffffff91, v37
	v_lshrrev_b32_e32 v37, 23, v51
	v_cndmask_b32_e64 v31, v31, 0xffffff92, vcc_lo
	v_xor_b32_e32 v37, 1, v37
	v_add_nc_u32_e32 v31, v50, v31
	v_bfe_u32 v50, v51, 21, 1
	v_add_nc_u32_e32 v50, -1, v50
	v_cndmask_b32_e64 v50, 0, v50, s16
	s_mov_b32 s16, exec_lo
	v_add_nc_u32_e32 v50, v50, v51
	v_and_b32_e32 v50, 0x1fffff, v50
	v_add_nc_u32_e32 v51, v50, v51
                                        ; implicit-def: $vgpr50
	v_cmpx_ne_u32_e64 v31, v37
	s_xor_b32 s16, exec_lo, s16
; %bb.5783:                             ;   in Loop: Header=BB4_4792 Depth=3
	v_cmp_lt_u32_e32 vcc_lo, 0xffffff, v51
	v_sub_nc_u32_e32 v31, v31, v37
	v_cndmask_b32_e64 v37, 0, 1, vcc_lo
	v_add_co_ci_u32_e64 v50, null, 0, v31, vcc_lo
	v_lshrrev_b32_e32 v51, v37, v51
; %bb.5784:                             ;   in Loop: Header=BB4_4792 Depth=3
	s_andn2_saveexec_b32 s16, s16
; %bb.5785:                             ;   in Loop: Header=BB4_4792 Depth=3
	v_bfe_u32 v50, v51, 23, 1
; %bb.5786:                             ;   in Loop: Header=BB4_4792 Depth=3
	s_or_b32 exec_lo, exec_lo, s16
	v_lshrrev_b32_e32 v31, 21, v51
	v_min_i32_e32 v37, 31, v50
	v_cmp_gt_i32_e32 vcc_lo, 32, v50
	v_and_b32_sdwa v36, v36, v101 dst_sel:DWORD dst_unused:UNUSED_PAD src0_sel:BYTE_3 src1_sel:DWORD
	v_lshlrev_b32_e32 v37, 2, v37
	v_cndmask_b32_e32 v31, 3, v31, vcc_lo
	v_and_b32_e32 v37, 0xfc, v37
	v_and_b32_e32 v51, 3, v31
	v_or_b32_e32 v31, v50, v31
	v_or3_b32 v36, v37, v36, v51
	v_cmp_ne_u32_e32 vcc_lo, 0, v31
	v_cndmask_b32_e32 v31, 0, v36, vcc_lo
.LBB4_5787:                             ;   in Loop: Header=BB4_4792 Depth=3
	s_or_b32 exec_lo, exec_lo, s72
.LBB4_5788:                             ;   in Loop: Header=BB4_4792 Depth=3
	s_or_b32 exec_lo, exec_lo, s23
	v_cmp_gt_i16_sdwa s23, v1, v100 src0_sel:BYTE_3 src1_sel:DWORD
	s_mov_b32 s16, 0
	s_and_saveexec_b32 s72, s23
	s_xor_b32 s23, exec_lo, s72
	s_cbranch_execz .LBB4_6058
; %bb.5789:                             ;   in Loop: Header=BB4_4792 Depth=3
	v_cmp_eq_u16_sdwa s73, v1, v101 src0_sel:BYTE_3 src1_sel:DWORD
	s_mov_b32 s16, -1
	s_and_saveexec_b32 s72, s73
; %bb.5790:                             ;   in Loop: Header=BB4_4792 Depth=3
	s_xor_b32 s16, exec_lo, -1
; %bb.5791:                             ;   in Loop: Header=BB4_4792 Depth=3
	s_or_b32 exec_lo, exec_lo, s72
	s_and_b32 s16, s16, exec_lo
	s_or_saveexec_b32 s23, s23
	v_mov_b32_e32 v36, 0x7f800001
	s_xor_b32 exec_lo, exec_lo, s23
	s_cbranch_execnz .LBB4_6059
.LBB4_5792:                             ;   in Loop: Header=BB4_4792 Depth=3
	s_or_b32 exec_lo, exec_lo, s23
	s_and_saveexec_b32 s23, s16
	s_cbranch_execz .LBB4_5794
.LBB4_5793:                             ;   in Loop: Header=BB4_4792 Depth=3
	v_bfe_u32 v36, v1, 24, 2
	v_bfe_u32 v51, v1, 26, 5
	v_ffbh_u32_e32 v37, v36
	v_cmp_eq_u32_e32 vcc_lo, 0, v51
	v_min_u32_e32 v37, 32, v37
	v_subrev_nc_u32_e32 v50, 29, v37
	v_sub_nc_u32_e32 v37, 30, v37
	v_lshlrev_b32_sdwa v50, v50, v1 dst_sel:DWORD dst_unused:UNUSED_PAD src0_sel:DWORD src1_sel:BYTE_3
	v_cndmask_b32_e32 v37, v51, v37, vcc_lo
	v_and_b32_e32 v1, 0x80000000, v1
	v_and_b32_e32 v50, 3, v50
	v_lshl_add_u32 v37, v37, 23, 0x37800000
	v_cndmask_b32_e32 v36, v36, v50, vcc_lo
	v_lshlrev_b32_e32 v36, 21, v36
	v_or3_b32 v36, v1, v37, v36
.LBB4_5794:                             ;   in Loop: Header=BB4_4792 Depth=3
	s_or_b32 exec_lo, exec_lo, s23
	v_cmp_gt_i16_sdwa s23, v10, v100 src0_sel:BYTE_3 src1_sel:DWORD
	s_mov_b32 s16, 0
	s_and_saveexec_b32 s72, s23
	s_xor_b32 s23, exec_lo, s72
	s_cbranch_execz .LBB4_6060
; %bb.5795:                             ;   in Loop: Header=BB4_4792 Depth=3
	v_cmp_eq_u16_sdwa s73, v10, v101 src0_sel:BYTE_3 src1_sel:DWORD
	s_mov_b32 s16, -1
	s_and_saveexec_b32 s72, s73
; %bb.5796:                             ;   in Loop: Header=BB4_4792 Depth=3
	s_xor_b32 s16, exec_lo, -1
; %bb.5797:                             ;   in Loop: Header=BB4_4792 Depth=3
	s_or_b32 exec_lo, exec_lo, s72
	s_and_b32 s16, s16, exec_lo
	s_or_saveexec_b32 s23, s23
	v_mov_b32_e32 v1, 0x7f800001
	s_xor_b32 exec_lo, exec_lo, s23
	s_cbranch_execnz .LBB4_6061
.LBB4_5798:                             ;   in Loop: Header=BB4_4792 Depth=3
	s_or_b32 exec_lo, exec_lo, s23
	s_and_saveexec_b32 s23, s16
	s_cbranch_execz .LBB4_5800
.LBB4_5799:                             ;   in Loop: Header=BB4_4792 Depth=3
	v_bfe_u32 v1, v10, 24, 2
	v_bfe_u32 v51, v10, 26, 5
	v_ffbh_u32_e32 v37, v1
	v_cmp_eq_u32_e32 vcc_lo, 0, v51
	v_min_u32_e32 v37, 32, v37
	v_subrev_nc_u32_e32 v50, 29, v37
	v_sub_nc_u32_e32 v37, 30, v37
	v_lshlrev_b32_sdwa v50, v50, v10 dst_sel:DWORD dst_unused:UNUSED_PAD src0_sel:DWORD src1_sel:BYTE_3
	v_cndmask_b32_e32 v37, v51, v37, vcc_lo
	v_and_b32_e32 v10, 0x80000000, v10
	v_and_b32_e32 v50, 3, v50
	v_lshl_add_u32 v37, v37, 23, 0x37800000
	v_cndmask_b32_e32 v1, v1, v50, vcc_lo
	v_lshlrev_b32_e32 v1, 21, v1
	v_or3_b32 v1, v10, v37, v1
.LBB4_5800:                             ;   in Loop: Header=BB4_4792 Depth=3
	s_or_b32 exec_lo, exec_lo, s23
	v_add_f32_e32 v10, v36, v1
	v_and_b32_e32 v1, 0x7f800000, v10
	v_cmp_ne_u32_e32 vcc_lo, 0x7f800000, v1
	v_mov_b32_e32 v1, 0x8000
	s_and_saveexec_b32 s23, vcc_lo
	s_cbranch_execz .LBB4_5808
; %bb.5801:                             ;   in Loop: Header=BB4_4792 Depth=3
	v_mov_b32_e32 v1, 0
	s_mov_b32 s72, exec_lo
	v_cmpx_ne_u32_e32 0, v10
	s_cbranch_execz .LBB4_5807
; %bb.5802:                             ;   in Loop: Header=BB4_4792 Depth=3
	v_bfe_u32 v36, v10, 23, 8
	v_and_b32_e32 v1, 0x7fffff, v10
	v_cmp_gt_u32_e64 s16, 0x71, v36
	v_sub_nc_u32_e32 v37, 0x70, v36
	v_cmp_eq_u32_e32 vcc_lo, 0, v36
	v_or_b32_e32 v50, 0x800000, v1
	v_cndmask_b32_e64 v37, 0, v37, s16
	v_cndmask_b32_e32 v1, v50, v1, vcc_lo
	v_cndmask_b32_e64 v37, v37, 0x6f, vcc_lo
	v_lshl_add_u32 v50, 0x200000, v37, -1
	v_lshlrev_b32_e64 v51, v37, 0x100000
	v_and_b32_e32 v50, v50, v1
	v_cmp_eq_u32_e64 s16, v50, v51
	v_lshrrev_b32_e32 v50, v37, v1
	v_add_nc_u32_e32 v1, 0xffffff91, v36
	v_lshrrev_b32_e32 v36, 23, v50
	v_cndmask_b32_e64 v1, v1, 0xffffff92, vcc_lo
	v_xor_b32_e32 v36, 1, v36
	v_add_nc_u32_e32 v1, v37, v1
	v_bfe_u32 v37, v50, 21, 1
	v_add_nc_u32_e32 v37, -1, v37
	v_cndmask_b32_e64 v37, 0, v37, s16
	s_mov_b32 s16, exec_lo
	v_add_nc_u32_e32 v37, v37, v50
	v_and_b32_e32 v37, 0x1fffff, v37
	v_add_nc_u32_e32 v50, v37, v50
                                        ; implicit-def: $vgpr37
	v_cmpx_ne_u32_e64 v1, v36
	s_xor_b32 s16, exec_lo, s16
; %bb.5803:                             ;   in Loop: Header=BB4_4792 Depth=3
	v_cmp_lt_u32_e32 vcc_lo, 0xffffff, v50
	v_sub_nc_u32_e32 v1, v1, v36
	v_cndmask_b32_e64 v36, 0, 1, vcc_lo
	v_add_co_ci_u32_e64 v37, null, 0, v1, vcc_lo
	v_lshrrev_b32_e32 v50, v36, v50
; %bb.5804:                             ;   in Loop: Header=BB4_4792 Depth=3
	s_andn2_saveexec_b32 s16, s16
; %bb.5805:                             ;   in Loop: Header=BB4_4792 Depth=3
	v_bfe_u32 v37, v50, 23, 1
; %bb.5806:                             ;   in Loop: Header=BB4_4792 Depth=3
	s_or_b32 exec_lo, exec_lo, s16
	v_lshrrev_b32_e32 v1, 21, v50
	v_min_i32_e32 v36, 31, v37
	v_cmp_gt_i32_e32 vcc_lo, 32, v37
	v_and_b32_sdwa v10, v10, v101 dst_sel:DWORD dst_unused:UNUSED_PAD src0_sel:BYTE_3 src1_sel:DWORD
	v_lshlrev_b32_e32 v36, 2, v36
	v_cndmask_b32_e32 v1, 3, v1, vcc_lo
	v_and_b32_e32 v36, 0xfc, v36
	v_and_b32_e32 v50, 3, v1
	v_or_b32_e32 v1, v37, v1
	v_or3_b32 v10, v10, v36, v50
	v_cmp_ne_u32_e32 vcc_lo, 0, v1
	v_lshlrev_b32_e32 v10, 8, v10
	v_cndmask_b32_e32 v1, 0, v10, vcc_lo
.LBB4_5807:                             ;   in Loop: Header=BB4_4792 Depth=3
	s_or_b32 exec_lo, exec_lo, s72
.LBB4_5808:                             ;   in Loop: Header=BB4_4792 Depth=3
	s_or_b32 exec_lo, exec_lo, s23
	v_or_b32_e32 v36, v77, v74
	s_mov_b32 s16, 0
	v_cmp_gt_i16_sdwa s23, v36, v100 src0_sel:BYTE_0 src1_sel:DWORD
	s_and_saveexec_b32 s72, s23
	s_xor_b32 s23, exec_lo, s72
	s_cbranch_execz .LBB4_6062
; %bb.5809:                             ;   in Loop: Header=BB4_4792 Depth=3
	v_cmp_eq_u16_sdwa s73, v36, v101 src0_sel:BYTE_0 src1_sel:DWORD
	s_mov_b32 s16, -1
	s_and_saveexec_b32 s72, s73
; %bb.5810:                             ;   in Loop: Header=BB4_4792 Depth=3
	s_xor_b32 s16, exec_lo, -1
; %bb.5811:                             ;   in Loop: Header=BB4_4792 Depth=3
	s_or_b32 exec_lo, exec_lo, s72
	s_and_b32 s16, s16, exec_lo
	s_or_saveexec_b32 s23, s23
	v_mov_b32_e32 v10, 0x7f800001
	s_xor_b32 exec_lo, exec_lo, s23
	s_cbranch_execnz .LBB4_6063
.LBB4_5812:                             ;   in Loop: Header=BB4_4792 Depth=3
	s_or_b32 exec_lo, exec_lo, s23
	s_and_saveexec_b32 s23, s16
	s_cbranch_execz .LBB4_5814
.LBB4_5813:                             ;   in Loop: Header=BB4_4792 Depth=3
	v_and_b32_e32 v10, 3, v36
	v_bfe_u32 v51, v36, 2, 5
	v_lshlrev_b32_e32 v96, 24, v36
	v_ffbh_u32_e32 v37, v10
	v_cmp_eq_u32_e32 vcc_lo, 0, v51
	v_min_u32_e32 v37, 32, v37
	v_subrev_nc_u32_e32 v50, 29, v37
	v_sub_nc_u32_e32 v37, 30, v37
	v_lshlrev_b32_e32 v50, v50, v36
	v_cndmask_b32_e32 v37, v51, v37, vcc_lo
	v_and_b32_e32 v50, 3, v50
	v_lshl_add_u32 v37, v37, 23, 0x37800000
	v_cndmask_b32_e32 v10, v10, v50, vcc_lo
	v_and_b32_e32 v50, 0x80000000, v96
	v_lshlrev_b32_e32 v10, 21, v10
	v_or3_b32 v10, v50, v37, v10
.LBB4_5814:                             ;   in Loop: Header=BB4_4792 Depth=3
	s_or_b32 exec_lo, exec_lo, s23
	v_cmp_gt_i16_sdwa s23, v11, v100 src0_sel:BYTE_0 src1_sel:DWORD
	s_mov_b32 s16, 0
	s_and_saveexec_b32 s72, s23
	s_xor_b32 s23, exec_lo, s72
	s_cbranch_execz .LBB4_6064
; %bb.5815:                             ;   in Loop: Header=BB4_4792 Depth=3
	v_cmp_eq_u16_sdwa s73, v11, v101 src0_sel:BYTE_0 src1_sel:DWORD
	s_mov_b32 s16, -1
	s_and_saveexec_b32 s72, s73
; %bb.5816:                             ;   in Loop: Header=BB4_4792 Depth=3
	s_xor_b32 s16, exec_lo, -1
; %bb.5817:                             ;   in Loop: Header=BB4_4792 Depth=3
	s_or_b32 exec_lo, exec_lo, s72
	s_and_b32 s16, s16, exec_lo
	s_or_saveexec_b32 s23, s23
	v_mov_b32_e32 v37, 0x7f800001
	s_xor_b32 exec_lo, exec_lo, s23
	s_cbranch_execnz .LBB4_6065
.LBB4_5818:                             ;   in Loop: Header=BB4_4792 Depth=3
	s_or_b32 exec_lo, exec_lo, s23
	s_and_saveexec_b32 s23, s16
	s_cbranch_execz .LBB4_5820
.LBB4_5819:                             ;   in Loop: Header=BB4_4792 Depth=3
	v_and_b32_e32 v37, 3, v11
	v_bfe_u32 v96, v11, 2, 5
	v_lshlrev_b32_e32 v97, 24, v11
	v_ffbh_u32_e32 v50, v37
	v_cmp_eq_u32_e32 vcc_lo, 0, v96
	v_min_u32_e32 v50, 32, v50
	v_subrev_nc_u32_e32 v51, 29, v50
	v_sub_nc_u32_e32 v50, 30, v50
	v_lshlrev_b32_e32 v51, v51, v11
	v_cndmask_b32_e32 v50, v96, v50, vcc_lo
	v_and_b32_e32 v51, 3, v51
	v_lshl_add_u32 v50, v50, 23, 0x37800000
	v_cndmask_b32_e32 v37, v37, v51, vcc_lo
	v_and_b32_e32 v51, 0x80000000, v97
	v_lshlrev_b32_e32 v37, 21, v37
	v_or3_b32 v37, v51, v50, v37
.LBB4_5820:                             ;   in Loop: Header=BB4_4792 Depth=3
	s_or_b32 exec_lo, exec_lo, s23
	v_add_f32_e32 v37, v10, v37
	v_and_b32_e32 v10, 0x7f800000, v37
	v_cmp_ne_u32_e32 vcc_lo, 0x7f800000, v10
	v_mov_b32_e32 v10, 0x80
	s_and_saveexec_b32 s23, vcc_lo
	s_cbranch_execz .LBB4_5828
; %bb.5821:                             ;   in Loop: Header=BB4_4792 Depth=3
	v_mov_b32_e32 v10, 0
	s_mov_b32 s72, exec_lo
	v_cmpx_ne_u32_e32 0, v37
	s_cbranch_execz .LBB4_5827
; %bb.5822:                             ;   in Loop: Header=BB4_4792 Depth=3
	v_bfe_u32 v50, v37, 23, 8
	v_and_b32_e32 v10, 0x7fffff, v37
	v_cmp_gt_u32_e64 s16, 0x71, v50
	v_sub_nc_u32_e32 v51, 0x70, v50
	v_cmp_eq_u32_e32 vcc_lo, 0, v50
	v_or_b32_e32 v96, 0x800000, v10
	v_cndmask_b32_e64 v51, 0, v51, s16
	v_cndmask_b32_e32 v10, v96, v10, vcc_lo
	v_cndmask_b32_e64 v51, v51, 0x6f, vcc_lo
	v_lshl_add_u32 v96, 0x200000, v51, -1
	v_lshlrev_b32_e64 v97, v51, 0x100000
	v_and_b32_e32 v96, v96, v10
	v_cmp_eq_u32_e64 s16, v96, v97
	v_lshrrev_b32_e32 v96, v51, v10
	v_add_nc_u32_e32 v10, 0xffffff91, v50
	v_lshrrev_b32_e32 v50, 23, v96
	v_cndmask_b32_e64 v10, v10, 0xffffff92, vcc_lo
	v_xor_b32_e32 v50, 1, v50
	v_add_nc_u32_e32 v10, v51, v10
	v_bfe_u32 v51, v96, 21, 1
	v_add_nc_u32_e32 v51, -1, v51
	v_cndmask_b32_e64 v51, 0, v51, s16
	s_mov_b32 s16, exec_lo
	v_add_nc_u32_e32 v51, v51, v96
	v_and_b32_e32 v51, 0x1fffff, v51
	v_add_nc_u32_e32 v96, v51, v96
                                        ; implicit-def: $vgpr51
	v_cmpx_ne_u32_e64 v10, v50
	s_xor_b32 s16, exec_lo, s16
; %bb.5823:                             ;   in Loop: Header=BB4_4792 Depth=3
	v_cmp_lt_u32_e32 vcc_lo, 0xffffff, v96
	v_sub_nc_u32_e32 v10, v10, v50
	v_cndmask_b32_e64 v50, 0, 1, vcc_lo
	v_add_co_ci_u32_e64 v51, null, 0, v10, vcc_lo
	v_lshrrev_b32_e32 v96, v50, v96
; %bb.5824:                             ;   in Loop: Header=BB4_4792 Depth=3
	s_andn2_saveexec_b32 s16, s16
; %bb.5825:                             ;   in Loop: Header=BB4_4792 Depth=3
	v_bfe_u32 v51, v96, 23, 1
; %bb.5826:                             ;   in Loop: Header=BB4_4792 Depth=3
	s_or_b32 exec_lo, exec_lo, s16
	v_lshrrev_b32_e32 v10, 21, v96
	v_min_i32_e32 v50, 31, v51
	v_cmp_gt_i32_e32 vcc_lo, 32, v51
	v_and_b32_sdwa v37, v37, v101 dst_sel:DWORD dst_unused:UNUSED_PAD src0_sel:BYTE_3 src1_sel:DWORD
	v_lshlrev_b32_e32 v50, 2, v50
	v_cndmask_b32_e32 v10, 3, v10, vcc_lo
	v_and_b32_e32 v50, 0xfc, v50
	v_and_b32_e32 v96, 3, v10
	v_or_b32_e32 v10, v51, v10
	v_or3_b32 v37, v50, v37, v96
	v_cmp_ne_u32_e32 vcc_lo, 0, v10
	v_cndmask_b32_e32 v10, 0, v37, vcc_lo
.LBB4_5827:                             ;   in Loop: Header=BB4_4792 Depth=3
	s_or_b32 exec_lo, exec_lo, s72
.LBB4_5828:                             ;   in Loop: Header=BB4_4792 Depth=3
	s_or_b32 exec_lo, exec_lo, s23
	v_cmp_gt_i16_sdwa s23, v36, v100 src0_sel:BYTE_1 src1_sel:DWORD
	s_mov_b32 s16, 0
	s_and_saveexec_b32 s72, s23
	s_xor_b32 s23, exec_lo, s72
	s_cbranch_execz .LBB4_6066
; %bb.5829:                             ;   in Loop: Header=BB4_4792 Depth=3
	v_cmp_eq_u16_sdwa s73, v36, v101 src0_sel:BYTE_1 src1_sel:DWORD
	s_mov_b32 s16, -1
	s_and_saveexec_b32 s72, s73
; %bb.5830:                             ;   in Loop: Header=BB4_4792 Depth=3
	s_xor_b32 s16, exec_lo, -1
; %bb.5831:                             ;   in Loop: Header=BB4_4792 Depth=3
	s_or_b32 exec_lo, exec_lo, s72
	s_and_b32 s16, s16, exec_lo
	s_or_saveexec_b32 s23, s23
	v_mov_b32_e32 v37, 0x7f800001
	s_xor_b32 exec_lo, exec_lo, s23
	s_cbranch_execnz .LBB4_6067
.LBB4_5832:                             ;   in Loop: Header=BB4_4792 Depth=3
	s_or_b32 exec_lo, exec_lo, s23
	s_and_saveexec_b32 s23, s16
	s_cbranch_execz .LBB4_5834
.LBB4_5833:                             ;   in Loop: Header=BB4_4792 Depth=3
	v_and_b32_sdwa v37, v102, v36 dst_sel:DWORD dst_unused:UNUSED_PAD src0_sel:DWORD src1_sel:BYTE_1
	v_and_b32_e32 v50, 3, v37
	v_bfe_u32 v97, v37, 2, 5
	v_ffbh_u32_e32 v51, v50
	v_cmp_eq_u32_e32 vcc_lo, 0, v97
	v_min_u32_e32 v51, 32, v51
	v_subrev_nc_u32_e32 v96, 29, v51
	v_sub_nc_u32_e32 v51, 30, v51
	v_lshlrev_b32_e32 v37, v96, v37
	v_lshlrev_b32_sdwa v96, v103, v36 dst_sel:DWORD dst_unused:UNUSED_PAD src0_sel:DWORD src1_sel:BYTE_1
	v_cndmask_b32_e32 v51, v97, v51, vcc_lo
	v_and_b32_e32 v37, 3, v37
	v_lshl_add_u32 v51, v51, 23, 0x37800000
	v_cndmask_b32_e32 v37, v50, v37, vcc_lo
	v_and_b32_e32 v50, 0x80000000, v96
	v_lshlrev_b32_e32 v37, 21, v37
	v_or3_b32 v37, v50, v51, v37
.LBB4_5834:                             ;   in Loop: Header=BB4_4792 Depth=3
	s_or_b32 exec_lo, exec_lo, s23
	v_cmp_gt_i16_sdwa s23, v11, v100 src0_sel:BYTE_1 src1_sel:DWORD
	s_mov_b32 s16, 0
	s_and_saveexec_b32 s72, s23
	s_xor_b32 s23, exec_lo, s72
	s_cbranch_execz .LBB4_6068
; %bb.5835:                             ;   in Loop: Header=BB4_4792 Depth=3
	v_cmp_eq_u16_sdwa s73, v11, v101 src0_sel:BYTE_1 src1_sel:DWORD
	s_mov_b32 s16, -1
	s_and_saveexec_b32 s72, s73
; %bb.5836:                             ;   in Loop: Header=BB4_4792 Depth=3
	s_xor_b32 s16, exec_lo, -1
; %bb.5837:                             ;   in Loop: Header=BB4_4792 Depth=3
	s_or_b32 exec_lo, exec_lo, s72
	s_and_b32 s16, s16, exec_lo
	s_or_saveexec_b32 s23, s23
	v_mov_b32_e32 v50, 0x7f800001
	s_xor_b32 exec_lo, exec_lo, s23
	s_cbranch_execnz .LBB4_6069
.LBB4_5838:                             ;   in Loop: Header=BB4_4792 Depth=3
	s_or_b32 exec_lo, exec_lo, s23
	s_and_saveexec_b32 s23, s16
	s_cbranch_execz .LBB4_5840
.LBB4_5839:                             ;   in Loop: Header=BB4_4792 Depth=3
	v_and_b32_sdwa v50, v102, v11 dst_sel:DWORD dst_unused:UNUSED_PAD src0_sel:DWORD src1_sel:BYTE_1
	v_and_b32_e32 v51, 3, v50
	v_bfe_u32 v115, v50, 2, 5
	v_ffbh_u32_e32 v96, v51
	v_cmp_eq_u32_e32 vcc_lo, 0, v115
	v_min_u32_e32 v96, 32, v96
	v_subrev_nc_u32_e32 v97, 29, v96
	v_sub_nc_u32_e32 v96, 30, v96
	v_lshlrev_b32_e32 v50, v97, v50
	v_lshlrev_b32_sdwa v97, v103, v11 dst_sel:DWORD dst_unused:UNUSED_PAD src0_sel:DWORD src1_sel:BYTE_1
	v_cndmask_b32_e32 v96, v115, v96, vcc_lo
	v_and_b32_e32 v50, 3, v50
	v_lshl_add_u32 v96, v96, 23, 0x37800000
	v_cndmask_b32_e32 v50, v51, v50, vcc_lo
	v_and_b32_e32 v51, 0x80000000, v97
	v_lshlrev_b32_e32 v50, 21, v50
	v_or3_b32 v50, v51, v96, v50
.LBB4_5840:                             ;   in Loop: Header=BB4_4792 Depth=3
	s_or_b32 exec_lo, exec_lo, s23
	v_add_f32_e32 v50, v37, v50
	v_and_b32_e32 v37, 0x7f800000, v50
	v_cmp_ne_u32_e32 vcc_lo, 0x7f800000, v37
	v_mov_b32_e32 v37, 0x8000
	s_and_saveexec_b32 s23, vcc_lo
	s_cbranch_execz .LBB4_5848
; %bb.5841:                             ;   in Loop: Header=BB4_4792 Depth=3
	v_mov_b32_e32 v37, 0
	s_mov_b32 s72, exec_lo
	v_cmpx_ne_u32_e32 0, v50
	s_cbranch_execz .LBB4_5847
; %bb.5842:                             ;   in Loop: Header=BB4_4792 Depth=3
	v_bfe_u32 v51, v50, 23, 8
	v_and_b32_e32 v37, 0x7fffff, v50
	v_cmp_gt_u32_e64 s16, 0x71, v51
	v_sub_nc_u32_e32 v96, 0x70, v51
	v_cmp_eq_u32_e32 vcc_lo, 0, v51
	v_or_b32_e32 v97, 0x800000, v37
	v_cndmask_b32_e64 v96, 0, v96, s16
	v_cndmask_b32_e32 v37, v97, v37, vcc_lo
	v_cndmask_b32_e64 v96, v96, 0x6f, vcc_lo
	v_lshl_add_u32 v97, 0x200000, v96, -1
	v_lshlrev_b32_e64 v115, v96, 0x100000
	v_and_b32_e32 v97, v97, v37
	v_cmp_eq_u32_e64 s16, v97, v115
	v_lshrrev_b32_e32 v97, v96, v37
	v_add_nc_u32_e32 v37, 0xffffff91, v51
	v_lshrrev_b32_e32 v51, 23, v97
	v_cndmask_b32_e64 v37, v37, 0xffffff92, vcc_lo
	v_xor_b32_e32 v51, 1, v51
	v_add_nc_u32_e32 v37, v96, v37
	v_bfe_u32 v96, v97, 21, 1
	v_add_nc_u32_e32 v96, -1, v96
	v_cndmask_b32_e64 v96, 0, v96, s16
	s_mov_b32 s16, exec_lo
	v_add_nc_u32_e32 v96, v96, v97
	v_and_b32_e32 v96, 0x1fffff, v96
	v_add_nc_u32_e32 v97, v96, v97
                                        ; implicit-def: $vgpr96
	v_cmpx_ne_u32_e64 v37, v51
	s_xor_b32 s16, exec_lo, s16
; %bb.5843:                             ;   in Loop: Header=BB4_4792 Depth=3
	v_cmp_lt_u32_e32 vcc_lo, 0xffffff, v97
	v_sub_nc_u32_e32 v37, v37, v51
	v_cndmask_b32_e64 v51, 0, 1, vcc_lo
	v_add_co_ci_u32_e64 v96, null, 0, v37, vcc_lo
	v_lshrrev_b32_e32 v97, v51, v97
; %bb.5844:                             ;   in Loop: Header=BB4_4792 Depth=3
	s_andn2_saveexec_b32 s16, s16
; %bb.5845:                             ;   in Loop: Header=BB4_4792 Depth=3
	v_bfe_u32 v96, v97, 23, 1
; %bb.5846:                             ;   in Loop: Header=BB4_4792 Depth=3
	s_or_b32 exec_lo, exec_lo, s16
	v_lshrrev_b32_e32 v37, 21, v97
	v_min_i32_e32 v51, 31, v96
	v_cmp_gt_i32_e32 vcc_lo, 32, v96
	v_and_b32_sdwa v50, v50, v101 dst_sel:DWORD dst_unused:UNUSED_PAD src0_sel:BYTE_3 src1_sel:DWORD
	v_lshlrev_b32_e32 v51, 2, v51
	v_cndmask_b32_e32 v37, 3, v37, vcc_lo
	v_and_b32_e32 v51, 0xfc, v51
	v_and_b32_e32 v97, 3, v37
	v_or_b32_e32 v37, v96, v37
	v_or3_b32 v50, v50, v51, v97
	v_cmp_ne_u32_e32 vcc_lo, 0, v37
	v_lshlrev_b32_e32 v50, 8, v50
	v_cndmask_b32_e32 v37, 0, v50, vcc_lo
.LBB4_5847:                             ;   in Loop: Header=BB4_4792 Depth=3
	s_or_b32 exec_lo, exec_lo, s72
.LBB4_5848:                             ;   in Loop: Header=BB4_4792 Depth=3
	s_or_b32 exec_lo, exec_lo, s23
	v_or_b32_e32 v50, v75, v73
	s_mov_b32 s16, 0
	v_cmp_gt_i16_sdwa s23, v50, v100 src0_sel:BYTE_0 src1_sel:DWORD
	s_and_saveexec_b32 s72, s23
	s_xor_b32 s23, exec_lo, s72
	s_cbranch_execz .LBB4_6070
; %bb.5849:                             ;   in Loop: Header=BB4_4792 Depth=3
	v_cmp_eq_u16_sdwa s73, v50, v101 src0_sel:BYTE_0 src1_sel:DWORD
	s_mov_b32 s16, -1
	s_and_saveexec_b32 s72, s73
; %bb.5850:                             ;   in Loop: Header=BB4_4792 Depth=3
	s_xor_b32 s16, exec_lo, -1
; %bb.5851:                             ;   in Loop: Header=BB4_4792 Depth=3
	s_or_b32 exec_lo, exec_lo, s72
	s_and_b32 s16, s16, exec_lo
	s_or_saveexec_b32 s23, s23
	v_mov_b32_e32 v51, 0x7f800001
	s_xor_b32 exec_lo, exec_lo, s23
	s_cbranch_execnz .LBB4_6071
.LBB4_5852:                             ;   in Loop: Header=BB4_4792 Depth=3
	s_or_b32 exec_lo, exec_lo, s23
	v_lshl_or_b32 v50, v50, 16, v36
	s_and_saveexec_b32 s23, s16
	s_cbranch_execz .LBB4_5854
.LBB4_5853:                             ;   in Loop: Header=BB4_4792 Depth=3
	v_bfe_u32 v36, v50, 16, 2
	v_bfe_u32 v97, v50, 18, 5
	v_lshlrev_b32_e32 v115, 8, v50
	v_ffbh_u32_e32 v51, v36
	v_cmp_eq_u32_e32 vcc_lo, 0, v97
	v_min_u32_e32 v51, 32, v51
	v_subrev_nc_u32_e32 v96, 29, v51
	v_sub_nc_u32_e32 v51, 30, v51
	v_lshlrev_b32_sdwa v96, v96, v50 dst_sel:DWORD dst_unused:UNUSED_PAD src0_sel:DWORD src1_sel:WORD_1
	v_cndmask_b32_e32 v51, v97, v51, vcc_lo
	v_and_b32_e32 v96, 3, v96
	v_lshl_add_u32 v51, v51, 23, 0x37800000
	v_cndmask_b32_e32 v36, v36, v96, vcc_lo
	v_and_b32_e32 v96, 0x80000000, v115
	v_lshlrev_b32_e32 v36, 21, v36
	v_or3_b32 v51, v96, v51, v36
.LBB4_5854:                             ;   in Loop: Header=BB4_4792 Depth=3
	s_or_b32 exec_lo, exec_lo, s23
	v_and_b32_sdwa v96, v11, v112 dst_sel:DWORD dst_unused:UNUSED_PAD src0_sel:WORD_1 src1_sel:DWORD
	s_mov_b32 s16, 0
	s_mov_b32 s23, exec_lo
	v_cmpx_lt_i16_e32 0x7f, v96
	s_xor_b32 s23, exec_lo, s23
	s_cbranch_execz .LBB4_6072
; %bb.5855:                             ;   in Loop: Header=BB4_4792 Depth=3
	s_mov_b32 s16, -1
	s_mov_b32 s72, exec_lo
	v_cmpx_eq_u16_e32 0x80, v96
; %bb.5856:                             ;   in Loop: Header=BB4_4792 Depth=3
	s_xor_b32 s16, exec_lo, -1
; %bb.5857:                             ;   in Loop: Header=BB4_4792 Depth=3
	s_or_b32 exec_lo, exec_lo, s72
	s_and_b32 s16, s16, exec_lo
                                        ; implicit-def: $vgpr96
	s_or_saveexec_b32 s23, s23
	v_mov_b32_e32 v36, 0x7f800001
	s_xor_b32 exec_lo, exec_lo, s23
	s_cbranch_execnz .LBB4_6073
.LBB4_5858:                             ;   in Loop: Header=BB4_4792 Depth=3
	s_or_b32 exec_lo, exec_lo, s23
	s_and_saveexec_b32 s23, s16
	s_cbranch_execz .LBB4_5860
.LBB4_5859:                             ;   in Loop: Header=BB4_4792 Depth=3
	v_bfe_u32 v36, v11, 16, 2
	v_bfe_u32 v115, v11, 18, 5
	v_lshlrev_b32_e32 v40, 8, v11
	v_ffbh_u32_e32 v96, v36
	v_cmp_eq_u32_e32 vcc_lo, 0, v115
	v_min_u32_e32 v96, 32, v96
	v_subrev_nc_u32_e32 v97, 29, v96
	v_sub_nc_u32_e32 v96, 30, v96
	v_lshlrev_b32_sdwa v97, v97, v11 dst_sel:DWORD dst_unused:UNUSED_PAD src0_sel:DWORD src1_sel:WORD_1
	v_cndmask_b32_e32 v96, v115, v96, vcc_lo
	v_and_b32_e32 v97, 3, v97
	v_lshl_add_u32 v96, v96, 23, 0x37800000
	v_cndmask_b32_e32 v36, v36, v97, vcc_lo
	v_and_b32_e32 v97, 0x80000000, v40
	v_lshlrev_b32_e32 v36, 21, v36
	v_or3_b32 v36, v97, v96, v36
.LBB4_5860:                             ;   in Loop: Header=BB4_4792 Depth=3
	s_or_b32 exec_lo, exec_lo, s23
	v_add_f32_e32 v51, v51, v36
	v_and_b32_e32 v36, 0x7f800000, v51
	v_cmp_ne_u32_e32 vcc_lo, 0x7f800000, v36
	v_mov_b32_e32 v36, 0x80
	s_and_saveexec_b32 s23, vcc_lo
	s_cbranch_execz .LBB4_5868
; %bb.5861:                             ;   in Loop: Header=BB4_4792 Depth=3
	v_mov_b32_e32 v36, 0
	s_mov_b32 s72, exec_lo
	v_cmpx_ne_u32_e32 0, v51
	s_cbranch_execz .LBB4_5867
; %bb.5862:                             ;   in Loop: Header=BB4_4792 Depth=3
	v_bfe_u32 v96, v51, 23, 8
	v_and_b32_e32 v36, 0x7fffff, v51
	v_cmp_gt_u32_e64 s16, 0x71, v96
	v_sub_nc_u32_e32 v97, 0x70, v96
	v_cmp_eq_u32_e32 vcc_lo, 0, v96
	v_or_b32_e32 v115, 0x800000, v36
	v_cndmask_b32_e64 v97, 0, v97, s16
	v_cndmask_b32_e32 v36, v115, v36, vcc_lo
	v_cndmask_b32_e64 v97, v97, 0x6f, vcc_lo
	v_lshl_add_u32 v115, 0x200000, v97, -1
	v_lshlrev_b32_e64 v40, v97, 0x100000
	v_and_b32_e32 v115, v115, v36
	v_cmp_eq_u32_e64 s16, v115, v40
	v_lshrrev_b32_e32 v115, v97, v36
	v_add_nc_u32_e32 v36, 0xffffff91, v96
	v_lshrrev_b32_e32 v96, 23, v115
	v_cndmask_b32_e64 v36, v36, 0xffffff92, vcc_lo
	v_xor_b32_e32 v96, 1, v96
	v_add_nc_u32_e32 v36, v97, v36
	v_bfe_u32 v97, v115, 21, 1
	v_add_nc_u32_e32 v97, -1, v97
	v_cndmask_b32_e64 v97, 0, v97, s16
	s_mov_b32 s16, exec_lo
	v_add_nc_u32_e32 v97, v97, v115
	v_and_b32_e32 v97, 0x1fffff, v97
	v_add_nc_u32_e32 v40, v97, v115
                                        ; implicit-def: $vgpr97
	v_cmpx_ne_u32_e64 v36, v96
	s_xor_b32 s16, exec_lo, s16
; %bb.5863:                             ;   in Loop: Header=BB4_4792 Depth=3
	v_cmp_lt_u32_e32 vcc_lo, 0xffffff, v40
	v_sub_nc_u32_e32 v36, v36, v96
	v_cndmask_b32_e64 v96, 0, 1, vcc_lo
	v_add_co_ci_u32_e64 v97, null, 0, v36, vcc_lo
	v_lshrrev_b32_e32 v40, v96, v40
; %bb.5864:                             ;   in Loop: Header=BB4_4792 Depth=3
	s_andn2_saveexec_b32 s16, s16
; %bb.5865:                             ;   in Loop: Header=BB4_4792 Depth=3
	v_bfe_u32 v97, v40, 23, 1
; %bb.5866:                             ;   in Loop: Header=BB4_4792 Depth=3
	s_or_b32 exec_lo, exec_lo, s16
	v_lshrrev_b32_e32 v36, 21, v40
	v_min_i32_e32 v96, 31, v97
	v_cmp_gt_i32_e32 vcc_lo, 32, v97
	v_and_b32_sdwa v51, v51, v101 dst_sel:DWORD dst_unused:UNUSED_PAD src0_sel:BYTE_3 src1_sel:DWORD
	v_lshlrev_b32_e32 v96, 2, v96
	v_cndmask_b32_e32 v36, 3, v36, vcc_lo
	v_and_b32_e32 v96, 0xfc, v96
	v_and_b32_e32 v115, 3, v36
	v_or_b32_e32 v36, v97, v36
	v_or3_b32 v51, v96, v51, v115
	v_cmp_ne_u32_e32 vcc_lo, 0, v36
	v_cndmask_b32_e32 v36, 0, v51, vcc_lo
.LBB4_5867:                             ;   in Loop: Header=BB4_4792 Depth=3
	s_or_b32 exec_lo, exec_lo, s72
.LBB4_5868:                             ;   in Loop: Header=BB4_4792 Depth=3
	s_or_b32 exec_lo, exec_lo, s23
	v_cmp_gt_i16_sdwa s23, v50, v100 src0_sel:BYTE_3 src1_sel:DWORD
	s_mov_b32 s16, 0
	s_and_saveexec_b32 s72, s23
	s_xor_b32 s23, exec_lo, s72
	s_cbranch_execz .LBB4_6074
; %bb.5869:                             ;   in Loop: Header=BB4_4792 Depth=3
	v_cmp_eq_u16_sdwa s73, v50, v101 src0_sel:BYTE_3 src1_sel:DWORD
	s_mov_b32 s16, -1
	s_and_saveexec_b32 s72, s73
; %bb.5870:                             ;   in Loop: Header=BB4_4792 Depth=3
	s_xor_b32 s16, exec_lo, -1
; %bb.5871:                             ;   in Loop: Header=BB4_4792 Depth=3
	s_or_b32 exec_lo, exec_lo, s72
	s_and_b32 s16, s16, exec_lo
	s_or_saveexec_b32 s23, s23
	v_mov_b32_e32 v51, 0x7f800001
	s_xor_b32 exec_lo, exec_lo, s23
	s_cbranch_execnz .LBB4_6075
.LBB4_5872:                             ;   in Loop: Header=BB4_4792 Depth=3
	s_or_b32 exec_lo, exec_lo, s23
	s_and_saveexec_b32 s23, s16
	s_cbranch_execz .LBB4_5874
.LBB4_5873:                             ;   in Loop: Header=BB4_4792 Depth=3
	v_bfe_u32 v51, v50, 24, 2
	v_bfe_u32 v115, v50, 26, 5
	v_ffbh_u32_e32 v96, v51
	v_cmp_eq_u32_e32 vcc_lo, 0, v115
	v_min_u32_e32 v96, 32, v96
	v_subrev_nc_u32_e32 v97, 29, v96
	v_sub_nc_u32_e32 v96, 30, v96
	v_lshlrev_b32_sdwa v97, v97, v50 dst_sel:DWORD dst_unused:UNUSED_PAD src0_sel:DWORD src1_sel:BYTE_3
	v_cndmask_b32_e32 v96, v115, v96, vcc_lo
	v_and_b32_e32 v50, 0x80000000, v50
	v_and_b32_e32 v97, 3, v97
	v_lshl_add_u32 v96, v96, 23, 0x37800000
	v_cndmask_b32_e32 v51, v51, v97, vcc_lo
	v_lshlrev_b32_e32 v51, 21, v51
	v_or3_b32 v51, v50, v96, v51
.LBB4_5874:                             ;   in Loop: Header=BB4_4792 Depth=3
	s_or_b32 exec_lo, exec_lo, s23
	v_cmp_gt_i16_sdwa s23, v11, v100 src0_sel:BYTE_3 src1_sel:DWORD
	s_mov_b32 s16, 0
	s_and_saveexec_b32 s72, s23
	s_xor_b32 s23, exec_lo, s72
	s_cbranch_execz .LBB4_6076
; %bb.5875:                             ;   in Loop: Header=BB4_4792 Depth=3
	v_cmp_eq_u16_sdwa s73, v11, v101 src0_sel:BYTE_3 src1_sel:DWORD
	s_mov_b32 s16, -1
	s_and_saveexec_b32 s72, s73
; %bb.5876:                             ;   in Loop: Header=BB4_4792 Depth=3
	s_xor_b32 s16, exec_lo, -1
; %bb.5877:                             ;   in Loop: Header=BB4_4792 Depth=3
	s_or_b32 exec_lo, exec_lo, s72
	s_and_b32 s16, s16, exec_lo
	s_or_saveexec_b32 s23, s23
	v_mov_b32_e32 v50, 0x7f800001
	s_xor_b32 exec_lo, exec_lo, s23
	s_cbranch_execnz .LBB4_6077
.LBB4_5878:                             ;   in Loop: Header=BB4_4792 Depth=3
	s_or_b32 exec_lo, exec_lo, s23
	s_and_saveexec_b32 s23, s16
	s_cbranch_execz .LBB4_5880
.LBB4_5879:                             ;   in Loop: Header=BB4_4792 Depth=3
	v_bfe_u32 v50, v11, 24, 2
	v_bfe_u32 v115, v11, 26, 5
	v_ffbh_u32_e32 v96, v50
	v_cmp_eq_u32_e32 vcc_lo, 0, v115
	v_min_u32_e32 v96, 32, v96
	v_subrev_nc_u32_e32 v97, 29, v96
	v_sub_nc_u32_e32 v96, 30, v96
	v_lshlrev_b32_sdwa v97, v97, v11 dst_sel:DWORD dst_unused:UNUSED_PAD src0_sel:DWORD src1_sel:BYTE_3
	v_cndmask_b32_e32 v96, v115, v96, vcc_lo
	v_and_b32_e32 v11, 0x80000000, v11
	v_and_b32_e32 v97, 3, v97
	v_lshl_add_u32 v96, v96, 23, 0x37800000
	v_cndmask_b32_e32 v50, v50, v97, vcc_lo
	v_lshlrev_b32_e32 v50, 21, v50
	v_or3_b32 v50, v11, v96, v50
.LBB4_5880:                             ;   in Loop: Header=BB4_4792 Depth=3
	s_or_b32 exec_lo, exec_lo, s23
	v_add_f32_e32 v11, v51, v50
	v_and_b32_e32 v50, 0x7f800000, v11
	v_cmp_ne_u32_e32 vcc_lo, 0x7f800000, v50
	v_mov_b32_e32 v50, 0x8000
	s_and_saveexec_b32 s23, vcc_lo
	s_cbranch_execz .LBB4_4791
; %bb.5881:                             ;   in Loop: Header=BB4_4792 Depth=3
	v_mov_b32_e32 v50, 0
	s_mov_b32 s72, exec_lo
	v_cmpx_ne_u32_e32 0, v11
	s_cbranch_execz .LBB4_4790
; %bb.5882:                             ;   in Loop: Header=BB4_4792 Depth=3
	v_bfe_u32 v51, v11, 23, 8
	v_and_b32_e32 v50, 0x7fffff, v11
	v_cmp_gt_u32_e64 s16, 0x71, v51
	v_sub_nc_u32_e32 v96, 0x70, v51
	v_cmp_eq_u32_e32 vcc_lo, 0, v51
	v_or_b32_e32 v97, 0x800000, v50
	v_cndmask_b32_e64 v96, 0, v96, s16
	v_cndmask_b32_e32 v50, v97, v50, vcc_lo
	v_cndmask_b32_e64 v96, v96, 0x6f, vcc_lo
	v_lshl_add_u32 v97, 0x200000, v96, -1
	v_lshlrev_b32_e64 v115, v96, 0x100000
	v_and_b32_e32 v97, v97, v50
	v_cmp_eq_u32_e64 s16, v97, v115
	v_lshrrev_b32_e32 v97, v96, v50
	v_add_nc_u32_e32 v50, 0xffffff91, v51
	v_lshrrev_b32_e32 v51, 23, v97
	v_cndmask_b32_e64 v50, v50, 0xffffff92, vcc_lo
	v_xor_b32_e32 v51, 1, v51
	v_add_nc_u32_e32 v50, v96, v50
	v_bfe_u32 v96, v97, 21, 1
	v_add_nc_u32_e32 v96, -1, v96
	v_cndmask_b32_e64 v96, 0, v96, s16
	s_mov_b32 s16, exec_lo
	v_add_nc_u32_e32 v96, v96, v97
	v_and_b32_e32 v96, 0x1fffff, v96
	v_add_nc_u32_e32 v97, v96, v97
                                        ; implicit-def: $vgpr96
	v_cmpx_ne_u32_e64 v50, v51
	s_xor_b32 s16, exec_lo, s16
; %bb.5883:                             ;   in Loop: Header=BB4_4792 Depth=3
	v_cmp_lt_u32_e32 vcc_lo, 0xffffff, v97
	v_sub_nc_u32_e32 v50, v50, v51
	v_cndmask_b32_e64 v51, 0, 1, vcc_lo
	v_add_co_ci_u32_e64 v96, null, 0, v50, vcc_lo
	v_lshrrev_b32_e32 v97, v51, v97
; %bb.5884:                             ;   in Loop: Header=BB4_4792 Depth=3
	s_andn2_saveexec_b32 s16, s16
	s_cbranch_execz .LBB4_4789
; %bb.5885:                             ;   in Loop: Header=BB4_4792 Depth=3
	v_bfe_u32 v96, v97, 23, 1
	s_branch .LBB4_4789
.LBB4_5886:                             ;   in Loop: Header=BB4_4792 Depth=3
	s_or_saveexec_b32 s72, s72
	v_mov_b32_e32 v1, 0x7f800001
	s_xor_b32 exec_lo, exec_lo, s72
	s_cbranch_execz .LBB4_4804
.LBB4_5887:                             ;   in Loop: Header=BB4_4792 Depth=3
	v_cmp_ne_u16_sdwa s73, v8, v2 src0_sel:BYTE_0 src1_sel:DWORD
	v_mov_b32_e32 v1, 0
	s_andn2_b32 s16, s16, exec_lo
	s_and_b32 s73, s73, exec_lo
	s_or_b32 s16, s16, s73
	s_or_b32 exec_lo, exec_lo, s72
	s_and_saveexec_b32 s72, s16
	s_cbranch_execnz .LBB4_4805
	s_branch .LBB4_4806
.LBB4_5888:                             ;   in Loop: Header=BB4_4792 Depth=3
	s_or_saveexec_b32 s72, s72
	v_mov_b32_e32 v1, 0x7f800001
	s_xor_b32 exec_lo, exec_lo, s72
	s_cbranch_execz .LBB4_4818
.LBB4_5889:                             ;   in Loop: Header=BB4_4792 Depth=3
	v_cmp_ne_u16_sdwa s73, v8, v2 src0_sel:BYTE_1 src1_sel:DWORD
	v_mov_b32_e32 v1, 0
	s_andn2_b32 s16, s16, exec_lo
	s_and_b32 s73, s73, exec_lo
	s_or_b32 s16, s16, s73
	s_or_b32 exec_lo, exec_lo, s72
	s_and_saveexec_b32 s72, s16
	s_cbranch_execnz .LBB4_4819
	s_branch .LBB4_4820
.LBB4_5890:                             ;   in Loop: Header=BB4_4792 Depth=3
	s_or_saveexec_b32 s72, s72
	v_mov_b32_e32 v1, 0x7f800001
	s_xor_b32 exec_lo, exec_lo, s72
	s_cbranch_execz .LBB4_4832
.LBB4_5891:                             ;   in Loop: Header=BB4_4792 Depth=3
	v_cmp_ne_u16_e32 vcc_lo, 0, v4
	v_mov_b32_e32 v1, 0
	s_andn2_b32 s16, s16, exec_lo
	s_and_b32 s73, vcc_lo, exec_lo
	s_or_b32 s16, s16, s73
	s_or_b32 exec_lo, exec_lo, s72
	s_and_saveexec_b32 s72, s16
	s_cbranch_execnz .LBB4_4833
	s_branch .LBB4_4834
.LBB4_5892:                             ;   in Loop: Header=BB4_4792 Depth=3
	s_or_saveexec_b32 s72, s72
	v_mov_b32_e32 v1, 0x7f800001
	s_xor_b32 exec_lo, exec_lo, s72
	s_cbranch_execz .LBB4_4846
.LBB4_5893:                             ;   in Loop: Header=BB4_4792 Depth=3
	v_cmp_ne_u16_sdwa s73, v8, v2 src0_sel:BYTE_3 src1_sel:DWORD
	v_mov_b32_e32 v1, 0
	s_andn2_b32 s16, s16, exec_lo
	s_and_b32 s73, s73, exec_lo
	s_or_b32 s16, s16, s73
	s_or_b32 exec_lo, exec_lo, s72
	s_and_saveexec_b32 s72, s16
	s_cbranch_execnz .LBB4_4847
	s_branch .LBB4_4848
.LBB4_5894:                             ;   in Loop: Header=BB4_4792 Depth=3
	s_or_saveexec_b32 s72, s72
	v_mov_b32_e32 v1, 0x7f800001
	s_xor_b32 exec_lo, exec_lo, s72
	s_cbranch_execz .LBB4_4860
.LBB4_5895:                             ;   in Loop: Header=BB4_4792 Depth=3
	v_cmp_ne_u16_sdwa s73, v9, v2 src0_sel:BYTE_0 src1_sel:DWORD
	v_mov_b32_e32 v1, 0
	s_andn2_b32 s16, s16, exec_lo
	s_and_b32 s73, s73, exec_lo
	s_or_b32 s16, s16, s73
	s_or_b32 exec_lo, exec_lo, s72
	s_and_saveexec_b32 s72, s16
	s_cbranch_execnz .LBB4_4861
	s_branch .LBB4_4862
.LBB4_5896:                             ;   in Loop: Header=BB4_4792 Depth=3
	s_or_saveexec_b32 s72, s72
	v_mov_b32_e32 v1, 0x7f800001
	s_xor_b32 exec_lo, exec_lo, s72
	s_cbranch_execz .LBB4_4874
.LBB4_5897:                             ;   in Loop: Header=BB4_4792 Depth=3
	v_cmp_ne_u16_sdwa s73, v9, v2 src0_sel:BYTE_1 src1_sel:DWORD
	v_mov_b32_e32 v1, 0
	s_andn2_b32 s16, s16, exec_lo
	s_and_b32 s73, s73, exec_lo
	s_or_b32 s16, s16, s73
	s_or_b32 exec_lo, exec_lo, s72
	s_and_saveexec_b32 s72, s16
	s_cbranch_execnz .LBB4_4875
	s_branch .LBB4_4876
.LBB4_5898:                             ;   in Loop: Header=BB4_4792 Depth=3
	s_or_saveexec_b32 s72, s72
	v_mov_b32_e32 v1, 0x7f800001
	s_xor_b32 exec_lo, exec_lo, s72
	s_cbranch_execz .LBB4_4888
.LBB4_5899:                             ;   in Loop: Header=BB4_4792 Depth=3
	v_cmp_ne_u16_e32 vcc_lo, 0, v4
	v_mov_b32_e32 v1, 0
	s_andn2_b32 s16, s16, exec_lo
	s_and_b32 s73, vcc_lo, exec_lo
	s_or_b32 s16, s16, s73
	s_or_b32 exec_lo, exec_lo, s72
	s_and_saveexec_b32 s72, s16
	s_cbranch_execnz .LBB4_4889
	s_branch .LBB4_4890
.LBB4_5900:                             ;   in Loop: Header=BB4_4792 Depth=3
	s_or_saveexec_b32 s72, s72
	v_mov_b32_e32 v1, 0x7f800001
	s_xor_b32 exec_lo, exec_lo, s72
	s_cbranch_execz .LBB4_4902
.LBB4_5901:                             ;   in Loop: Header=BB4_4792 Depth=3
	v_cmp_ne_u16_sdwa s73, v9, v2 src0_sel:BYTE_3 src1_sel:DWORD
	v_mov_b32_e32 v1, 0
	s_andn2_b32 s16, s16, exec_lo
	s_and_b32 s73, s73, exec_lo
	s_or_b32 s16, s16, s73
	s_or_b32 exec_lo, exec_lo, s72
	s_and_saveexec_b32 s72, s16
	s_cbranch_execnz .LBB4_4903
	s_branch .LBB4_4904
.LBB4_5902:                             ;   in Loop: Header=BB4_4792 Depth=3
	s_or_saveexec_b32 s72, s72
	v_mov_b32_e32 v1, 0x7f800001
	s_xor_b32 exec_lo, exec_lo, s72
	s_cbranch_execz .LBB4_4916
.LBB4_5903:                             ;   in Loop: Header=BB4_4792 Depth=3
	v_cmp_ne_u16_sdwa s73, v10, v2 src0_sel:BYTE_0 src1_sel:DWORD
	v_mov_b32_e32 v1, 0
	s_andn2_b32 s16, s16, exec_lo
	s_and_b32 s73, s73, exec_lo
	s_or_b32 s16, s16, s73
	s_or_b32 exec_lo, exec_lo, s72
	s_and_saveexec_b32 s72, s16
	s_cbranch_execnz .LBB4_4917
	s_branch .LBB4_4918
.LBB4_5904:                             ;   in Loop: Header=BB4_4792 Depth=3
	s_or_saveexec_b32 s72, s72
	v_mov_b32_e32 v1, 0x7f800001
	s_xor_b32 exec_lo, exec_lo, s72
	s_cbranch_execz .LBB4_4930
.LBB4_5905:                             ;   in Loop: Header=BB4_4792 Depth=3
	v_cmp_ne_u16_sdwa s73, v10, v2 src0_sel:BYTE_1 src1_sel:DWORD
	v_mov_b32_e32 v1, 0
	s_andn2_b32 s16, s16, exec_lo
	s_and_b32 s73, s73, exec_lo
	s_or_b32 s16, s16, s73
	s_or_b32 exec_lo, exec_lo, s72
	s_and_saveexec_b32 s72, s16
	s_cbranch_execnz .LBB4_4931
	s_branch .LBB4_4932
.LBB4_5906:                             ;   in Loop: Header=BB4_4792 Depth=3
	s_or_saveexec_b32 s72, s72
	v_mov_b32_e32 v1, 0x7f800001
	s_xor_b32 exec_lo, exec_lo, s72
	s_cbranch_execz .LBB4_4944
.LBB4_5907:                             ;   in Loop: Header=BB4_4792 Depth=3
	v_cmp_ne_u16_e32 vcc_lo, 0, v4
	v_mov_b32_e32 v1, 0
	s_andn2_b32 s16, s16, exec_lo
	s_and_b32 s73, vcc_lo, exec_lo
	s_or_b32 s16, s16, s73
	s_or_b32 exec_lo, exec_lo, s72
	s_and_saveexec_b32 s72, s16
	s_cbranch_execnz .LBB4_4945
	s_branch .LBB4_4946
.LBB4_5908:                             ;   in Loop: Header=BB4_4792 Depth=3
	s_or_saveexec_b32 s72, s72
	v_mov_b32_e32 v1, 0x7f800001
	s_xor_b32 exec_lo, exec_lo, s72
	s_cbranch_execz .LBB4_4958
.LBB4_5909:                             ;   in Loop: Header=BB4_4792 Depth=3
	v_cmp_ne_u16_sdwa s73, v10, v2 src0_sel:BYTE_3 src1_sel:DWORD
	v_mov_b32_e32 v1, 0
	s_andn2_b32 s16, s16, exec_lo
	s_and_b32 s73, s73, exec_lo
	s_or_b32 s16, s16, s73
	s_or_b32 exec_lo, exec_lo, s72
	s_and_saveexec_b32 s72, s16
	s_cbranch_execnz .LBB4_4959
	s_branch .LBB4_4960
.LBB4_5910:                             ;   in Loop: Header=BB4_4792 Depth=3
	s_or_saveexec_b32 s72, s72
	v_mov_b32_e32 v1, 0x7f800001
	s_xor_b32 exec_lo, exec_lo, s72
	s_cbranch_execz .LBB4_4972
.LBB4_5911:                             ;   in Loop: Header=BB4_4792 Depth=3
	v_cmp_ne_u16_sdwa s73, v11, v2 src0_sel:BYTE_0 src1_sel:DWORD
	v_mov_b32_e32 v1, 0
	s_andn2_b32 s16, s16, exec_lo
	s_and_b32 s73, s73, exec_lo
	s_or_b32 s16, s16, s73
	s_or_b32 exec_lo, exec_lo, s72
	s_and_saveexec_b32 s72, s16
	s_cbranch_execnz .LBB4_4973
	s_branch .LBB4_4974
.LBB4_5912:                             ;   in Loop: Header=BB4_4792 Depth=3
	s_or_saveexec_b32 s72, s72
	v_mov_b32_e32 v1, 0x7f800001
	s_xor_b32 exec_lo, exec_lo, s72
	s_cbranch_execz .LBB4_4986
.LBB4_5913:                             ;   in Loop: Header=BB4_4792 Depth=3
	v_cmp_ne_u16_sdwa s73, v11, v2 src0_sel:BYTE_1 src1_sel:DWORD
	v_mov_b32_e32 v1, 0
	s_andn2_b32 s16, s16, exec_lo
	s_and_b32 s73, s73, exec_lo
	s_or_b32 s16, s16, s73
	s_or_b32 exec_lo, exec_lo, s72
	s_and_saveexec_b32 s72, s16
	s_cbranch_execnz .LBB4_4987
	s_branch .LBB4_4988
.LBB4_5914:                             ;   in Loop: Header=BB4_4792 Depth=3
	s_or_saveexec_b32 s72, s72
	v_mov_b32_e32 v1, 0x7f800001
	s_xor_b32 exec_lo, exec_lo, s72
	s_cbranch_execz .LBB4_5000
.LBB4_5915:                             ;   in Loop: Header=BB4_4792 Depth=3
	v_cmp_ne_u16_e32 vcc_lo, 0, v4
	v_mov_b32_e32 v1, 0
	s_andn2_b32 s16, s16, exec_lo
	s_and_b32 s73, vcc_lo, exec_lo
	s_or_b32 s16, s16, s73
	s_or_b32 exec_lo, exec_lo, s72
	s_and_saveexec_b32 s72, s16
	s_cbranch_execnz .LBB4_5001
	s_branch .LBB4_5002
.LBB4_5916:                             ;   in Loop: Header=BB4_4792 Depth=3
	s_or_saveexec_b32 s72, s72
	v_mov_b32_e32 v1, 0x7f800001
	s_xor_b32 exec_lo, exec_lo, s72
	s_cbranch_execz .LBB4_5014
.LBB4_5917:                             ;   in Loop: Header=BB4_4792 Depth=3
	v_cmp_ne_u16_sdwa s73, v11, v2 src0_sel:BYTE_3 src1_sel:DWORD
	v_mov_b32_e32 v1, 0
	s_andn2_b32 s16, s16, exec_lo
	s_and_b32 s73, s73, exec_lo
	s_or_b32 s16, s16, s73
	s_or_b32 exec_lo, exec_lo, s72
	s_and_saveexec_b32 s72, s16
	s_cbranch_execnz .LBB4_5015
	s_branch .LBB4_5016
.LBB4_5918:                             ;   in Loop: Header=BB4_4792 Depth=3
	s_or_saveexec_b32 s72, s72
	v_mov_b32_e32 v1, 0x7f800001
	s_xor_b32 exec_lo, exec_lo, s72
	s_cbranch_execz .LBB4_5028
.LBB4_5919:                             ;   in Loop: Header=BB4_4792 Depth=3
	v_cmp_ne_u16_sdwa s73, v8, v2 src0_sel:BYTE_0 src1_sel:DWORD
	v_mov_b32_e32 v1, 0
	s_andn2_b32 s16, s16, exec_lo
	s_and_b32 s73, s73, exec_lo
	s_or_b32 s16, s16, s73
	s_or_b32 exec_lo, exec_lo, s72
	s_and_saveexec_b32 s72, s16
	s_cbranch_execnz .LBB4_5029
	s_branch .LBB4_5030
.LBB4_5920:                             ;   in Loop: Header=BB4_4792 Depth=3
	s_or_saveexec_b32 s72, s72
	v_mov_b32_e32 v1, 0x7f800001
	s_xor_b32 exec_lo, exec_lo, s72
	s_cbranch_execz .LBB4_5042
.LBB4_5921:                             ;   in Loop: Header=BB4_4792 Depth=3
	v_cmp_ne_u16_sdwa s73, v8, v2 src0_sel:BYTE_1 src1_sel:DWORD
	v_mov_b32_e32 v1, 0
	s_andn2_b32 s16, s16, exec_lo
	s_and_b32 s73, s73, exec_lo
	s_or_b32 s16, s16, s73
	s_or_b32 exec_lo, exec_lo, s72
	s_and_saveexec_b32 s72, s16
	s_cbranch_execnz .LBB4_5043
	s_branch .LBB4_5044
.LBB4_5922:                             ;   in Loop: Header=BB4_4792 Depth=3
	s_or_saveexec_b32 s72, s72
	v_mov_b32_e32 v1, 0x7f800001
	s_xor_b32 exec_lo, exec_lo, s72
	s_cbranch_execz .LBB4_5056
.LBB4_5923:                             ;   in Loop: Header=BB4_4792 Depth=3
	v_cmp_ne_u16_e32 vcc_lo, 0, v4
	v_mov_b32_e32 v1, 0
	s_andn2_b32 s16, s16, exec_lo
	s_and_b32 s73, vcc_lo, exec_lo
	s_or_b32 s16, s16, s73
	s_or_b32 exec_lo, exec_lo, s72
	s_and_saveexec_b32 s72, s16
	s_cbranch_execnz .LBB4_5057
	s_branch .LBB4_5058
.LBB4_5924:                             ;   in Loop: Header=BB4_4792 Depth=3
	s_or_saveexec_b32 s72, s72
	v_mov_b32_e32 v1, 0x7f800001
	s_xor_b32 exec_lo, exec_lo, s72
	s_cbranch_execz .LBB4_5070
.LBB4_5925:                             ;   in Loop: Header=BB4_4792 Depth=3
	v_cmp_ne_u16_sdwa s73, v8, v2 src0_sel:BYTE_3 src1_sel:DWORD
	v_mov_b32_e32 v1, 0
	s_andn2_b32 s16, s16, exec_lo
	s_and_b32 s73, s73, exec_lo
	s_or_b32 s16, s16, s73
	s_or_b32 exec_lo, exec_lo, s72
	s_and_saveexec_b32 s72, s16
	s_cbranch_execnz .LBB4_5071
	s_branch .LBB4_5072
.LBB4_5926:                             ;   in Loop: Header=BB4_4792 Depth=3
	s_or_saveexec_b32 s72, s72
	v_mov_b32_e32 v1, 0x7f800001
	s_xor_b32 exec_lo, exec_lo, s72
	s_cbranch_execz .LBB4_5084
.LBB4_5927:                             ;   in Loop: Header=BB4_4792 Depth=3
	v_cmp_ne_u16_sdwa s73, v9, v2 src0_sel:BYTE_0 src1_sel:DWORD
	v_mov_b32_e32 v1, 0
	s_andn2_b32 s16, s16, exec_lo
	s_and_b32 s73, s73, exec_lo
	s_or_b32 s16, s16, s73
	s_or_b32 exec_lo, exec_lo, s72
	s_and_saveexec_b32 s72, s16
	s_cbranch_execnz .LBB4_5085
	s_branch .LBB4_5086
.LBB4_5928:                             ;   in Loop: Header=BB4_4792 Depth=3
	s_or_saveexec_b32 s72, s72
	v_mov_b32_e32 v1, 0x7f800001
	s_xor_b32 exec_lo, exec_lo, s72
	s_cbranch_execz .LBB4_5098
.LBB4_5929:                             ;   in Loop: Header=BB4_4792 Depth=3
	v_cmp_ne_u16_sdwa s73, v9, v2 src0_sel:BYTE_1 src1_sel:DWORD
	v_mov_b32_e32 v1, 0
	s_andn2_b32 s16, s16, exec_lo
	s_and_b32 s73, s73, exec_lo
	s_or_b32 s16, s16, s73
	s_or_b32 exec_lo, exec_lo, s72
	s_and_saveexec_b32 s72, s16
	s_cbranch_execnz .LBB4_5099
	s_branch .LBB4_5100
.LBB4_5930:                             ;   in Loop: Header=BB4_4792 Depth=3
	s_or_saveexec_b32 s72, s72
	v_mov_b32_e32 v1, 0x7f800001
	s_xor_b32 exec_lo, exec_lo, s72
	s_cbranch_execz .LBB4_5112
.LBB4_5931:                             ;   in Loop: Header=BB4_4792 Depth=3
	v_cmp_ne_u16_e32 vcc_lo, 0, v4
	v_mov_b32_e32 v1, 0
	s_andn2_b32 s16, s16, exec_lo
	s_and_b32 s73, vcc_lo, exec_lo
	s_or_b32 s16, s16, s73
	s_or_b32 exec_lo, exec_lo, s72
	s_and_saveexec_b32 s72, s16
	s_cbranch_execnz .LBB4_5113
	s_branch .LBB4_5114
.LBB4_5932:                             ;   in Loop: Header=BB4_4792 Depth=3
	s_or_saveexec_b32 s72, s72
	v_mov_b32_e32 v1, 0x7f800001
	s_xor_b32 exec_lo, exec_lo, s72
	s_cbranch_execz .LBB4_5126
.LBB4_5933:                             ;   in Loop: Header=BB4_4792 Depth=3
	v_cmp_ne_u16_sdwa s73, v9, v2 src0_sel:BYTE_3 src1_sel:DWORD
	v_mov_b32_e32 v1, 0
	s_andn2_b32 s16, s16, exec_lo
	s_and_b32 s73, s73, exec_lo
	s_or_b32 s16, s16, s73
	s_or_b32 exec_lo, exec_lo, s72
	s_and_saveexec_b32 s72, s16
	s_cbranch_execnz .LBB4_5127
	s_branch .LBB4_5128
.LBB4_5934:                             ;   in Loop: Header=BB4_4792 Depth=3
	s_or_saveexec_b32 s72, s72
	v_mov_b32_e32 v1, 0x7f800001
	s_xor_b32 exec_lo, exec_lo, s72
	s_cbranch_execz .LBB4_5140
.LBB4_5935:                             ;   in Loop: Header=BB4_4792 Depth=3
	v_cmp_ne_u16_sdwa s73, v10, v2 src0_sel:BYTE_0 src1_sel:DWORD
	v_mov_b32_e32 v1, 0
	s_andn2_b32 s16, s16, exec_lo
	s_and_b32 s73, s73, exec_lo
	s_or_b32 s16, s16, s73
	s_or_b32 exec_lo, exec_lo, s72
	s_and_saveexec_b32 s72, s16
	s_cbranch_execnz .LBB4_5141
	s_branch .LBB4_5142
.LBB4_5936:                             ;   in Loop: Header=BB4_4792 Depth=3
	s_or_saveexec_b32 s72, s72
	v_mov_b32_e32 v1, 0x7f800001
	s_xor_b32 exec_lo, exec_lo, s72
	s_cbranch_execz .LBB4_5154
.LBB4_5937:                             ;   in Loop: Header=BB4_4792 Depth=3
	v_cmp_ne_u16_sdwa s73, v10, v2 src0_sel:BYTE_1 src1_sel:DWORD
	v_mov_b32_e32 v1, 0
	s_andn2_b32 s16, s16, exec_lo
	s_and_b32 s73, s73, exec_lo
	s_or_b32 s16, s16, s73
	s_or_b32 exec_lo, exec_lo, s72
	s_and_saveexec_b32 s72, s16
	s_cbranch_execnz .LBB4_5155
	s_branch .LBB4_5156
.LBB4_5938:                             ;   in Loop: Header=BB4_4792 Depth=3
	s_or_saveexec_b32 s72, s72
	v_mov_b32_e32 v1, 0x7f800001
	s_xor_b32 exec_lo, exec_lo, s72
	s_cbranch_execz .LBB4_5168
.LBB4_5939:                             ;   in Loop: Header=BB4_4792 Depth=3
	v_cmp_ne_u16_e32 vcc_lo, 0, v4
	v_mov_b32_e32 v1, 0
	s_andn2_b32 s16, s16, exec_lo
	s_and_b32 s73, vcc_lo, exec_lo
	s_or_b32 s16, s16, s73
	s_or_b32 exec_lo, exec_lo, s72
	s_and_saveexec_b32 s72, s16
	s_cbranch_execnz .LBB4_5169
	s_branch .LBB4_5170
.LBB4_5940:                             ;   in Loop: Header=BB4_4792 Depth=3
	s_or_saveexec_b32 s72, s72
	v_mov_b32_e32 v1, 0x7f800001
	s_xor_b32 exec_lo, exec_lo, s72
	s_cbranch_execz .LBB4_5182
.LBB4_5941:                             ;   in Loop: Header=BB4_4792 Depth=3
	v_cmp_ne_u16_sdwa s73, v10, v2 src0_sel:BYTE_3 src1_sel:DWORD
	v_mov_b32_e32 v1, 0
	s_andn2_b32 s16, s16, exec_lo
	s_and_b32 s73, s73, exec_lo
	s_or_b32 s16, s16, s73
	s_or_b32 exec_lo, exec_lo, s72
	s_and_saveexec_b32 s72, s16
	s_cbranch_execnz .LBB4_5183
	s_branch .LBB4_5184
.LBB4_5942:                             ;   in Loop: Header=BB4_4792 Depth=3
	s_or_saveexec_b32 s72, s72
	v_mov_b32_e32 v1, 0x7f800001
	s_xor_b32 exec_lo, exec_lo, s72
	s_cbranch_execz .LBB4_5196
.LBB4_5943:                             ;   in Loop: Header=BB4_4792 Depth=3
	v_cmp_ne_u16_sdwa s73, v11, v2 src0_sel:BYTE_0 src1_sel:DWORD
	v_mov_b32_e32 v1, 0
	s_andn2_b32 s16, s16, exec_lo
	s_and_b32 s73, s73, exec_lo
	s_or_b32 s16, s16, s73
	s_or_b32 exec_lo, exec_lo, s72
	s_and_saveexec_b32 s72, s16
	s_cbranch_execnz .LBB4_5197
	s_branch .LBB4_5198
.LBB4_5944:                             ;   in Loop: Header=BB4_4792 Depth=3
	s_or_saveexec_b32 s72, s72
	v_mov_b32_e32 v1, 0x7f800001
	s_xor_b32 exec_lo, exec_lo, s72
	s_cbranch_execz .LBB4_5210
.LBB4_5945:                             ;   in Loop: Header=BB4_4792 Depth=3
	v_cmp_ne_u16_sdwa s73, v11, v2 src0_sel:BYTE_1 src1_sel:DWORD
	v_mov_b32_e32 v1, 0
	s_andn2_b32 s16, s16, exec_lo
	s_and_b32 s73, s73, exec_lo
	s_or_b32 s16, s16, s73
	s_or_b32 exec_lo, exec_lo, s72
	s_and_saveexec_b32 s72, s16
	s_cbranch_execnz .LBB4_5211
	s_branch .LBB4_5212
.LBB4_5946:                             ;   in Loop: Header=BB4_4792 Depth=3
	s_or_saveexec_b32 s72, s72
	v_mov_b32_e32 v1, 0x7f800001
	s_xor_b32 exec_lo, exec_lo, s72
	s_cbranch_execz .LBB4_5224
.LBB4_5947:                             ;   in Loop: Header=BB4_4792 Depth=3
	v_cmp_ne_u16_e32 vcc_lo, 0, v4
	v_mov_b32_e32 v1, 0
	s_andn2_b32 s16, s16, exec_lo
	s_and_b32 s73, vcc_lo, exec_lo
	s_or_b32 s16, s16, s73
	s_or_b32 exec_lo, exec_lo, s72
	s_and_saveexec_b32 s72, s16
	s_cbranch_execnz .LBB4_5225
	s_branch .LBB4_5226
.LBB4_5948:                             ;   in Loop: Header=BB4_4792 Depth=3
	s_or_saveexec_b32 s72, s72
	v_mov_b32_e32 v1, 0x7f800001
	s_xor_b32 exec_lo, exec_lo, s72
	s_cbranch_execz .LBB4_5238
.LBB4_5949:                             ;   in Loop: Header=BB4_4792 Depth=3
	v_cmp_ne_u16_sdwa s73, v11, v2 src0_sel:BYTE_3 src1_sel:DWORD
	v_mov_b32_e32 v1, 0
	s_andn2_b32 s16, s16, exec_lo
	s_and_b32 s73, s73, exec_lo
	s_or_b32 s16, s16, s73
	s_or_b32 exec_lo, exec_lo, s72
	s_and_saveexec_b32 s72, s16
	s_cbranch_execnz .LBB4_5239
	s_branch .LBB4_5240
.LBB4_5950:                             ;   in Loop: Header=BB4_4792 Depth=3
	s_or_saveexec_b32 s16, s16
	v_mov_b32_e32 v4, 0x7f800001
	s_xor_b32 exec_lo, exec_lo, s16
	s_cbranch_execz .LBB4_5252
.LBB4_5951:                             ;   in Loop: Header=BB4_4792 Depth=3
	v_cmp_ne_u16_sdwa s72, v1, v2 src0_sel:BYTE_0 src1_sel:DWORD
	v_mov_b32_e32 v4, 0
	s_andn2_b32 s23, s23, exec_lo
	s_and_b32 s72, s72, exec_lo
	s_or_b32 s23, s23, s72
	s_or_b32 exec_lo, exec_lo, s16
	s_and_saveexec_b32 s16, s23
	s_cbranch_execnz .LBB4_5253
	s_branch .LBB4_5254
.LBB4_5952:                             ;   in Loop: Header=BB4_4792 Depth=3
	s_or_saveexec_b32 s16, s16
	v_mov_b32_e32 v5, 0x7f800001
	s_xor_b32 exec_lo, exec_lo, s16
	s_cbranch_execz .LBB4_5258
.LBB4_5953:                             ;   in Loop: Header=BB4_4792 Depth=3
	v_cmp_ne_u16_sdwa s72, v12, v2 src0_sel:BYTE_0 src1_sel:DWORD
	v_mov_b32_e32 v5, 0
	s_andn2_b32 s23, s23, exec_lo
	s_and_b32 s72, s72, exec_lo
	s_or_b32 s23, s23, s72
	s_or_b32 exec_lo, exec_lo, s16
	s_and_saveexec_b32 s16, s23
	s_cbranch_execnz .LBB4_5259
	s_branch .LBB4_5260
.LBB4_5954:                             ;   in Loop: Header=BB4_4792 Depth=3
	s_or_saveexec_b32 s16, s16
	v_mov_b32_e32 v4, 0x7f800001
	s_xor_b32 exec_lo, exec_lo, s16
	s_cbranch_execz .LBB4_5272
.LBB4_5955:                             ;   in Loop: Header=BB4_4792 Depth=3
	v_cmp_ne_u16_sdwa s72, v1, v2 src0_sel:BYTE_1 src1_sel:DWORD
	v_mov_b32_e32 v4, 0
	s_andn2_b32 s23, s23, exec_lo
	s_and_b32 s72, s72, exec_lo
	s_or_b32 s23, s23, s72
	s_or_b32 exec_lo, exec_lo, s16
	s_and_saveexec_b32 s16, s23
	s_cbranch_execnz .LBB4_5273
	s_branch .LBB4_5274
.LBB4_5956:                             ;   in Loop: Header=BB4_4792 Depth=3
	s_or_saveexec_b32 s16, s16
	v_mov_b32_e32 v5, 0x7f800001
	s_xor_b32 exec_lo, exec_lo, s16
	s_cbranch_execz .LBB4_5278
.LBB4_5957:                             ;   in Loop: Header=BB4_4792 Depth=3
	v_cmp_ne_u16_sdwa s72, v12, v2 src0_sel:BYTE_1 src1_sel:DWORD
	v_mov_b32_e32 v5, 0
	s_andn2_b32 s23, s23, exec_lo
	s_and_b32 s72, s72, exec_lo
	s_or_b32 s23, s23, s72
	s_or_b32 exec_lo, exec_lo, s16
	s_and_saveexec_b32 s16, s23
	s_cbranch_execnz .LBB4_5279
	s_branch .LBB4_5280
.LBB4_5958:                             ;   in Loop: Header=BB4_4792 Depth=3
	s_or_saveexec_b32 s16, s16
	v_mov_b32_e32 v4, 0x7f800001
	s_xor_b32 exec_lo, exec_lo, s16
	s_cbranch_execz .LBB4_5292
.LBB4_5959:                             ;   in Loop: Header=BB4_4792 Depth=3
	v_cmp_ne_u16_sdwa s72, v5, v2 src0_sel:BYTE_0 src1_sel:DWORD
	v_mov_b32_e32 v4, 0
	s_andn2_b32 s23, s23, exec_lo
	s_and_b32 s72, s72, exec_lo
	s_or_b32 s23, s23, s72
	s_or_b32 exec_lo, exec_lo, s16
	v_lshl_or_b32 v1, v5, 16, v1
	s_and_saveexec_b32 s16, s23
	s_cbranch_execnz .LBB4_5293
	s_branch .LBB4_5294
.LBB4_5960:                             ;   in Loop: Header=BB4_4792 Depth=3
	s_or_saveexec_b32 s16, s16
	v_mov_b32_e32 v5, 0x7f800001
	s_xor_b32 exec_lo, exec_lo, s16
	s_cbranch_execz .LBB4_5298
.LBB4_5961:                             ;   in Loop: Header=BB4_4792 Depth=3
	v_cmp_ne_u16_e32 vcc_lo, 0, v16
	v_mov_b32_e32 v5, 0
	s_andn2_b32 s23, s23, exec_lo
	s_and_b32 s72, vcc_lo, exec_lo
	s_or_b32 s23, s23, s72
	s_or_b32 exec_lo, exec_lo, s16
	s_and_saveexec_b32 s16, s23
	s_cbranch_execnz .LBB4_5299
	s_branch .LBB4_5300
.LBB4_5962:                             ;   in Loop: Header=BB4_4792 Depth=3
	s_or_saveexec_b32 s16, s16
	v_mov_b32_e32 v4, 0x7f800001
	s_xor_b32 exec_lo, exec_lo, s16
	s_cbranch_execz .LBB4_5312
.LBB4_5963:                             ;   in Loop: Header=BB4_4792 Depth=3
	v_cmp_ne_u16_sdwa s72, v1, v2 src0_sel:BYTE_3 src1_sel:DWORD
	v_mov_b32_e32 v4, 0
	s_andn2_b32 s23, s23, exec_lo
	s_and_b32 s72, s72, exec_lo
	s_or_b32 s23, s23, s72
	s_or_b32 exec_lo, exec_lo, s16
	s_and_saveexec_b32 s16, s23
	s_cbranch_execnz .LBB4_5313
	s_branch .LBB4_5314
.LBB4_5964:                             ;   in Loop: Header=BB4_4792 Depth=3
	s_or_saveexec_b32 s16, s16
	v_mov_b32_e32 v1, 0x7f800001
	s_xor_b32 exec_lo, exec_lo, s16
	s_cbranch_execz .LBB4_5318
.LBB4_5965:                             ;   in Loop: Header=BB4_4792 Depth=3
	v_cmp_ne_u16_sdwa s72, v12, v2 src0_sel:BYTE_3 src1_sel:DWORD
	v_mov_b32_e32 v1, 0
	s_andn2_b32 s23, s23, exec_lo
	s_and_b32 s72, s72, exec_lo
	s_or_b32 s23, s23, s72
	s_or_b32 exec_lo, exec_lo, s16
	s_and_saveexec_b32 s16, s23
	s_cbranch_execnz .LBB4_5319
	s_branch .LBB4_5320
.LBB4_5966:                             ;   in Loop: Header=BB4_4792 Depth=3
	s_or_saveexec_b32 s16, s16
	v_mov_b32_e32 v4, 0x7f800001
	s_xor_b32 exec_lo, exec_lo, s16
	s_cbranch_execz .LBB4_5332
.LBB4_5967:                             ;   in Loop: Header=BB4_4792 Depth=3
	v_cmp_ne_u16_sdwa s72, v1, v2 src0_sel:BYTE_0 src1_sel:DWORD
	v_mov_b32_e32 v4, 0
	s_andn2_b32 s23, s23, exec_lo
	s_and_b32 s72, s72, exec_lo
	s_or_b32 s23, s23, s72
	s_or_b32 exec_lo, exec_lo, s16
	s_and_saveexec_b32 s16, s23
	s_cbranch_execnz .LBB4_5333
	s_branch .LBB4_5334
.LBB4_5968:                             ;   in Loop: Header=BB4_4792 Depth=3
	s_or_saveexec_b32 s16, s16
	v_mov_b32_e32 v5, 0x7f800001
	s_xor_b32 exec_lo, exec_lo, s16
	s_cbranch_execz .LBB4_5338
.LBB4_5969:                             ;   in Loop: Header=BB4_4792 Depth=3
	v_cmp_ne_u16_sdwa s72, v13, v2 src0_sel:BYTE_0 src1_sel:DWORD
	v_mov_b32_e32 v5, 0
	s_andn2_b32 s23, s23, exec_lo
	s_and_b32 s72, s72, exec_lo
	s_or_b32 s23, s23, s72
	s_or_b32 exec_lo, exec_lo, s16
	s_and_saveexec_b32 s16, s23
	s_cbranch_execnz .LBB4_5339
	s_branch .LBB4_5340
.LBB4_5970:                             ;   in Loop: Header=BB4_4792 Depth=3
	s_or_saveexec_b32 s16, s16
	v_mov_b32_e32 v4, 0x7f800001
	s_xor_b32 exec_lo, exec_lo, s16
	s_cbranch_execz .LBB4_5352
.LBB4_5971:                             ;   in Loop: Header=BB4_4792 Depth=3
	v_cmp_ne_u16_sdwa s72, v1, v2 src0_sel:BYTE_1 src1_sel:DWORD
	v_mov_b32_e32 v4, 0
	s_andn2_b32 s23, s23, exec_lo
	s_and_b32 s72, s72, exec_lo
	s_or_b32 s23, s23, s72
	s_or_b32 exec_lo, exec_lo, s16
	s_and_saveexec_b32 s16, s23
	s_cbranch_execnz .LBB4_5353
	s_branch .LBB4_5354
.LBB4_5972:                             ;   in Loop: Header=BB4_4792 Depth=3
	s_or_saveexec_b32 s16, s16
	v_mov_b32_e32 v5, 0x7f800001
	s_xor_b32 exec_lo, exec_lo, s16
	s_cbranch_execz .LBB4_5358
.LBB4_5973:                             ;   in Loop: Header=BB4_4792 Depth=3
	v_cmp_ne_u16_sdwa s72, v13, v2 src0_sel:BYTE_1 src1_sel:DWORD
	v_mov_b32_e32 v5, 0
	s_andn2_b32 s23, s23, exec_lo
	s_and_b32 s72, s72, exec_lo
	s_or_b32 s23, s23, s72
	s_or_b32 exec_lo, exec_lo, s16
	s_and_saveexec_b32 s16, s23
	s_cbranch_execnz .LBB4_5359
	s_branch .LBB4_5360
.LBB4_5974:                             ;   in Loop: Header=BB4_4792 Depth=3
	s_or_saveexec_b32 s16, s16
	v_mov_b32_e32 v4, 0x7f800001
	s_xor_b32 exec_lo, exec_lo, s16
	s_cbranch_execz .LBB4_5372
.LBB4_5975:                             ;   in Loop: Header=BB4_4792 Depth=3
	v_cmp_ne_u16_sdwa s72, v5, v2 src0_sel:BYTE_0 src1_sel:DWORD
	v_mov_b32_e32 v4, 0
	s_andn2_b32 s23, s23, exec_lo
	s_and_b32 s72, s72, exec_lo
	s_or_b32 s23, s23, s72
	s_or_b32 exec_lo, exec_lo, s16
	v_lshl_or_b32 v1, v5, 16, v1
	s_and_saveexec_b32 s16, s23
	s_cbranch_execnz .LBB4_5373
	s_branch .LBB4_5374
.LBB4_5976:                             ;   in Loop: Header=BB4_4792 Depth=3
	s_or_saveexec_b32 s16, s16
	v_mov_b32_e32 v5, 0x7f800001
	s_xor_b32 exec_lo, exec_lo, s16
	s_cbranch_execz .LBB4_5378
.LBB4_5977:                             ;   in Loop: Header=BB4_4792 Depth=3
	v_cmp_ne_u16_e32 vcc_lo, 0, v16
	v_mov_b32_e32 v5, 0
	s_andn2_b32 s23, s23, exec_lo
	s_and_b32 s72, vcc_lo, exec_lo
	s_or_b32 s23, s23, s72
	s_or_b32 exec_lo, exec_lo, s16
	s_and_saveexec_b32 s16, s23
	s_cbranch_execnz .LBB4_5379
	s_branch .LBB4_5380
.LBB4_5978:                             ;   in Loop: Header=BB4_4792 Depth=3
	s_or_saveexec_b32 s16, s16
	v_mov_b32_e32 v4, 0x7f800001
	s_xor_b32 exec_lo, exec_lo, s16
	s_cbranch_execz .LBB4_5392
.LBB4_5979:                             ;   in Loop: Header=BB4_4792 Depth=3
	v_cmp_ne_u16_sdwa s72, v1, v2 src0_sel:BYTE_3 src1_sel:DWORD
	v_mov_b32_e32 v4, 0
	s_andn2_b32 s23, s23, exec_lo
	s_and_b32 s72, s72, exec_lo
	s_or_b32 s23, s23, s72
	s_or_b32 exec_lo, exec_lo, s16
	s_and_saveexec_b32 s16, s23
	s_cbranch_execnz .LBB4_5393
	s_branch .LBB4_5394
.LBB4_5980:                             ;   in Loop: Header=BB4_4792 Depth=3
	s_or_saveexec_b32 s16, s16
	v_mov_b32_e32 v1, 0x7f800001
	s_xor_b32 exec_lo, exec_lo, s16
	s_cbranch_execz .LBB4_5398
.LBB4_5981:                             ;   in Loop: Header=BB4_4792 Depth=3
	v_cmp_ne_u16_sdwa s72, v13, v2 src0_sel:BYTE_3 src1_sel:DWORD
	v_mov_b32_e32 v1, 0
	s_andn2_b32 s23, s23, exec_lo
	s_and_b32 s72, s72, exec_lo
	s_or_b32 s23, s23, s72
	s_or_b32 exec_lo, exec_lo, s16
	s_and_saveexec_b32 s16, s23
	s_cbranch_execnz .LBB4_5399
	s_branch .LBB4_5400
.LBB4_5982:                             ;   in Loop: Header=BB4_4792 Depth=3
	s_or_saveexec_b32 s16, s16
	v_mov_b32_e32 v4, 0x7f800001
	s_xor_b32 exec_lo, exec_lo, s16
	s_cbranch_execz .LBB4_5412
.LBB4_5983:                             ;   in Loop: Header=BB4_4792 Depth=3
	v_cmp_ne_u16_sdwa s72, v1, v2 src0_sel:BYTE_0 src1_sel:DWORD
	v_mov_b32_e32 v4, 0
	s_andn2_b32 s23, s23, exec_lo
	s_and_b32 s72, s72, exec_lo
	s_or_b32 s23, s23, s72
	s_or_b32 exec_lo, exec_lo, s16
	s_and_saveexec_b32 s16, s23
	s_cbranch_execnz .LBB4_5413
	s_branch .LBB4_5414
.LBB4_5984:                             ;   in Loop: Header=BB4_4792 Depth=3
	s_or_saveexec_b32 s16, s16
	v_mov_b32_e32 v5, 0x7f800001
	s_xor_b32 exec_lo, exec_lo, s16
	s_cbranch_execz .LBB4_5418
.LBB4_5985:                             ;   in Loop: Header=BB4_4792 Depth=3
	v_cmp_ne_u16_sdwa s72, v14, v2 src0_sel:BYTE_0 src1_sel:DWORD
	v_mov_b32_e32 v5, 0
	s_andn2_b32 s23, s23, exec_lo
	s_and_b32 s72, s72, exec_lo
	s_or_b32 s23, s23, s72
	s_or_b32 exec_lo, exec_lo, s16
	s_and_saveexec_b32 s16, s23
	s_cbranch_execnz .LBB4_5419
	s_branch .LBB4_5420
.LBB4_5986:                             ;   in Loop: Header=BB4_4792 Depth=3
	s_or_saveexec_b32 s16, s16
	v_mov_b32_e32 v4, 0x7f800001
	s_xor_b32 exec_lo, exec_lo, s16
	s_cbranch_execz .LBB4_5432
.LBB4_5987:                             ;   in Loop: Header=BB4_4792 Depth=3
	v_cmp_ne_u16_sdwa s72, v1, v2 src0_sel:BYTE_1 src1_sel:DWORD
	v_mov_b32_e32 v4, 0
	s_andn2_b32 s23, s23, exec_lo
	s_and_b32 s72, s72, exec_lo
	s_or_b32 s23, s23, s72
	s_or_b32 exec_lo, exec_lo, s16
	s_and_saveexec_b32 s16, s23
	s_cbranch_execnz .LBB4_5433
	s_branch .LBB4_5434
.LBB4_5988:                             ;   in Loop: Header=BB4_4792 Depth=3
	s_or_saveexec_b32 s16, s16
	v_mov_b32_e32 v5, 0x7f800001
	s_xor_b32 exec_lo, exec_lo, s16
	s_cbranch_execz .LBB4_5438
.LBB4_5989:                             ;   in Loop: Header=BB4_4792 Depth=3
	v_cmp_ne_u16_sdwa s72, v14, v2 src0_sel:BYTE_1 src1_sel:DWORD
	v_mov_b32_e32 v5, 0
	s_andn2_b32 s23, s23, exec_lo
	s_and_b32 s72, s72, exec_lo
	s_or_b32 s23, s23, s72
	s_or_b32 exec_lo, exec_lo, s16
	s_and_saveexec_b32 s16, s23
	s_cbranch_execnz .LBB4_5439
	s_branch .LBB4_5440
.LBB4_5990:                             ;   in Loop: Header=BB4_4792 Depth=3
	s_or_saveexec_b32 s16, s16
	v_mov_b32_e32 v4, 0x7f800001
	s_xor_b32 exec_lo, exec_lo, s16
	s_cbranch_execz .LBB4_5452
.LBB4_5991:                             ;   in Loop: Header=BB4_4792 Depth=3
	v_cmp_ne_u16_sdwa s72, v5, v2 src0_sel:BYTE_0 src1_sel:DWORD
	v_mov_b32_e32 v4, 0
	s_andn2_b32 s23, s23, exec_lo
	s_and_b32 s72, s72, exec_lo
	s_or_b32 s23, s23, s72
	s_or_b32 exec_lo, exec_lo, s16
	v_lshl_or_b32 v1, v5, 16, v1
	s_and_saveexec_b32 s16, s23
	s_cbranch_execnz .LBB4_5453
	s_branch .LBB4_5454
.LBB4_5992:                             ;   in Loop: Header=BB4_4792 Depth=3
	s_or_saveexec_b32 s16, s16
	v_mov_b32_e32 v5, 0x7f800001
	s_xor_b32 exec_lo, exec_lo, s16
	s_cbranch_execz .LBB4_5458
.LBB4_5993:                             ;   in Loop: Header=BB4_4792 Depth=3
	v_cmp_ne_u16_e32 vcc_lo, 0, v16
	v_mov_b32_e32 v5, 0
	s_andn2_b32 s23, s23, exec_lo
	s_and_b32 s72, vcc_lo, exec_lo
	s_or_b32 s23, s23, s72
	s_or_b32 exec_lo, exec_lo, s16
	s_and_saveexec_b32 s16, s23
	s_cbranch_execnz .LBB4_5459
	s_branch .LBB4_5460
.LBB4_5994:                             ;   in Loop: Header=BB4_4792 Depth=3
	s_or_saveexec_b32 s16, s16
	v_mov_b32_e32 v4, 0x7f800001
	s_xor_b32 exec_lo, exec_lo, s16
	s_cbranch_execz .LBB4_5472
.LBB4_5995:                             ;   in Loop: Header=BB4_4792 Depth=3
	v_cmp_ne_u16_sdwa s72, v1, v2 src0_sel:BYTE_3 src1_sel:DWORD
	v_mov_b32_e32 v4, 0
	s_andn2_b32 s23, s23, exec_lo
	s_and_b32 s72, s72, exec_lo
	s_or_b32 s23, s23, s72
	s_or_b32 exec_lo, exec_lo, s16
	s_and_saveexec_b32 s16, s23
	s_cbranch_execnz .LBB4_5473
	s_branch .LBB4_5474
.LBB4_5996:                             ;   in Loop: Header=BB4_4792 Depth=3
	s_or_saveexec_b32 s16, s16
	v_mov_b32_e32 v1, 0x7f800001
	s_xor_b32 exec_lo, exec_lo, s16
	s_cbranch_execz .LBB4_5478
.LBB4_5997:                             ;   in Loop: Header=BB4_4792 Depth=3
	v_cmp_ne_u16_sdwa s72, v14, v2 src0_sel:BYTE_3 src1_sel:DWORD
	v_mov_b32_e32 v1, 0
	s_andn2_b32 s23, s23, exec_lo
	s_and_b32 s72, s72, exec_lo
	s_or_b32 s23, s23, s72
	s_or_b32 exec_lo, exec_lo, s16
	s_and_saveexec_b32 s16, s23
	s_cbranch_execnz .LBB4_5479
	s_branch .LBB4_5480
.LBB4_5998:                             ;   in Loop: Header=BB4_4792 Depth=3
	s_or_saveexec_b32 s16, s16
	v_mov_b32_e32 v4, 0x7f800001
	s_xor_b32 exec_lo, exec_lo, s16
	s_cbranch_execz .LBB4_5492
.LBB4_5999:                             ;   in Loop: Header=BB4_4792 Depth=3
	v_cmp_ne_u16_sdwa s72, v1, v2 src0_sel:BYTE_0 src1_sel:DWORD
	v_mov_b32_e32 v4, 0
	s_andn2_b32 s23, s23, exec_lo
	s_and_b32 s72, s72, exec_lo
	s_or_b32 s23, s23, s72
	s_or_b32 exec_lo, exec_lo, s16
	s_and_saveexec_b32 s16, s23
	s_cbranch_execnz .LBB4_5493
	s_branch .LBB4_5494
.LBB4_6000:                             ;   in Loop: Header=BB4_4792 Depth=3
	s_or_saveexec_b32 s16, s16
	v_mov_b32_e32 v5, 0x7f800001
	s_xor_b32 exec_lo, exec_lo, s16
	s_cbranch_execz .LBB4_5498
.LBB4_6001:                             ;   in Loop: Header=BB4_4792 Depth=3
	v_cmp_ne_u16_sdwa s72, v15, v2 src0_sel:BYTE_0 src1_sel:DWORD
	v_mov_b32_e32 v5, 0
	s_andn2_b32 s23, s23, exec_lo
	s_and_b32 s72, s72, exec_lo
	s_or_b32 s23, s23, s72
	s_or_b32 exec_lo, exec_lo, s16
	s_and_saveexec_b32 s16, s23
	s_cbranch_execnz .LBB4_5499
	s_branch .LBB4_5500
.LBB4_6002:                             ;   in Loop: Header=BB4_4792 Depth=3
	s_or_saveexec_b32 s16, s16
	v_mov_b32_e32 v4, 0x7f800001
	s_xor_b32 exec_lo, exec_lo, s16
	s_cbranch_execz .LBB4_5512
.LBB4_6003:                             ;   in Loop: Header=BB4_4792 Depth=3
	v_cmp_ne_u16_sdwa s72, v1, v2 src0_sel:BYTE_1 src1_sel:DWORD
	v_mov_b32_e32 v4, 0
	s_andn2_b32 s23, s23, exec_lo
	s_and_b32 s72, s72, exec_lo
	s_or_b32 s23, s23, s72
	s_or_b32 exec_lo, exec_lo, s16
	s_and_saveexec_b32 s16, s23
	s_cbranch_execnz .LBB4_5513
	s_branch .LBB4_5514
.LBB4_6004:                             ;   in Loop: Header=BB4_4792 Depth=3
	s_or_saveexec_b32 s16, s16
	v_mov_b32_e32 v5, 0x7f800001
	s_xor_b32 exec_lo, exec_lo, s16
	s_cbranch_execz .LBB4_5518
.LBB4_6005:                             ;   in Loop: Header=BB4_4792 Depth=3
	v_cmp_ne_u16_sdwa s72, v15, v2 src0_sel:BYTE_1 src1_sel:DWORD
	v_mov_b32_e32 v5, 0
	s_andn2_b32 s23, s23, exec_lo
	s_and_b32 s72, s72, exec_lo
	s_or_b32 s23, s23, s72
	s_or_b32 exec_lo, exec_lo, s16
	s_and_saveexec_b32 s16, s23
	s_cbranch_execnz .LBB4_5519
	s_branch .LBB4_5520
.LBB4_6006:                             ;   in Loop: Header=BB4_4792 Depth=3
	s_or_saveexec_b32 s16, s16
	v_mov_b32_e32 v4, 0x7f800001
	s_xor_b32 exec_lo, exec_lo, s16
	s_cbranch_execz .LBB4_5532
.LBB4_6007:                             ;   in Loop: Header=BB4_4792 Depth=3
	v_cmp_ne_u16_sdwa s72, v5, v2 src0_sel:BYTE_0 src1_sel:DWORD
	v_mov_b32_e32 v4, 0
	s_andn2_b32 s23, s23, exec_lo
	s_and_b32 s72, s72, exec_lo
	s_or_b32 s23, s23, s72
	s_or_b32 exec_lo, exec_lo, s16
	v_lshl_or_b32 v1, v5, 16, v1
	s_and_saveexec_b32 s16, s23
	s_cbranch_execnz .LBB4_5533
	s_branch .LBB4_5534
.LBB4_6008:                             ;   in Loop: Header=BB4_4792 Depth=3
	s_or_saveexec_b32 s16, s16
	v_mov_b32_e32 v5, 0x7f800001
	s_xor_b32 exec_lo, exec_lo, s16
	s_cbranch_execz .LBB4_5538
.LBB4_6009:                             ;   in Loop: Header=BB4_4792 Depth=3
	v_cmp_ne_u16_e32 vcc_lo, 0, v16
	v_mov_b32_e32 v5, 0
	s_andn2_b32 s23, s23, exec_lo
	s_and_b32 s72, vcc_lo, exec_lo
	s_or_b32 s23, s23, s72
	s_or_b32 exec_lo, exec_lo, s16
	s_and_saveexec_b32 s16, s23
	s_cbranch_execnz .LBB4_5539
	s_branch .LBB4_5540
.LBB4_6010:                             ;   in Loop: Header=BB4_4792 Depth=3
	s_or_saveexec_b32 s16, s16
	v_mov_b32_e32 v4, 0x7f800001
	s_xor_b32 exec_lo, exec_lo, s16
	s_cbranch_execz .LBB4_5552
.LBB4_6011:                             ;   in Loop: Header=BB4_4792 Depth=3
	v_cmp_ne_u16_sdwa s72, v1, v2 src0_sel:BYTE_3 src1_sel:DWORD
	v_mov_b32_e32 v4, 0
	s_andn2_b32 s23, s23, exec_lo
	s_and_b32 s72, s72, exec_lo
	s_or_b32 s23, s23, s72
	s_or_b32 exec_lo, exec_lo, s16
	s_and_saveexec_b32 s16, s23
	s_cbranch_execnz .LBB4_5553
	s_branch .LBB4_5554
.LBB4_6012:                             ;   in Loop: Header=BB4_4792 Depth=3
	s_or_saveexec_b32 s16, s16
	v_mov_b32_e32 v1, 0x7f800001
	s_xor_b32 exec_lo, exec_lo, s16
	s_cbranch_execz .LBB4_5558
.LBB4_6013:                             ;   in Loop: Header=BB4_4792 Depth=3
	v_cmp_ne_u16_sdwa s72, v15, v2 src0_sel:BYTE_3 src1_sel:DWORD
	v_mov_b32_e32 v1, 0
	s_andn2_b32 s23, s23, exec_lo
	s_and_b32 s72, s72, exec_lo
	s_or_b32 s23, s23, s72
	s_or_b32 exec_lo, exec_lo, s16
	s_and_saveexec_b32 s16, s23
	s_cbranch_execnz .LBB4_5559
	s_branch .LBB4_5560
.LBB4_6014:                             ;   in Loop: Header=BB4_4792 Depth=3
	s_or_saveexec_b32 s16, s16
	v_mov_b32_e32 v4, 0x7f800001
	s_xor_b32 exec_lo, exec_lo, s16
	s_cbranch_execz .LBB4_5572
.LBB4_6015:                             ;   in Loop: Header=BB4_4792 Depth=3
	v_cmp_ne_u16_sdwa s72, v1, v2 src0_sel:BYTE_0 src1_sel:DWORD
	v_mov_b32_e32 v4, 0
	s_andn2_b32 s23, s23, exec_lo
	s_and_b32 s72, s72, exec_lo
	s_or_b32 s23, s23, s72
	s_or_b32 exec_lo, exec_lo, s16
	s_and_saveexec_b32 s16, s23
	s_cbranch_execnz .LBB4_5573
	s_branch .LBB4_5574
.LBB4_6016:                             ;   in Loop: Header=BB4_4792 Depth=3
	s_or_saveexec_b32 s16, s16
	v_mov_b32_e32 v5, 0x7f800001
	s_xor_b32 exec_lo, exec_lo, s16
	s_cbranch_execz .LBB4_5578
.LBB4_6017:                             ;   in Loop: Header=BB4_4792 Depth=3
	v_cmp_ne_u16_sdwa s72, v8, v2 src0_sel:BYTE_0 src1_sel:DWORD
	v_mov_b32_e32 v5, 0
	s_andn2_b32 s23, s23, exec_lo
	s_and_b32 s72, s72, exec_lo
	s_or_b32 s23, s23, s72
	s_or_b32 exec_lo, exec_lo, s16
	s_and_saveexec_b32 s16, s23
	s_cbranch_execnz .LBB4_5579
	s_branch .LBB4_5580
.LBB4_6018:                             ;   in Loop: Header=BB4_4792 Depth=3
	s_or_saveexec_b32 s23, s23
	v_mov_b32_e32 v4, 0x7f800001
	s_xor_b32 exec_lo, exec_lo, s23
	s_cbranch_execz .LBB4_5592
.LBB4_6019:                             ;   in Loop: Header=BB4_4792 Depth=3
	v_cmp_ne_u16_sdwa s72, v1, v2 src0_sel:BYTE_1 src1_sel:DWORD
	v_mov_b32_e32 v4, 0
	s_andn2_b32 s16, s16, exec_lo
	s_and_b32 s72, s72, exec_lo
	s_or_b32 s16, s16, s72
	s_or_b32 exec_lo, exec_lo, s23
	s_and_saveexec_b32 s23, s16
	s_cbranch_execnz .LBB4_5593
	s_branch .LBB4_5594
.LBB4_6020:                             ;   in Loop: Header=BB4_4792 Depth=3
	s_or_saveexec_b32 s23, s23
	v_mov_b32_e32 v5, 0x7f800001
	s_xor_b32 exec_lo, exec_lo, s23
	s_cbranch_execz .LBB4_5598
.LBB4_6021:                             ;   in Loop: Header=BB4_4792 Depth=3
	v_cmp_ne_u16_sdwa s72, v8, v2 src0_sel:BYTE_1 src1_sel:DWORD
	v_mov_b32_e32 v5, 0
	s_andn2_b32 s16, s16, exec_lo
	s_and_b32 s72, s72, exec_lo
	s_or_b32 s16, s16, s72
	s_or_b32 exec_lo, exec_lo, s23
	s_and_saveexec_b32 s23, s16
	s_cbranch_execnz .LBB4_5599
	s_branch .LBB4_5600
.LBB4_6022:                             ;   in Loop: Header=BB4_4792 Depth=3
	s_or_saveexec_b32 s16, s16
	v_mov_b32_e32 v4, 0x7f800001
	s_xor_b32 exec_lo, exec_lo, s16
	s_cbranch_execz .LBB4_5612
.LBB4_6023:                             ;   in Loop: Header=BB4_4792 Depth=3
	v_cmp_ne_u16_sdwa s72, v5, v2 src0_sel:BYTE_0 src1_sel:DWORD
	v_mov_b32_e32 v4, 0
	s_andn2_b32 s23, s23, exec_lo
	s_and_b32 s72, s72, exec_lo
	s_or_b32 s23, s23, s72
	s_or_b32 exec_lo, exec_lo, s16
	v_lshl_or_b32 v1, v5, 16, v1
	s_and_saveexec_b32 s16, s23
	s_cbranch_execnz .LBB4_5613
	s_branch .LBB4_5614
.LBB4_6024:                             ;   in Loop: Header=BB4_4792 Depth=3
	s_or_saveexec_b32 s16, s16
	v_mov_b32_e32 v5, 0x7f800001
	s_xor_b32 exec_lo, exec_lo, s16
	s_cbranch_execz .LBB4_5618
.LBB4_6025:                             ;   in Loop: Header=BB4_4792 Depth=3
	v_cmp_ne_u16_e32 vcc_lo, 0, v20
	v_mov_b32_e32 v5, 0
	s_andn2_b32 s23, s23, exec_lo
	s_and_b32 s72, vcc_lo, exec_lo
	s_or_b32 s23, s23, s72
	s_or_b32 exec_lo, exec_lo, s16
	s_and_saveexec_b32 s16, s23
	s_cbranch_execnz .LBB4_5619
	s_branch .LBB4_5620
.LBB4_6026:                             ;   in Loop: Header=BB4_4792 Depth=3
	s_or_saveexec_b32 s23, s23
	v_mov_b32_e32 v4, 0x7f800001
	s_xor_b32 exec_lo, exec_lo, s23
	s_cbranch_execz .LBB4_5632
.LBB4_6027:                             ;   in Loop: Header=BB4_4792 Depth=3
	v_cmp_ne_u16_sdwa s72, v1, v2 src0_sel:BYTE_3 src1_sel:DWORD
	v_mov_b32_e32 v4, 0
	s_andn2_b32 s16, s16, exec_lo
	s_and_b32 s72, s72, exec_lo
	s_or_b32 s16, s16, s72
	s_or_b32 exec_lo, exec_lo, s23
	s_and_saveexec_b32 s23, s16
	s_cbranch_execnz .LBB4_5633
	s_branch .LBB4_5634
.LBB4_6028:                             ;   in Loop: Header=BB4_4792 Depth=3
	s_or_saveexec_b32 s23, s23
	v_mov_b32_e32 v1, 0x7f800001
	s_xor_b32 exec_lo, exec_lo, s23
	s_cbranch_execz .LBB4_5638
.LBB4_6029:                             ;   in Loop: Header=BB4_4792 Depth=3
	v_cmp_ne_u16_sdwa s72, v8, v2 src0_sel:BYTE_3 src1_sel:DWORD
	v_mov_b32_e32 v1, 0
	s_andn2_b32 s16, s16, exec_lo
	s_and_b32 s72, s72, exec_lo
	s_or_b32 s16, s16, s72
	s_or_b32 exec_lo, exec_lo, s23
	s_and_saveexec_b32 s23, s16
	s_cbranch_execnz .LBB4_5639
	s_branch .LBB4_5640
.LBB4_6030:                             ;   in Loop: Header=BB4_4792 Depth=3
	s_or_saveexec_b32 s16, s16
	v_mov_b32_e32 v4, 0x7f800001
	s_xor_b32 exec_lo, exec_lo, s16
	s_cbranch_execz .LBB4_5652
.LBB4_6031:                             ;   in Loop: Header=BB4_4792 Depth=3
	v_cmp_ne_u16_sdwa s72, v1, v2 src0_sel:BYTE_0 src1_sel:DWORD
	v_mov_b32_e32 v4, 0
	s_andn2_b32 s23, s23, exec_lo
	s_and_b32 s72, s72, exec_lo
	s_or_b32 s23, s23, s72
	s_or_b32 exec_lo, exec_lo, s16
	s_and_saveexec_b32 s16, s23
	s_cbranch_execnz .LBB4_5653
	s_branch .LBB4_5654
.LBB4_6032:                             ;   in Loop: Header=BB4_4792 Depth=3
	s_or_saveexec_b32 s16, s16
	v_mov_b32_e32 v5, 0x7f800001
	s_xor_b32 exec_lo, exec_lo, s16
	s_cbranch_execz .LBB4_5658
.LBB4_6033:                             ;   in Loop: Header=BB4_4792 Depth=3
	v_cmp_ne_u16_sdwa s72, v9, v2 src0_sel:BYTE_0 src1_sel:DWORD
	v_mov_b32_e32 v5, 0
	s_andn2_b32 s23, s23, exec_lo
	s_and_b32 s72, s72, exec_lo
	s_or_b32 s23, s23, s72
	s_or_b32 exec_lo, exec_lo, s16
	s_and_saveexec_b32 s16, s23
	s_cbranch_execnz .LBB4_5659
	s_branch .LBB4_5660
.LBB4_6034:                             ;   in Loop: Header=BB4_4792 Depth=3
	s_or_saveexec_b32 s23, s23
	v_mov_b32_e32 v4, 0x7f800001
	s_xor_b32 exec_lo, exec_lo, s23
	s_cbranch_execz .LBB4_5672
.LBB4_6035:                             ;   in Loop: Header=BB4_4792 Depth=3
	v_cmp_ne_u16_sdwa s72, v1, v2 src0_sel:BYTE_1 src1_sel:DWORD
	v_mov_b32_e32 v4, 0
	s_andn2_b32 s16, s16, exec_lo
	s_and_b32 s72, s72, exec_lo
	s_or_b32 s16, s16, s72
	s_or_b32 exec_lo, exec_lo, s23
	s_and_saveexec_b32 s23, s16
	s_cbranch_execnz .LBB4_5673
	s_branch .LBB4_5674
.LBB4_6036:                             ;   in Loop: Header=BB4_4792 Depth=3
	s_or_saveexec_b32 s23, s23
	v_mov_b32_e32 v5, 0x7f800001
	s_xor_b32 exec_lo, exec_lo, s23
	s_cbranch_execz .LBB4_5678
.LBB4_6037:                             ;   in Loop: Header=BB4_4792 Depth=3
	v_cmp_ne_u16_sdwa s72, v9, v2 src0_sel:BYTE_1 src1_sel:DWORD
	v_mov_b32_e32 v5, 0
	s_andn2_b32 s16, s16, exec_lo
	s_and_b32 s72, s72, exec_lo
	s_or_b32 s16, s16, s72
	s_or_b32 exec_lo, exec_lo, s23
	s_and_saveexec_b32 s23, s16
	s_cbranch_execnz .LBB4_5679
	s_branch .LBB4_5680
.LBB4_6038:                             ;   in Loop: Header=BB4_4792 Depth=3
	s_or_saveexec_b32 s16, s16
	v_mov_b32_e32 v5, 0x7f800001
	s_xor_b32 exec_lo, exec_lo, s16
	s_cbranch_execz .LBB4_5692
.LBB4_6039:                             ;   in Loop: Header=BB4_4792 Depth=3
	v_cmp_ne_u16_sdwa s72, v31, v2 src0_sel:BYTE_0 src1_sel:DWORD
	v_mov_b32_e32 v5, 0
	s_andn2_b32 s23, s23, exec_lo
	s_and_b32 s72, s72, exec_lo
	s_or_b32 s23, s23, s72
	s_or_b32 exec_lo, exec_lo, s16
	v_lshl_or_b32 v1, v31, 16, v1
	s_and_saveexec_b32 s16, s23
	s_cbranch_execnz .LBB4_5693
	s_branch .LBB4_5694
.LBB4_6040:                             ;   in Loop: Header=BB4_4792 Depth=3
	s_or_saveexec_b32 s16, s16
	v_mov_b32_e32 v31, 0x7f800001
	s_xor_b32 exec_lo, exec_lo, s16
	s_cbranch_execz .LBB4_5698
.LBB4_6041:                             ;   in Loop: Header=BB4_4792 Depth=3
	v_cmp_ne_u16_e32 vcc_lo, 0, v34
	v_mov_b32_e32 v31, 0
	s_andn2_b32 s23, s23, exec_lo
	s_and_b32 s72, vcc_lo, exec_lo
	s_or_b32 s23, s23, s72
	s_or_b32 exec_lo, exec_lo, s16
	s_and_saveexec_b32 s16, s23
	s_cbranch_execnz .LBB4_5699
	s_branch .LBB4_5700
.LBB4_6042:                             ;   in Loop: Header=BB4_4792 Depth=3
	s_or_saveexec_b32 s23, s23
	v_mov_b32_e32 v31, 0x7f800001
	s_xor_b32 exec_lo, exec_lo, s23
	s_cbranch_execz .LBB4_5712
.LBB4_6043:                             ;   in Loop: Header=BB4_4792 Depth=3
	v_cmp_ne_u16_sdwa s72, v1, v2 src0_sel:BYTE_3 src1_sel:DWORD
	v_mov_b32_e32 v31, 0
	s_andn2_b32 s16, s16, exec_lo
	s_and_b32 s72, s72, exec_lo
	s_or_b32 s16, s16, s72
	s_or_b32 exec_lo, exec_lo, s23
	s_and_saveexec_b32 s23, s16
	s_cbranch_execnz .LBB4_5713
	s_branch .LBB4_5714
.LBB4_6044:                             ;   in Loop: Header=BB4_4792 Depth=3
	s_or_saveexec_b32 s23, s23
	v_mov_b32_e32 v1, 0x7f800001
	s_xor_b32 exec_lo, exec_lo, s23
	s_cbranch_execz .LBB4_5718
.LBB4_6045:                             ;   in Loop: Header=BB4_4792 Depth=3
	v_cmp_ne_u16_sdwa s72, v9, v2 src0_sel:BYTE_3 src1_sel:DWORD
	v_mov_b32_e32 v1, 0
	s_andn2_b32 s16, s16, exec_lo
	s_and_b32 s72, s72, exec_lo
	s_or_b32 s16, s16, s72
	s_or_b32 exec_lo, exec_lo, s23
	s_and_saveexec_b32 s23, s16
	s_cbranch_execnz .LBB4_5719
	s_branch .LBB4_5720
.LBB4_6046:                             ;   in Loop: Header=BB4_4792 Depth=3
	s_or_saveexec_b32 s23, s23
	v_mov_b32_e32 v31, 0x7f800001
	s_xor_b32 exec_lo, exec_lo, s23
	s_cbranch_execz .LBB4_5732
.LBB4_6047:                             ;   in Loop: Header=BB4_4792 Depth=3
	v_cmp_ne_u16_sdwa s72, v1, v2 src0_sel:BYTE_0 src1_sel:DWORD
	v_mov_b32_e32 v31, 0
	s_andn2_b32 s16, s16, exec_lo
	s_and_b32 s72, s72, exec_lo
	s_or_b32 s16, s16, s72
	s_or_b32 exec_lo, exec_lo, s23
	s_and_saveexec_b32 s23, s16
	s_cbranch_execnz .LBB4_5733
	s_branch .LBB4_5734
.LBB4_6048:                             ;   in Loop: Header=BB4_4792 Depth=3
	s_or_saveexec_b32 s16, s16
	v_mov_b32_e32 v34, 0x7f800001
	s_xor_b32 exec_lo, exec_lo, s16
	s_cbranch_execz .LBB4_5738
.LBB4_6049:                             ;   in Loop: Header=BB4_4792 Depth=3
	v_cmp_ne_u16_sdwa s72, v10, v2 src0_sel:BYTE_0 src1_sel:DWORD
	v_mov_b32_e32 v34, 0
	s_andn2_b32 s23, s23, exec_lo
	s_and_b32 s72, s72, exec_lo
	s_or_b32 s23, s23, s72
	s_or_b32 exec_lo, exec_lo, s16
	s_and_saveexec_b32 s16, s23
	s_cbranch_execnz .LBB4_5739
	s_branch .LBB4_5740
.LBB4_6050:                             ;   in Loop: Header=BB4_4792 Depth=3
	s_or_saveexec_b32 s23, s23
	v_mov_b32_e32 v31, 0x7f800001
	s_xor_b32 exec_lo, exec_lo, s23
	s_cbranch_execz .LBB4_5752
.LBB4_6051:                             ;   in Loop: Header=BB4_4792 Depth=3
	v_cmp_ne_u16_sdwa s72, v1, v2 src0_sel:BYTE_1 src1_sel:DWORD
	v_mov_b32_e32 v31, 0
	s_andn2_b32 s16, s16, exec_lo
	s_and_b32 s72, s72, exec_lo
	s_or_b32 s16, s16, s72
	s_or_b32 exec_lo, exec_lo, s23
	s_and_saveexec_b32 s23, s16
	s_cbranch_execnz .LBB4_5753
	s_branch .LBB4_5754
.LBB4_6052:                             ;   in Loop: Header=BB4_4792 Depth=3
	s_or_saveexec_b32 s23, s23
	v_mov_b32_e32 v35, 0x7f800001
	s_xor_b32 exec_lo, exec_lo, s23
	s_cbranch_execz .LBB4_5758
.LBB4_6053:                             ;   in Loop: Header=BB4_4792 Depth=3
	v_cmp_ne_u16_sdwa s72, v10, v2 src0_sel:BYTE_1 src1_sel:DWORD
	v_mov_b32_e32 v35, 0
	s_andn2_b32 s16, s16, exec_lo
	s_and_b32 s72, s72, exec_lo
	s_or_b32 s16, s16, s72
	s_or_b32 exec_lo, exec_lo, s23
	s_and_saveexec_b32 s23, s16
	s_cbranch_execnz .LBB4_5759
	s_branch .LBB4_5760
.LBB4_6054:                             ;   in Loop: Header=BB4_4792 Depth=3
	s_or_saveexec_b32 s23, s23
	v_mov_b32_e32 v31, 0x7f800001
	s_xor_b32 exec_lo, exec_lo, s23
	s_cbranch_execz .LBB4_5772
.LBB4_6055:                             ;   in Loop: Header=BB4_4792 Depth=3
	v_cmp_ne_u16_sdwa s72, v36, v2 src0_sel:BYTE_0 src1_sel:DWORD
	v_mov_b32_e32 v31, 0
	s_andn2_b32 s16, s16, exec_lo
	s_and_b32 s72, s72, exec_lo
	s_or_b32 s16, s16, s72
	s_or_b32 exec_lo, exec_lo, s23
	v_lshl_or_b32 v1, v36, 16, v1
	s_and_saveexec_b32 s23, s16
	s_cbranch_execnz .LBB4_5773
	s_branch .LBB4_5774
.LBB4_6056:                             ;   in Loop: Header=BB4_4792 Depth=3
	s_or_saveexec_b32 s16, s16
	v_mov_b32_e32 v36, 0x7f800001
	s_xor_b32 exec_lo, exec_lo, s16
	s_cbranch_execz .LBB4_5778
.LBB4_6057:                             ;   in Loop: Header=BB4_4792 Depth=3
	v_cmp_ne_u16_e32 vcc_lo, 0, v37
	v_mov_b32_e32 v36, 0
	s_andn2_b32 s23, s23, exec_lo
	s_and_b32 s72, vcc_lo, exec_lo
	s_or_b32 s23, s23, s72
	s_or_b32 exec_lo, exec_lo, s16
	s_and_saveexec_b32 s16, s23
	s_cbranch_execnz .LBB4_5779
	s_branch .LBB4_5780
.LBB4_6058:                             ;   in Loop: Header=BB4_4792 Depth=3
	s_or_saveexec_b32 s23, s23
	v_mov_b32_e32 v36, 0x7f800001
	s_xor_b32 exec_lo, exec_lo, s23
	s_cbranch_execz .LBB4_5792
.LBB4_6059:                             ;   in Loop: Header=BB4_4792 Depth=3
	v_cmp_ne_u16_sdwa s72, v1, v2 src0_sel:BYTE_3 src1_sel:DWORD
	v_mov_b32_e32 v36, 0
	s_andn2_b32 s16, s16, exec_lo
	s_and_b32 s72, s72, exec_lo
	s_or_b32 s16, s16, s72
	s_or_b32 exec_lo, exec_lo, s23
	s_and_saveexec_b32 s23, s16
	s_cbranch_execnz .LBB4_5793
	s_branch .LBB4_5794
.LBB4_6060:                             ;   in Loop: Header=BB4_4792 Depth=3
	s_or_saveexec_b32 s23, s23
	v_mov_b32_e32 v1, 0x7f800001
	s_xor_b32 exec_lo, exec_lo, s23
	s_cbranch_execz .LBB4_5798
.LBB4_6061:                             ;   in Loop: Header=BB4_4792 Depth=3
	v_cmp_ne_u16_sdwa s72, v10, v2 src0_sel:BYTE_3 src1_sel:DWORD
	v_mov_b32_e32 v1, 0
	s_andn2_b32 s16, s16, exec_lo
	s_and_b32 s72, s72, exec_lo
	s_or_b32 s16, s16, s72
	s_or_b32 exec_lo, exec_lo, s23
	s_and_saveexec_b32 s23, s16
	s_cbranch_execnz .LBB4_5799
	s_branch .LBB4_5800
.LBB4_6062:                             ;   in Loop: Header=BB4_4792 Depth=3
	s_or_saveexec_b32 s23, s23
	v_mov_b32_e32 v10, 0x7f800001
	s_xor_b32 exec_lo, exec_lo, s23
	s_cbranch_execz .LBB4_5812
.LBB4_6063:                             ;   in Loop: Header=BB4_4792 Depth=3
	v_cmp_ne_u16_sdwa s72, v36, v2 src0_sel:BYTE_0 src1_sel:DWORD
	v_mov_b32_e32 v10, 0
	s_andn2_b32 s16, s16, exec_lo
	s_and_b32 s72, s72, exec_lo
	s_or_b32 s16, s16, s72
	s_or_b32 exec_lo, exec_lo, s23
	s_and_saveexec_b32 s23, s16
	s_cbranch_execnz .LBB4_5813
	s_branch .LBB4_5814
.LBB4_6064:                             ;   in Loop: Header=BB4_4792 Depth=3
	s_or_saveexec_b32 s23, s23
	v_mov_b32_e32 v37, 0x7f800001
	s_xor_b32 exec_lo, exec_lo, s23
	s_cbranch_execz .LBB4_5818
.LBB4_6065:                             ;   in Loop: Header=BB4_4792 Depth=3
	v_cmp_ne_u16_sdwa s72, v11, v2 src0_sel:BYTE_0 src1_sel:DWORD
	v_mov_b32_e32 v37, 0
	s_andn2_b32 s16, s16, exec_lo
	s_and_b32 s72, s72, exec_lo
	s_or_b32 s16, s16, s72
	s_or_b32 exec_lo, exec_lo, s23
	s_and_saveexec_b32 s23, s16
	s_cbranch_execnz .LBB4_5819
	s_branch .LBB4_5820
.LBB4_6066:                             ;   in Loop: Header=BB4_4792 Depth=3
	s_or_saveexec_b32 s23, s23
	v_mov_b32_e32 v37, 0x7f800001
	s_xor_b32 exec_lo, exec_lo, s23
	s_cbranch_execz .LBB4_5832
.LBB4_6067:                             ;   in Loop: Header=BB4_4792 Depth=3
	v_cmp_ne_u16_sdwa s72, v36, v2 src0_sel:BYTE_1 src1_sel:DWORD
	v_mov_b32_e32 v37, 0
	s_andn2_b32 s16, s16, exec_lo
	s_and_b32 s72, s72, exec_lo
	s_or_b32 s16, s16, s72
	s_or_b32 exec_lo, exec_lo, s23
	s_and_saveexec_b32 s23, s16
	s_cbranch_execnz .LBB4_5833
	s_branch .LBB4_5834
.LBB4_6068:                             ;   in Loop: Header=BB4_4792 Depth=3
	s_or_saveexec_b32 s23, s23
	v_mov_b32_e32 v50, 0x7f800001
	s_xor_b32 exec_lo, exec_lo, s23
	s_cbranch_execz .LBB4_5838
.LBB4_6069:                             ;   in Loop: Header=BB4_4792 Depth=3
	v_cmp_ne_u16_sdwa s72, v11, v2 src0_sel:BYTE_1 src1_sel:DWORD
	v_mov_b32_e32 v50, 0
	s_andn2_b32 s16, s16, exec_lo
	s_and_b32 s72, s72, exec_lo
	s_or_b32 s16, s16, s72
	s_or_b32 exec_lo, exec_lo, s23
	s_and_saveexec_b32 s23, s16
	s_cbranch_execnz .LBB4_5839
	s_branch .LBB4_5840
.LBB4_6070:                             ;   in Loop: Header=BB4_4792 Depth=3
	s_or_saveexec_b32 s23, s23
	v_mov_b32_e32 v51, 0x7f800001
	s_xor_b32 exec_lo, exec_lo, s23
	s_cbranch_execz .LBB4_5852
.LBB4_6071:                             ;   in Loop: Header=BB4_4792 Depth=3
	v_cmp_ne_u16_sdwa s72, v50, v2 src0_sel:BYTE_0 src1_sel:DWORD
	v_mov_b32_e32 v51, 0
	s_andn2_b32 s16, s16, exec_lo
	s_and_b32 s72, s72, exec_lo
	s_or_b32 s16, s16, s72
	s_or_b32 exec_lo, exec_lo, s23
	v_lshl_or_b32 v50, v50, 16, v36
	s_and_saveexec_b32 s23, s16
	s_cbranch_execnz .LBB4_5853
	s_branch .LBB4_5854
.LBB4_6072:                             ;   in Loop: Header=BB4_4792 Depth=3
	s_or_saveexec_b32 s23, s23
	v_mov_b32_e32 v36, 0x7f800001
	s_xor_b32 exec_lo, exec_lo, s23
	s_cbranch_execz .LBB4_5858
.LBB4_6073:                             ;   in Loop: Header=BB4_4792 Depth=3
	v_cmp_ne_u16_e32 vcc_lo, 0, v96
	v_mov_b32_e32 v36, 0
	s_andn2_b32 s16, s16, exec_lo
	s_and_b32 s72, vcc_lo, exec_lo
	s_or_b32 s16, s16, s72
	s_or_b32 exec_lo, exec_lo, s23
	s_and_saveexec_b32 s23, s16
	s_cbranch_execnz .LBB4_5859
	s_branch .LBB4_5860
.LBB4_6074:                             ;   in Loop: Header=BB4_4792 Depth=3
	s_or_saveexec_b32 s23, s23
	v_mov_b32_e32 v51, 0x7f800001
	s_xor_b32 exec_lo, exec_lo, s23
	s_cbranch_execz .LBB4_5872
.LBB4_6075:                             ;   in Loop: Header=BB4_4792 Depth=3
	v_cmp_ne_u16_sdwa s72, v50, v2 src0_sel:BYTE_3 src1_sel:DWORD
	v_mov_b32_e32 v51, 0
	s_andn2_b32 s16, s16, exec_lo
	s_and_b32 s72, s72, exec_lo
	s_or_b32 s16, s16, s72
	s_or_b32 exec_lo, exec_lo, s23
	s_and_saveexec_b32 s23, s16
	s_cbranch_execnz .LBB4_5873
	s_branch .LBB4_5874
.LBB4_6076:                             ;   in Loop: Header=BB4_4792 Depth=3
	s_or_saveexec_b32 s23, s23
	v_mov_b32_e32 v50, 0x7f800001
	s_xor_b32 exec_lo, exec_lo, s23
	s_cbranch_execz .LBB4_5878
.LBB4_6077:                             ;   in Loop: Header=BB4_4792 Depth=3
	v_cmp_ne_u16_sdwa s72, v11, v2 src0_sel:BYTE_3 src1_sel:DWORD
	v_mov_b32_e32 v50, 0
	s_andn2_b32 s16, s16, exec_lo
	s_and_b32 s72, s72, exec_lo
	s_or_b32 s16, s16, s72
	s_or_b32 exec_lo, exec_lo, s23
	s_and_saveexec_b32 s23, s16
	s_cbranch_execnz .LBB4_5879
	s_branch .LBB4_5880
.LBB4_6078:                             ;   in Loop: Header=BB4_4707 Depth=2
	s_or_b32 exec_lo, exec_lo, s18
.LBB4_6079:                             ;   in Loop: Header=BB4_4707 Depth=2
	s_or_b32 exec_lo, exec_lo, s17
	v_lshlrev_b32_e32 v71, 10, v63
	v_mov_b32_e32 v68, 0
	s_mov_b32 s16, 0
	s_mov_b32 s19, exec_lo
                                        ; implicit-def: $vgpr69
                                        ; implicit-def: $vgpr70
	v_cmpx_ne_u32_e64 v61, v71
	s_cbranch_execz .LBB4_6735
; %bb.6080:                             ;   in Loop: Header=BB4_4707 Depth=2
	v_lshlrev_b32_e32 v1, 5, v62
	v_and_b32_e32 v4, 31, v0
	v_sub_nc_u32_e32 v5, v61, v71
	s_mov_b32 s72, exec_lo
	v_sub_nc_u32_e32 v1, v4, v1
	v_ashrrev_i32_e32 v8, 31, v5
	v_ashrrev_i32_e32 v4, 31, v1
	v_lshrrev_b32_e32 v8, 23, v8
	v_lshrrev_b32_e32 v4, 27, v4
	v_add_nc_u32_e32 v8, v5, v8
	v_add_nc_u32_e32 v4, v1, v4
	v_and_b32_e32 v68, 0xfffffe00, v8
	v_ashrrev_i32_e32 v8, 9, v8
	v_and_b32_e32 v9, 0xffffffe0, v4
	v_sub_nc_u32_e32 v69, v5, v68
	v_ashrrev_i32_e32 v4, 5, v4
	v_sub_nc_u32_e32 v70, v1, v9
	v_cmp_lt_i32_e64 s16, 15, v69
	v_lshlrev_b32_e32 v1, 4, v70
	v_add_co_ci_u32_e64 v8, null, 0, v8, s16
	v_lshl_add_u32 v1, v4, 9, v1
	v_sub_nc_u32_e32 v80, v8, v4
	v_sub_nc_u32_e32 v81, v5, v1
	v_cmpx_lt_i32_e32 15, v81
	s_cbranch_execz .LBB4_6734
; %bb.6081:                             ;   in Loop: Header=BB4_4707 Depth=2
	s_trap 2
	ds_read_b64 v[4:5], v0
	v_add_nc_u32_e32 v1, v1, v71
	v_ashrrev_i32_e32 v8, 31, v1
	v_add_co_u32 v82, vcc_lo, v1, v64
	v_add_co_ci_u32_e64 v83, null, v8, v65, vcc_lo
	v_add_co_u32 v62, vcc_lo, v1, v66
	v_add_co_ci_u32_e64 v63, null, v8, v67, vcc_lo
	;; [unrolled: 2-line block ×3, first 2 shown]
	s_waitcnt lgkmcnt(0)
	v_readfirstlane_b32 s17, v4
	v_add_co_u32 v14, vcc_lo, v4, v1
	v_add_co_ci_u32_e64 v15, null, v5, v8, vcc_lo
	s_and_b32 s18, s17, 3
	s_bfe_u32 s73, s17, 0x50002
	s_flbit_i32_b32 s22, s18
	s_min_u32 s22, s22, 32
	s_sub_i32 s23, s22, 29
	s_sub_i32 s22, 30, s22
	s_lshl_b32 s23, s17, s23
	s_and_b32 s23, s23, 3
	s_cmp_eq_u32 s73, 0
	s_cselect_b32 s22, s22, s73
	s_cselect_b32 s18, s23, s18
	s_lshl_b32 s23, s17, 24
	s_lshl_b32 s22, s22, 23
	s_and_b32 s23, s23, 0x80000000
	s_add_i32 s22, s22, 0x37800000
	s_lshl_b32 s18, s18, 21
	s_or_b32 s22, s23, s22
	s_mov_b32 s73, 0
	s_or_b32 s74, s22, s18
	s_and_b32 s75, s17, 0xff
.LBB4_6082:                             ;   Parent Loop BB4_47 Depth=1
                                        ;     Parent Loop BB4_4707 Depth=2
                                        ; =>    This Loop Header: Depth=3
                                        ;         Child Loop BB4_6635 Depth 4
	s_cmpk_lt_i32 s75, 0x80
	s_cbranch_scc1 .LBB4_6086
; %bb.6083:                             ;   in Loop: Header=BB4_6082 Depth=3
	s_and_b32 s17, 0xffff, s75
	s_cmpk_eq_i32 s17, 0x80
	s_mov_b32 s17, -1
	s_cbranch_scc0 .LBB4_6085
; %bb.6084:                             ;   in Loop: Header=BB4_6082 Depth=3
	s_mov_b32 s17, 0
.LBB4_6085:                             ;   in Loop: Header=BB4_6082 Depth=3
	s_mov_b32 s18, 0x7f800001
	s_branch .LBB4_6088
.LBB4_6086:                             ;   in Loop: Header=BB4_6082 Depth=3
	s_mov_b32 s17, 0
	s_mov_b32 s18, 0x7f800001
	s_cbranch_execz .LBB4_6088
; %bb.6087:                             ;   in Loop: Header=BB4_6082 Depth=3
	s_and_b32 s17, 0xffff, s75
	s_mov_b32 s18, 0
	s_cmp_lg_u32 s17, 0
	s_cselect_b32 s17, -1, 0
.LBB4_6088:                             ;   in Loop: Header=BB4_6082 Depth=3
	s_andn2_b32 vcc_lo, exec_lo, s17
	s_cbranch_vccnz .LBB4_6090
; %bb.6089:                             ;   in Loop: Header=BB4_6082 Depth=3
	s_mov_b32 s18, s74
.LBB4_6090:                             ;   in Loop: Header=BB4_6082 Depth=3
	global_load_dwordx4 v[8:11], v[12:13], off slc
	s_mov_b32 s17, 0
	s_waitcnt vmcnt(0)
	v_cmp_gt_i16_sdwa s22, v8, v100 src0_sel:BYTE_0 src1_sel:DWORD
	s_and_saveexec_b32 s23, s22
	s_xor_b32 s22, exec_lo, s23
	s_cbranch_execz .LBB4_6637
; %bb.6091:                             ;   in Loop: Header=BB4_6082 Depth=3
	v_cmp_eq_u16_sdwa s76, v8, v101 src0_sel:BYTE_0 src1_sel:DWORD
	s_mov_b32 s17, -1
	s_and_saveexec_b32 s23, s76
; %bb.6092:                             ;   in Loop: Header=BB4_6082 Depth=3
	s_xor_b32 s17, exec_lo, -1
; %bb.6093:                             ;   in Loop: Header=BB4_6082 Depth=3
	s_or_b32 exec_lo, exec_lo, s23
	s_and_b32 s17, s17, exec_lo
	s_or_saveexec_b32 s22, s22
	v_mov_b32_e32 v1, 0x7f800001
	s_xor_b32 exec_lo, exec_lo, s22
	s_cbranch_execnz .LBB4_6638
.LBB4_6094:                             ;   in Loop: Header=BB4_6082 Depth=3
	s_or_b32 exec_lo, exec_lo, s22
	s_and_saveexec_b32 s22, s17
	s_cbranch_execz .LBB4_6096
.LBB4_6095:                             ;   in Loop: Header=BB4_6082 Depth=3
	v_and_b32_e32 v1, 3, v8
	v_bfe_u32 v16, v8, 2, 5
	v_lshlrev_b32_e32 v17, 24, v8
	v_ffbh_u32_e32 v4, v1
	v_cmp_eq_u32_e32 vcc_lo, 0, v16
	v_min_u32_e32 v4, 32, v4
	v_subrev_nc_u32_e32 v5, 29, v4
	v_sub_nc_u32_e32 v4, 30, v4
	v_lshlrev_b32_e32 v5, v5, v8
	v_cndmask_b32_e32 v4, v16, v4, vcc_lo
	v_and_b32_e32 v5, 3, v5
	v_lshl_add_u32 v4, v4, 23, 0x37800000
	v_cndmask_b32_e32 v1, v1, v5, vcc_lo
	v_and_b32_e32 v5, 0x80000000, v17
	v_lshlrev_b32_e32 v1, 21, v1
	v_or3_b32 v1, v5, v4, v1
.LBB4_6096:                             ;   in Loop: Header=BB4_6082 Depth=3
	s_or_b32 exec_lo, exec_lo, s22
	v_mul_f32_e32 v1, s18, v1
	v_mov_b32_e32 v16, 0x80
	s_mov_b32 s22, exec_lo
	v_and_b32_e32 v4, 0x7f800000, v1
	v_cmpx_ne_u32_e32 0x7f800000, v4
	s_cbranch_execz .LBB4_6104
; %bb.6097:                             ;   in Loop: Header=BB4_6082 Depth=3
	v_mov_b32_e32 v16, 0
	s_mov_b32 s23, exec_lo
	v_cmpx_ne_u32_e32 0, v1
	s_cbranch_execz .LBB4_6103
; %bb.6098:                             ;   in Loop: Header=BB4_6082 Depth=3
	v_bfe_u32 v4, v1, 23, 8
	v_and_b32_e32 v5, 0x7fffff, v1
	v_sub_nc_u32_e32 v16, 0x70, v4
	v_cmp_gt_u32_e32 vcc_lo, 0x71, v4
	v_or_b32_e32 v17, 0x800000, v5
	v_cndmask_b32_e32 v16, 0, v16, vcc_lo
	v_cmp_eq_u32_e32 vcc_lo, 0, v4
	v_add_nc_u32_e32 v4, 0xffffff91, v4
	v_cndmask_b32_e64 v16, v16, 0x6f, vcc_lo
	v_cndmask_b32_e32 v5, v17, v5, vcc_lo
	v_cndmask_b32_e64 v4, v4, 0xffffff92, vcc_lo
	v_lshl_add_u32 v17, 0x200000, v16, -1
	v_lshrrev_b32_e32 v18, v16, v5
	v_lshlrev_b32_e64 v20, v16, 0x100000
	v_add_nc_u32_e32 v16, v16, v4
	v_and_b32_e32 v5, v17, v5
	v_bfe_u32 v19, v18, 21, 1
	v_cmp_eq_u32_e64 s17, v5, v20
	v_add_nc_u32_e32 v17, -1, v19
	v_cndmask_b32_e64 v5, 0, v17, s17
	v_lshrrev_b32_e32 v17, 23, v18
	s_mov_b32 s17, exec_lo
	v_add_nc_u32_e32 v5, v5, v18
	v_xor_b32_e32 v17, 1, v17
	v_and_b32_e32 v4, 0x1fffff, v5
	v_add_nc_u32_e32 v5, v4, v18
                                        ; implicit-def: $vgpr4
	v_cmpx_ne_u32_e64 v16, v17
	s_xor_b32 s17, exec_lo, s17
; %bb.6099:                             ;   in Loop: Header=BB4_6082 Depth=3
	v_cmp_lt_u32_e32 vcc_lo, 0xffffff, v5
	v_sub_nc_u32_e32 v4, v16, v17
	v_cndmask_b32_e64 v16, 0, 1, vcc_lo
	v_add_co_ci_u32_e64 v4, null, 0, v4, vcc_lo
	v_lshrrev_b32_e32 v5, v16, v5
; %bb.6100:                             ;   in Loop: Header=BB4_6082 Depth=3
	s_andn2_saveexec_b32 s17, s17
; %bb.6101:                             ;   in Loop: Header=BB4_6082 Depth=3
	v_bfe_u32 v4, v5, 23, 1
; %bb.6102:                             ;   in Loop: Header=BB4_6082 Depth=3
	s_or_b32 exec_lo, exec_lo, s17
	v_lshrrev_b32_e32 v5, 21, v5
	v_min_i32_e32 v16, 31, v4
	v_cmp_gt_i32_e32 vcc_lo, 32, v4
	v_and_b32_sdwa v1, v1, v101 dst_sel:DWORD dst_unused:UNUSED_PAD src0_sel:BYTE_3 src1_sel:DWORD
	v_lshlrev_b32_e32 v16, 2, v16
	v_cndmask_b32_e32 v5, 3, v5, vcc_lo
	v_and_b32_e32 v16, 0xfc, v16
	v_and_b32_e32 v17, 3, v5
	v_or_b32_e32 v4, v4, v5
	v_or3_b32 v1, v16, v1, v17
	v_cmp_ne_u32_e32 vcc_lo, 0, v4
	v_cndmask_b32_e32 v16, 0, v1, vcc_lo
.LBB4_6103:                             ;   in Loop: Header=BB4_6082 Depth=3
	s_or_b32 exec_lo, exec_lo, s23
.LBB4_6104:                             ;   in Loop: Header=BB4_6082 Depth=3
	s_or_b32 exec_lo, exec_lo, s22
	v_cmp_gt_i16_sdwa s22, v8, v100 src0_sel:BYTE_1 src1_sel:DWORD
	s_mov_b32 s17, 0
	s_and_saveexec_b32 s23, s22
	s_xor_b32 s22, exec_lo, s23
	s_cbranch_execz .LBB4_6639
; %bb.6105:                             ;   in Loop: Header=BB4_6082 Depth=3
	v_cmp_eq_u16_sdwa s76, v8, v101 src0_sel:BYTE_1 src1_sel:DWORD
	s_mov_b32 s17, -1
	s_and_saveexec_b32 s23, s76
; %bb.6106:                             ;   in Loop: Header=BB4_6082 Depth=3
	s_xor_b32 s17, exec_lo, -1
; %bb.6107:                             ;   in Loop: Header=BB4_6082 Depth=3
	s_or_b32 exec_lo, exec_lo, s23
	s_and_b32 s17, s17, exec_lo
	s_or_saveexec_b32 s22, s22
	v_mov_b32_e32 v1, 0x7f800001
	s_xor_b32 exec_lo, exec_lo, s22
	s_cbranch_execnz .LBB4_6640
.LBB4_6108:                             ;   in Loop: Header=BB4_6082 Depth=3
	s_or_b32 exec_lo, exec_lo, s22
	s_and_saveexec_b32 s22, s17
	s_cbranch_execz .LBB4_6110
.LBB4_6109:                             ;   in Loop: Header=BB4_6082 Depth=3
	v_and_b32_sdwa v1, v102, v8 dst_sel:DWORD dst_unused:UNUSED_PAD src0_sel:DWORD src1_sel:BYTE_1
	v_and_b32_e32 v4, 3, v1
	v_bfe_u32 v18, v1, 2, 5
	v_ffbh_u32_e32 v5, v4
	v_cmp_eq_u32_e32 vcc_lo, 0, v18
	v_min_u32_e32 v5, 32, v5
	v_subrev_nc_u32_e32 v17, 29, v5
	v_sub_nc_u32_e32 v5, 30, v5
	v_lshlrev_b32_e32 v1, v17, v1
	v_lshlrev_b32_sdwa v17, v103, v8 dst_sel:DWORD dst_unused:UNUSED_PAD src0_sel:DWORD src1_sel:BYTE_1
	v_cndmask_b32_e32 v5, v18, v5, vcc_lo
	v_and_b32_e32 v1, 3, v1
	v_lshl_add_u32 v5, v5, 23, 0x37800000
	v_cndmask_b32_e32 v1, v4, v1, vcc_lo
	v_and_b32_e32 v4, 0x80000000, v17
	v_lshlrev_b32_e32 v1, 21, v1
	v_or3_b32 v1, v4, v5, v1
.LBB4_6110:                             ;   in Loop: Header=BB4_6082 Depth=3
	s_or_b32 exec_lo, exec_lo, s22
	v_mul_f32_e32 v1, s18, v1
	v_mov_b32_e32 v19, 0x8000
	s_mov_b32 s22, exec_lo
	v_and_b32_e32 v4, 0x7f800000, v1
	v_cmpx_ne_u32_e32 0x7f800000, v4
	s_cbranch_execz .LBB4_6118
; %bb.6111:                             ;   in Loop: Header=BB4_6082 Depth=3
	v_mov_b32_e32 v19, 0
	s_mov_b32 s23, exec_lo
	v_cmpx_ne_u32_e32 0, v1
	s_cbranch_execz .LBB4_6117
; %bb.6112:                             ;   in Loop: Header=BB4_6082 Depth=3
	v_bfe_u32 v4, v1, 23, 8
	v_and_b32_e32 v5, 0x7fffff, v1
	v_sub_nc_u32_e32 v17, 0x70, v4
	v_cmp_gt_u32_e32 vcc_lo, 0x71, v4
	v_or_b32_e32 v18, 0x800000, v5
	v_cndmask_b32_e32 v17, 0, v17, vcc_lo
	v_cmp_eq_u32_e32 vcc_lo, 0, v4
	v_add_nc_u32_e32 v4, 0xffffff91, v4
	v_cndmask_b32_e64 v17, v17, 0x6f, vcc_lo
	v_cndmask_b32_e32 v5, v18, v5, vcc_lo
	v_cndmask_b32_e64 v4, v4, 0xffffff92, vcc_lo
	v_lshl_add_u32 v18, 0x200000, v17, -1
	v_lshrrev_b32_e32 v19, v17, v5
	v_lshlrev_b32_e64 v21, v17, 0x100000
	v_add_nc_u32_e32 v17, v17, v4
	v_and_b32_e32 v5, v18, v5
	v_bfe_u32 v20, v19, 21, 1
	v_cmp_eq_u32_e64 s17, v5, v21
	v_add_nc_u32_e32 v18, -1, v20
	v_cndmask_b32_e64 v5, 0, v18, s17
	v_lshrrev_b32_e32 v18, 23, v19
	s_mov_b32 s17, exec_lo
	v_add_nc_u32_e32 v5, v5, v19
	v_xor_b32_e32 v18, 1, v18
	v_and_b32_e32 v4, 0x1fffff, v5
	v_add_nc_u32_e32 v5, v4, v19
                                        ; implicit-def: $vgpr4
	v_cmpx_ne_u32_e64 v17, v18
	s_xor_b32 s17, exec_lo, s17
; %bb.6113:                             ;   in Loop: Header=BB4_6082 Depth=3
	v_cmp_lt_u32_e32 vcc_lo, 0xffffff, v5
	v_sub_nc_u32_e32 v4, v17, v18
	v_cndmask_b32_e64 v17, 0, 1, vcc_lo
	v_add_co_ci_u32_e64 v4, null, 0, v4, vcc_lo
	v_lshrrev_b32_e32 v5, v17, v5
; %bb.6114:                             ;   in Loop: Header=BB4_6082 Depth=3
	s_andn2_saveexec_b32 s17, s17
; %bb.6115:                             ;   in Loop: Header=BB4_6082 Depth=3
	v_bfe_u32 v4, v5, 23, 1
; %bb.6116:                             ;   in Loop: Header=BB4_6082 Depth=3
	s_or_b32 exec_lo, exec_lo, s17
	v_lshrrev_b32_e32 v5, 21, v5
	v_min_i32_e32 v17, 31, v4
	v_cmp_gt_i32_e32 vcc_lo, 32, v4
	v_and_b32_sdwa v1, v1, v101 dst_sel:DWORD dst_unused:UNUSED_PAD src0_sel:BYTE_3 src1_sel:DWORD
	v_lshlrev_b32_e32 v17, 2, v17
	v_cndmask_b32_e32 v5, 3, v5, vcc_lo
	v_and_b32_e32 v17, 0xfc, v17
	v_and_b32_e32 v18, 3, v5
	v_or_b32_e32 v4, v4, v5
	v_or3_b32 v1, v1, v17, v18
	v_cmp_ne_u32_e32 vcc_lo, 0, v4
	v_lshlrev_b32_e32 v1, 8, v1
	v_cndmask_b32_e32 v19, 0, v1, vcc_lo
.LBB4_6117:                             ;   in Loop: Header=BB4_6082 Depth=3
	s_or_b32 exec_lo, exec_lo, s23
.LBB4_6118:                             ;   in Loop: Header=BB4_6082 Depth=3
	s_or_b32 exec_lo, exec_lo, s22
	v_and_b32_sdwa v4, v8, v112 dst_sel:DWORD dst_unused:UNUSED_PAD src0_sel:WORD_1 src1_sel:DWORD
	s_mov_b32 s17, 0
	s_mov_b32 s22, exec_lo
	v_cmpx_lt_i16_e32 0x7f, v4
	s_xor_b32 s22, exec_lo, s22
	s_cbranch_execz .LBB4_6641
; %bb.6119:                             ;   in Loop: Header=BB4_6082 Depth=3
	s_mov_b32 s17, -1
	s_mov_b32 s23, exec_lo
	v_cmpx_eq_u16_e32 0x80, v4
; %bb.6120:                             ;   in Loop: Header=BB4_6082 Depth=3
	s_xor_b32 s17, exec_lo, -1
; %bb.6121:                             ;   in Loop: Header=BB4_6082 Depth=3
	s_or_b32 exec_lo, exec_lo, s23
	s_and_b32 s17, s17, exec_lo
                                        ; implicit-def: $vgpr4
	s_or_saveexec_b32 s22, s22
	v_mov_b32_e32 v1, 0x7f800001
	s_xor_b32 exec_lo, exec_lo, s22
	s_cbranch_execnz .LBB4_6642
.LBB4_6122:                             ;   in Loop: Header=BB4_6082 Depth=3
	s_or_b32 exec_lo, exec_lo, s22
	s_and_saveexec_b32 s22, s17
	s_cbranch_execz .LBB4_6124
.LBB4_6123:                             ;   in Loop: Header=BB4_6082 Depth=3
	v_bfe_u32 v1, v8, 16, 2
	v_bfe_u32 v17, v8, 18, 5
	v_lshlrev_b32_e32 v18, 8, v8
	v_ffbh_u32_e32 v4, v1
	v_cmp_eq_u32_e32 vcc_lo, 0, v17
	v_min_u32_e32 v4, 32, v4
	v_subrev_nc_u32_e32 v5, 29, v4
	v_sub_nc_u32_e32 v4, 30, v4
	v_lshlrev_b32_sdwa v5, v5, v8 dst_sel:DWORD dst_unused:UNUSED_PAD src0_sel:DWORD src1_sel:WORD_1
	v_cndmask_b32_e32 v4, v17, v4, vcc_lo
	v_and_b32_e32 v5, 3, v5
	v_lshl_add_u32 v4, v4, 23, 0x37800000
	v_cndmask_b32_e32 v1, v1, v5, vcc_lo
	v_and_b32_e32 v5, 0x80000000, v18
	v_lshlrev_b32_e32 v1, 21, v1
	v_or3_b32 v1, v5, v4, v1
.LBB4_6124:                             ;   in Loop: Header=BB4_6082 Depth=3
	s_or_b32 exec_lo, exec_lo, s22
	v_mul_f32_e32 v1, s18, v1
	v_mov_b32_e32 v30, 0x80
	s_mov_b32 s22, exec_lo
	v_and_b32_e32 v4, 0x7f800000, v1
	v_cmpx_ne_u32_e32 0x7f800000, v4
	s_cbranch_execz .LBB4_6132
; %bb.6125:                             ;   in Loop: Header=BB4_6082 Depth=3
	v_mov_b32_e32 v30, 0
	s_mov_b32 s23, exec_lo
	v_cmpx_ne_u32_e32 0, v1
	s_cbranch_execz .LBB4_6131
; %bb.6126:                             ;   in Loop: Header=BB4_6082 Depth=3
	v_bfe_u32 v4, v1, 23, 8
	v_and_b32_e32 v5, 0x7fffff, v1
	v_sub_nc_u32_e32 v17, 0x70, v4
	v_cmp_gt_u32_e32 vcc_lo, 0x71, v4
	v_or_b32_e32 v18, 0x800000, v5
	v_cndmask_b32_e32 v17, 0, v17, vcc_lo
	v_cmp_eq_u32_e32 vcc_lo, 0, v4
	v_add_nc_u32_e32 v4, 0xffffff91, v4
	v_cndmask_b32_e64 v17, v17, 0x6f, vcc_lo
	v_cndmask_b32_e32 v5, v18, v5, vcc_lo
	v_cndmask_b32_e64 v4, v4, 0xffffff92, vcc_lo
	v_lshl_add_u32 v18, 0x200000, v17, -1
	v_lshrrev_b32_e32 v20, v17, v5
	v_lshlrev_b32_e64 v30, v17, 0x100000
	v_add_nc_u32_e32 v17, v17, v4
	v_and_b32_e32 v5, v18, v5
	v_bfe_u32 v21, v20, 21, 1
	v_cmp_eq_u32_e64 s17, v5, v30
	v_add_nc_u32_e32 v18, -1, v21
	v_cndmask_b32_e64 v5, 0, v18, s17
	v_lshrrev_b32_e32 v18, 23, v20
	s_mov_b32 s17, exec_lo
	v_add_nc_u32_e32 v5, v5, v20
	v_xor_b32_e32 v18, 1, v18
	v_and_b32_e32 v4, 0x1fffff, v5
	v_add_nc_u32_e32 v5, v4, v20
                                        ; implicit-def: $vgpr4
	v_cmpx_ne_u32_e64 v17, v18
	s_xor_b32 s17, exec_lo, s17
; %bb.6127:                             ;   in Loop: Header=BB4_6082 Depth=3
	v_cmp_lt_u32_e32 vcc_lo, 0xffffff, v5
	v_sub_nc_u32_e32 v4, v17, v18
	v_cndmask_b32_e64 v17, 0, 1, vcc_lo
	v_add_co_ci_u32_e64 v4, null, 0, v4, vcc_lo
	v_lshrrev_b32_e32 v5, v17, v5
; %bb.6128:                             ;   in Loop: Header=BB4_6082 Depth=3
	s_andn2_saveexec_b32 s17, s17
; %bb.6129:                             ;   in Loop: Header=BB4_6082 Depth=3
	v_bfe_u32 v4, v5, 23, 1
; %bb.6130:                             ;   in Loop: Header=BB4_6082 Depth=3
	s_or_b32 exec_lo, exec_lo, s17
	v_lshrrev_b32_e32 v5, 21, v5
	v_min_i32_e32 v17, 31, v4
	v_cmp_gt_i32_e32 vcc_lo, 32, v4
	v_and_b32_sdwa v1, v1, v101 dst_sel:DWORD dst_unused:UNUSED_PAD src0_sel:BYTE_3 src1_sel:DWORD
	v_lshlrev_b32_e32 v17, 2, v17
	v_cndmask_b32_e32 v5, 3, v5, vcc_lo
	v_and_b32_e32 v17, 0xfc, v17
	v_and_b32_e32 v18, 3, v5
	v_or_b32_e32 v4, v4, v5
	v_or3_b32 v1, v17, v1, v18
	v_cmp_ne_u32_e32 vcc_lo, 0, v4
	v_cndmask_b32_e32 v30, 0, v1, vcc_lo
.LBB4_6131:                             ;   in Loop: Header=BB4_6082 Depth=3
	s_or_b32 exec_lo, exec_lo, s23
.LBB4_6132:                             ;   in Loop: Header=BB4_6082 Depth=3
	s_or_b32 exec_lo, exec_lo, s22
	v_cmp_gt_i16_sdwa s22, v8, v100 src0_sel:BYTE_3 src1_sel:DWORD
	s_mov_b32 s17, 0
	s_and_saveexec_b32 s23, s22
	s_xor_b32 s22, exec_lo, s23
	s_cbranch_execz .LBB4_6643
; %bb.6133:                             ;   in Loop: Header=BB4_6082 Depth=3
	v_cmp_eq_u16_sdwa s76, v8, v101 src0_sel:BYTE_3 src1_sel:DWORD
	s_mov_b32 s17, -1
	s_and_saveexec_b32 s23, s76
; %bb.6134:                             ;   in Loop: Header=BB4_6082 Depth=3
	s_xor_b32 s17, exec_lo, -1
; %bb.6135:                             ;   in Loop: Header=BB4_6082 Depth=3
	s_or_b32 exec_lo, exec_lo, s23
	s_and_b32 s17, s17, exec_lo
	s_or_saveexec_b32 s22, s22
	v_mov_b32_e32 v1, 0x7f800001
	s_xor_b32 exec_lo, exec_lo, s22
	s_cbranch_execnz .LBB4_6644
.LBB4_6136:                             ;   in Loop: Header=BB4_6082 Depth=3
	s_or_b32 exec_lo, exec_lo, s22
	s_and_saveexec_b32 s22, s17
	s_cbranch_execz .LBB4_6138
.LBB4_6137:                             ;   in Loop: Header=BB4_6082 Depth=3
	v_bfe_u32 v1, v8, 24, 2
	v_bfe_u32 v17, v8, 26, 5
	v_ffbh_u32_e32 v4, v1
	v_cmp_eq_u32_e32 vcc_lo, 0, v17
	v_min_u32_e32 v4, 32, v4
	v_subrev_nc_u32_e32 v5, 29, v4
	v_sub_nc_u32_e32 v4, 30, v4
	v_lshlrev_b32_sdwa v5, v5, v8 dst_sel:DWORD dst_unused:UNUSED_PAD src0_sel:DWORD src1_sel:BYTE_3
	v_cndmask_b32_e32 v4, v17, v4, vcc_lo
	v_and_b32_e32 v5, 3, v5
	v_lshl_add_u32 v4, v4, 23, 0x37800000
	v_cndmask_b32_e32 v1, v1, v5, vcc_lo
	v_and_b32_e32 v5, 0x80000000, v8
	v_lshlrev_b32_e32 v1, 21, v1
	v_or3_b32 v1, v5, v4, v1
.LBB4_6138:                             ;   in Loop: Header=BB4_6082 Depth=3
	s_or_b32 exec_lo, exec_lo, s22
	v_mul_f32_e32 v1, s18, v1
	v_mov_b32_e32 v34, 0x8000
	s_mov_b32 s22, exec_lo
	v_and_b32_e32 v4, 0x7f800000, v1
	v_cmpx_ne_u32_e32 0x7f800000, v4
	s_cbranch_execz .LBB4_6146
; %bb.6139:                             ;   in Loop: Header=BB4_6082 Depth=3
	v_mov_b32_e32 v34, 0
	s_mov_b32 s23, exec_lo
	v_cmpx_ne_u32_e32 0, v1
	s_cbranch_execz .LBB4_6145
; %bb.6140:                             ;   in Loop: Header=BB4_6082 Depth=3
	v_bfe_u32 v4, v1, 23, 8
	v_and_b32_e32 v5, 0x7fffff, v1
	v_sub_nc_u32_e32 v8, 0x70, v4
	v_cmp_gt_u32_e32 vcc_lo, 0x71, v4
	v_or_b32_e32 v17, 0x800000, v5
	v_cndmask_b32_e32 v8, 0, v8, vcc_lo
	v_cmp_eq_u32_e32 vcc_lo, 0, v4
	v_add_nc_u32_e32 v4, 0xffffff91, v4
	v_cndmask_b32_e64 v8, v8, 0x6f, vcc_lo
	v_cndmask_b32_e32 v5, v17, v5, vcc_lo
	v_cndmask_b32_e64 v4, v4, 0xffffff92, vcc_lo
	v_lshl_add_u32 v17, 0x200000, v8, -1
	v_lshrrev_b32_e32 v18, v8, v5
	v_lshlrev_b32_e64 v21, v8, 0x100000
	v_add_nc_u32_e32 v8, v8, v4
	v_and_b32_e32 v5, v17, v5
	v_bfe_u32 v20, v18, 21, 1
	v_cmp_eq_u32_e64 s17, v5, v21
	v_add_nc_u32_e32 v17, -1, v20
	v_cndmask_b32_e64 v5, 0, v17, s17
	v_lshrrev_b32_e32 v17, 23, v18
	s_mov_b32 s17, exec_lo
	v_add_nc_u32_e32 v5, v5, v18
	v_xor_b32_e32 v17, 1, v17
	v_and_b32_e32 v4, 0x1fffff, v5
	v_add_nc_u32_e32 v5, v4, v18
                                        ; implicit-def: $vgpr4
	v_cmpx_ne_u32_e64 v8, v17
	s_xor_b32 s17, exec_lo, s17
; %bb.6141:                             ;   in Loop: Header=BB4_6082 Depth=3
	v_cmp_lt_u32_e32 vcc_lo, 0xffffff, v5
	v_sub_nc_u32_e32 v4, v8, v17
	v_cndmask_b32_e64 v8, 0, 1, vcc_lo
	v_add_co_ci_u32_e64 v4, null, 0, v4, vcc_lo
	v_lshrrev_b32_e32 v5, v8, v5
; %bb.6142:                             ;   in Loop: Header=BB4_6082 Depth=3
	s_andn2_saveexec_b32 s17, s17
; %bb.6143:                             ;   in Loop: Header=BB4_6082 Depth=3
	v_bfe_u32 v4, v5, 23, 1
; %bb.6144:                             ;   in Loop: Header=BB4_6082 Depth=3
	s_or_b32 exec_lo, exec_lo, s17
	v_lshrrev_b32_e32 v5, 21, v5
	v_min_i32_e32 v8, 31, v4
	v_cmp_gt_i32_e32 vcc_lo, 32, v4
	v_and_b32_sdwa v1, v1, v101 dst_sel:DWORD dst_unused:UNUSED_PAD src0_sel:BYTE_3 src1_sel:DWORD
	v_lshlrev_b32_e32 v8, 2, v8
	v_cndmask_b32_e32 v5, 3, v5, vcc_lo
	v_and_b32_e32 v8, 0xfc, v8
	v_and_b32_e32 v17, 3, v5
	v_or_b32_e32 v4, v4, v5
	v_or3_b32 v1, v1, v8, v17
	v_cmp_ne_u32_e32 vcc_lo, 0, v4
	v_lshlrev_b32_e32 v1, 8, v1
	v_cndmask_b32_e32 v34, 0, v1, vcc_lo
.LBB4_6145:                             ;   in Loop: Header=BB4_6082 Depth=3
	s_or_b32 exec_lo, exec_lo, s23
.LBB4_6146:                             ;   in Loop: Header=BB4_6082 Depth=3
	s_or_b32 exec_lo, exec_lo, s22
	v_cmp_gt_i16_sdwa s22, v9, v100 src0_sel:BYTE_0 src1_sel:DWORD
	s_mov_b32 s17, 0
	s_and_saveexec_b32 s23, s22
	s_xor_b32 s22, exec_lo, s23
	s_cbranch_execz .LBB4_6645
; %bb.6147:                             ;   in Loop: Header=BB4_6082 Depth=3
	v_cmp_eq_u16_sdwa s76, v9, v101 src0_sel:BYTE_0 src1_sel:DWORD
	s_mov_b32 s17, -1
	s_and_saveexec_b32 s23, s76
; %bb.6148:                             ;   in Loop: Header=BB4_6082 Depth=3
	s_xor_b32 s17, exec_lo, -1
; %bb.6149:                             ;   in Loop: Header=BB4_6082 Depth=3
	s_or_b32 exec_lo, exec_lo, s23
	s_and_b32 s17, s17, exec_lo
	s_or_saveexec_b32 s22, s22
	v_mov_b32_e32 v1, 0x7f800001
	s_xor_b32 exec_lo, exec_lo, s22
	s_cbranch_execnz .LBB4_6646
.LBB4_6150:                             ;   in Loop: Header=BB4_6082 Depth=3
	s_or_b32 exec_lo, exec_lo, s22
	s_and_saveexec_b32 s22, s17
	s_cbranch_execz .LBB4_6152
.LBB4_6151:                             ;   in Loop: Header=BB4_6082 Depth=3
	v_and_b32_e32 v1, 3, v9
	v_bfe_u32 v8, v9, 2, 5
	v_lshlrev_b32_e32 v17, 24, v9
	v_ffbh_u32_e32 v4, v1
	v_cmp_eq_u32_e32 vcc_lo, 0, v8
	v_min_u32_e32 v4, 32, v4
	v_subrev_nc_u32_e32 v5, 29, v4
	v_sub_nc_u32_e32 v4, 30, v4
	v_lshlrev_b32_e32 v5, v5, v9
	v_cndmask_b32_e32 v4, v8, v4, vcc_lo
	v_and_b32_e32 v5, 3, v5
	v_lshl_add_u32 v4, v4, 23, 0x37800000
	v_cndmask_b32_e32 v1, v1, v5, vcc_lo
	v_and_b32_e32 v5, 0x80000000, v17
	v_lshlrev_b32_e32 v1, 21, v1
	v_or3_b32 v1, v5, v4, v1
.LBB4_6152:                             ;   in Loop: Header=BB4_6082 Depth=3
	s_or_b32 exec_lo, exec_lo, s22
	v_mul_f32_e32 v1, s18, v1
	v_mov_b32_e32 v73, 0x80
	s_mov_b32 s22, exec_lo
	v_and_b32_e32 v4, 0x7f800000, v1
	v_cmpx_ne_u32_e32 0x7f800000, v4
	s_cbranch_execz .LBB4_6160
; %bb.6153:                             ;   in Loop: Header=BB4_6082 Depth=3
	v_mov_b32_e32 v73, 0
	s_mov_b32 s23, exec_lo
	v_cmpx_ne_u32_e32 0, v1
	s_cbranch_execz .LBB4_6159
; %bb.6154:                             ;   in Loop: Header=BB4_6082 Depth=3
	v_bfe_u32 v4, v1, 23, 8
	v_and_b32_e32 v5, 0x7fffff, v1
	v_sub_nc_u32_e32 v8, 0x70, v4
	v_cmp_gt_u32_e32 vcc_lo, 0x71, v4
	v_or_b32_e32 v17, 0x800000, v5
	v_cndmask_b32_e32 v8, 0, v8, vcc_lo
	v_cmp_eq_u32_e32 vcc_lo, 0, v4
	v_add_nc_u32_e32 v4, 0xffffff91, v4
	v_cndmask_b32_e64 v8, v8, 0x6f, vcc_lo
	v_cndmask_b32_e32 v5, v17, v5, vcc_lo
	v_cndmask_b32_e64 v4, v4, 0xffffff92, vcc_lo
	v_lshl_add_u32 v17, 0x200000, v8, -1
	v_lshrrev_b32_e32 v18, v8, v5
	v_lshlrev_b32_e64 v21, v8, 0x100000
	v_add_nc_u32_e32 v8, v8, v4
	v_and_b32_e32 v5, v17, v5
	v_bfe_u32 v20, v18, 21, 1
	v_cmp_eq_u32_e64 s17, v5, v21
	v_add_nc_u32_e32 v17, -1, v20
	v_cndmask_b32_e64 v5, 0, v17, s17
	v_lshrrev_b32_e32 v17, 23, v18
	s_mov_b32 s17, exec_lo
	v_add_nc_u32_e32 v5, v5, v18
	v_xor_b32_e32 v17, 1, v17
	v_and_b32_e32 v4, 0x1fffff, v5
	v_add_nc_u32_e32 v5, v4, v18
                                        ; implicit-def: $vgpr4
	v_cmpx_ne_u32_e64 v8, v17
	s_xor_b32 s17, exec_lo, s17
; %bb.6155:                             ;   in Loop: Header=BB4_6082 Depth=3
	v_cmp_lt_u32_e32 vcc_lo, 0xffffff, v5
	v_sub_nc_u32_e32 v4, v8, v17
	v_cndmask_b32_e64 v8, 0, 1, vcc_lo
	v_add_co_ci_u32_e64 v4, null, 0, v4, vcc_lo
	v_lshrrev_b32_e32 v5, v8, v5
; %bb.6156:                             ;   in Loop: Header=BB4_6082 Depth=3
	s_andn2_saveexec_b32 s17, s17
; %bb.6157:                             ;   in Loop: Header=BB4_6082 Depth=3
	v_bfe_u32 v4, v5, 23, 1
; %bb.6158:                             ;   in Loop: Header=BB4_6082 Depth=3
	s_or_b32 exec_lo, exec_lo, s17
	v_lshrrev_b32_e32 v5, 21, v5
	v_min_i32_e32 v8, 31, v4
	v_cmp_gt_i32_e32 vcc_lo, 32, v4
	v_and_b32_sdwa v1, v1, v101 dst_sel:DWORD dst_unused:UNUSED_PAD src0_sel:BYTE_3 src1_sel:DWORD
	v_lshlrev_b32_e32 v8, 2, v8
	v_cndmask_b32_e32 v5, 3, v5, vcc_lo
	v_and_b32_e32 v8, 0xfc, v8
	v_and_b32_e32 v17, 3, v5
	v_or_b32_e32 v4, v4, v5
	v_or3_b32 v1, v8, v1, v17
	v_cmp_ne_u32_e32 vcc_lo, 0, v4
	v_cndmask_b32_e32 v73, 0, v1, vcc_lo
.LBB4_6159:                             ;   in Loop: Header=BB4_6082 Depth=3
	s_or_b32 exec_lo, exec_lo, s23
.LBB4_6160:                             ;   in Loop: Header=BB4_6082 Depth=3
	s_or_b32 exec_lo, exec_lo, s22
	v_cmp_gt_i16_sdwa s22, v9, v100 src0_sel:BYTE_1 src1_sel:DWORD
	s_mov_b32 s17, 0
	s_and_saveexec_b32 s23, s22
	s_xor_b32 s22, exec_lo, s23
	s_cbranch_execz .LBB4_6647
; %bb.6161:                             ;   in Loop: Header=BB4_6082 Depth=3
	v_cmp_eq_u16_sdwa s76, v9, v101 src0_sel:BYTE_1 src1_sel:DWORD
	s_mov_b32 s17, -1
	s_and_saveexec_b32 s23, s76
; %bb.6162:                             ;   in Loop: Header=BB4_6082 Depth=3
	s_xor_b32 s17, exec_lo, -1
; %bb.6163:                             ;   in Loop: Header=BB4_6082 Depth=3
	s_or_b32 exec_lo, exec_lo, s23
	s_and_b32 s17, s17, exec_lo
	s_or_saveexec_b32 s22, s22
	v_mov_b32_e32 v1, 0x7f800001
	s_xor_b32 exec_lo, exec_lo, s22
	s_cbranch_execnz .LBB4_6648
.LBB4_6164:                             ;   in Loop: Header=BB4_6082 Depth=3
	s_or_b32 exec_lo, exec_lo, s22
	s_and_saveexec_b32 s22, s17
	s_cbranch_execz .LBB4_6166
.LBB4_6165:                             ;   in Loop: Header=BB4_6082 Depth=3
	v_and_b32_sdwa v1, v102, v9 dst_sel:DWORD dst_unused:UNUSED_PAD src0_sel:DWORD src1_sel:BYTE_1
	v_and_b32_e32 v4, 3, v1
	v_bfe_u32 v17, v1, 2, 5
	v_ffbh_u32_e32 v5, v4
	v_cmp_eq_u32_e32 vcc_lo, 0, v17
	v_min_u32_e32 v5, 32, v5
	v_subrev_nc_u32_e32 v8, 29, v5
	v_sub_nc_u32_e32 v5, 30, v5
	v_lshlrev_b32_e32 v1, v8, v1
	v_lshlrev_b32_sdwa v8, v103, v9 dst_sel:DWORD dst_unused:UNUSED_PAD src0_sel:DWORD src1_sel:BYTE_1
	v_cndmask_b32_e32 v5, v17, v5, vcc_lo
	v_and_b32_e32 v1, 3, v1
	v_lshl_add_u32 v5, v5, 23, 0x37800000
	v_cndmask_b32_e32 v1, v4, v1, vcc_lo
	v_and_b32_e32 v4, 0x80000000, v8
	v_lshlrev_b32_e32 v1, 21, v1
	v_or3_b32 v1, v4, v5, v1
.LBB4_6166:                             ;   in Loop: Header=BB4_6082 Depth=3
	s_or_b32 exec_lo, exec_lo, s22
	v_mul_f32_e32 v1, s18, v1
	v_mov_b32_e32 v75, 0x8000
	s_mov_b32 s22, exec_lo
	v_and_b32_e32 v4, 0x7f800000, v1
	v_cmpx_ne_u32_e32 0x7f800000, v4
	s_cbranch_execz .LBB4_6174
; %bb.6167:                             ;   in Loop: Header=BB4_6082 Depth=3
	v_mov_b32_e32 v75, 0
	s_mov_b32 s23, exec_lo
	v_cmpx_ne_u32_e32 0, v1
	s_cbranch_execz .LBB4_6173
; %bb.6168:                             ;   in Loop: Header=BB4_6082 Depth=3
	v_bfe_u32 v4, v1, 23, 8
	v_and_b32_e32 v5, 0x7fffff, v1
	v_sub_nc_u32_e32 v8, 0x70, v4
	v_cmp_gt_u32_e32 vcc_lo, 0x71, v4
	v_or_b32_e32 v17, 0x800000, v5
	v_cndmask_b32_e32 v8, 0, v8, vcc_lo
	v_cmp_eq_u32_e32 vcc_lo, 0, v4
	v_add_nc_u32_e32 v4, 0xffffff91, v4
	v_cndmask_b32_e64 v8, v8, 0x6f, vcc_lo
	v_cndmask_b32_e32 v5, v17, v5, vcc_lo
	v_cndmask_b32_e64 v4, v4, 0xffffff92, vcc_lo
	v_lshl_add_u32 v17, 0x200000, v8, -1
	v_lshrrev_b32_e32 v18, v8, v5
	v_lshlrev_b32_e64 v21, v8, 0x100000
	v_add_nc_u32_e32 v8, v8, v4
	v_and_b32_e32 v5, v17, v5
	v_bfe_u32 v20, v18, 21, 1
	v_cmp_eq_u32_e64 s17, v5, v21
	v_add_nc_u32_e32 v17, -1, v20
	v_cndmask_b32_e64 v5, 0, v17, s17
	v_lshrrev_b32_e32 v17, 23, v18
	s_mov_b32 s17, exec_lo
	v_add_nc_u32_e32 v5, v5, v18
	v_xor_b32_e32 v17, 1, v17
	v_and_b32_e32 v4, 0x1fffff, v5
	v_add_nc_u32_e32 v5, v4, v18
                                        ; implicit-def: $vgpr4
	v_cmpx_ne_u32_e64 v8, v17
	s_xor_b32 s17, exec_lo, s17
; %bb.6169:                             ;   in Loop: Header=BB4_6082 Depth=3
	v_cmp_lt_u32_e32 vcc_lo, 0xffffff, v5
	v_sub_nc_u32_e32 v4, v8, v17
	v_cndmask_b32_e64 v8, 0, 1, vcc_lo
	v_add_co_ci_u32_e64 v4, null, 0, v4, vcc_lo
	v_lshrrev_b32_e32 v5, v8, v5
; %bb.6170:                             ;   in Loop: Header=BB4_6082 Depth=3
	s_andn2_saveexec_b32 s17, s17
; %bb.6171:                             ;   in Loop: Header=BB4_6082 Depth=3
	v_bfe_u32 v4, v5, 23, 1
; %bb.6172:                             ;   in Loop: Header=BB4_6082 Depth=3
	s_or_b32 exec_lo, exec_lo, s17
	v_lshrrev_b32_e32 v5, 21, v5
	v_min_i32_e32 v8, 31, v4
	v_cmp_gt_i32_e32 vcc_lo, 32, v4
	v_and_b32_sdwa v1, v1, v101 dst_sel:DWORD dst_unused:UNUSED_PAD src0_sel:BYTE_3 src1_sel:DWORD
	v_lshlrev_b32_e32 v8, 2, v8
	v_cndmask_b32_e32 v5, 3, v5, vcc_lo
	v_and_b32_e32 v8, 0xfc, v8
	v_and_b32_e32 v17, 3, v5
	v_or_b32_e32 v4, v4, v5
	v_or3_b32 v1, v1, v8, v17
	v_cmp_ne_u32_e32 vcc_lo, 0, v4
	v_lshlrev_b32_e32 v1, 8, v1
	v_cndmask_b32_e32 v75, 0, v1, vcc_lo
.LBB4_6173:                             ;   in Loop: Header=BB4_6082 Depth=3
	s_or_b32 exec_lo, exec_lo, s23
.LBB4_6174:                             ;   in Loop: Header=BB4_6082 Depth=3
	s_or_b32 exec_lo, exec_lo, s22
	v_and_b32_sdwa v4, v9, v112 dst_sel:DWORD dst_unused:UNUSED_PAD src0_sel:WORD_1 src1_sel:DWORD
	s_mov_b32 s17, 0
	s_mov_b32 s22, exec_lo
	v_cmpx_lt_i16_e32 0x7f, v4
	s_xor_b32 s22, exec_lo, s22
	s_cbranch_execz .LBB4_6649
; %bb.6175:                             ;   in Loop: Header=BB4_6082 Depth=3
	s_mov_b32 s17, -1
	s_mov_b32 s23, exec_lo
	v_cmpx_eq_u16_e32 0x80, v4
; %bb.6176:                             ;   in Loop: Header=BB4_6082 Depth=3
	s_xor_b32 s17, exec_lo, -1
; %bb.6177:                             ;   in Loop: Header=BB4_6082 Depth=3
	s_or_b32 exec_lo, exec_lo, s23
	s_and_b32 s17, s17, exec_lo
                                        ; implicit-def: $vgpr4
	s_or_saveexec_b32 s22, s22
	v_mov_b32_e32 v1, 0x7f800001
	s_xor_b32 exec_lo, exec_lo, s22
	s_cbranch_execnz .LBB4_6650
.LBB4_6178:                             ;   in Loop: Header=BB4_6082 Depth=3
	s_or_b32 exec_lo, exec_lo, s22
	s_and_saveexec_b32 s22, s17
	s_cbranch_execz .LBB4_6180
.LBB4_6179:                             ;   in Loop: Header=BB4_6082 Depth=3
	v_bfe_u32 v1, v9, 16, 2
	v_bfe_u32 v8, v9, 18, 5
	v_lshlrev_b32_e32 v17, 8, v9
	v_ffbh_u32_e32 v4, v1
	v_cmp_eq_u32_e32 vcc_lo, 0, v8
	v_min_u32_e32 v4, 32, v4
	v_subrev_nc_u32_e32 v5, 29, v4
	v_sub_nc_u32_e32 v4, 30, v4
	v_lshlrev_b32_sdwa v5, v5, v9 dst_sel:DWORD dst_unused:UNUSED_PAD src0_sel:DWORD src1_sel:WORD_1
	v_cndmask_b32_e32 v4, v8, v4, vcc_lo
	v_and_b32_e32 v5, 3, v5
	v_lshl_add_u32 v4, v4, 23, 0x37800000
	v_cndmask_b32_e32 v1, v1, v5, vcc_lo
	v_and_b32_e32 v5, 0x80000000, v17
	v_lshlrev_b32_e32 v1, 21, v1
	v_or3_b32 v1, v5, v4, v1
.LBB4_6180:                             ;   in Loop: Header=BB4_6082 Depth=3
	s_or_b32 exec_lo, exec_lo, s22
	v_mul_f32_e32 v1, s18, v1
	v_mov_b32_e32 v37, 0x80
	s_mov_b32 s22, exec_lo
	v_and_b32_e32 v4, 0x7f800000, v1
	v_cmpx_ne_u32_e32 0x7f800000, v4
	s_cbranch_execz .LBB4_6188
; %bb.6181:                             ;   in Loop: Header=BB4_6082 Depth=3
	v_mov_b32_e32 v37, 0
	s_mov_b32 s23, exec_lo
	v_cmpx_ne_u32_e32 0, v1
	s_cbranch_execz .LBB4_6187
; %bb.6182:                             ;   in Loop: Header=BB4_6082 Depth=3
	v_bfe_u32 v4, v1, 23, 8
	v_and_b32_e32 v5, 0x7fffff, v1
	v_sub_nc_u32_e32 v8, 0x70, v4
	v_cmp_gt_u32_e32 vcc_lo, 0x71, v4
	v_or_b32_e32 v17, 0x800000, v5
	v_cndmask_b32_e32 v8, 0, v8, vcc_lo
	v_cmp_eq_u32_e32 vcc_lo, 0, v4
	v_add_nc_u32_e32 v4, 0xffffff91, v4
	v_cndmask_b32_e64 v8, v8, 0x6f, vcc_lo
	v_cndmask_b32_e32 v5, v17, v5, vcc_lo
	v_cndmask_b32_e64 v4, v4, 0xffffff92, vcc_lo
	v_lshl_add_u32 v17, 0x200000, v8, -1
	v_lshrrev_b32_e32 v18, v8, v5
	v_lshlrev_b32_e64 v21, v8, 0x100000
	v_add_nc_u32_e32 v8, v8, v4
	v_and_b32_e32 v5, v17, v5
	v_bfe_u32 v20, v18, 21, 1
	v_cmp_eq_u32_e64 s17, v5, v21
	v_add_nc_u32_e32 v17, -1, v20
	v_cndmask_b32_e64 v5, 0, v17, s17
	v_lshrrev_b32_e32 v17, 23, v18
	s_mov_b32 s17, exec_lo
	v_add_nc_u32_e32 v5, v5, v18
	v_xor_b32_e32 v17, 1, v17
	v_and_b32_e32 v4, 0x1fffff, v5
	v_add_nc_u32_e32 v5, v4, v18
                                        ; implicit-def: $vgpr4
	v_cmpx_ne_u32_e64 v8, v17
	s_xor_b32 s17, exec_lo, s17
; %bb.6183:                             ;   in Loop: Header=BB4_6082 Depth=3
	v_cmp_lt_u32_e32 vcc_lo, 0xffffff, v5
	v_sub_nc_u32_e32 v4, v8, v17
	v_cndmask_b32_e64 v8, 0, 1, vcc_lo
	v_add_co_ci_u32_e64 v4, null, 0, v4, vcc_lo
	v_lshrrev_b32_e32 v5, v8, v5
; %bb.6184:                             ;   in Loop: Header=BB4_6082 Depth=3
	s_andn2_saveexec_b32 s17, s17
; %bb.6185:                             ;   in Loop: Header=BB4_6082 Depth=3
	v_bfe_u32 v4, v5, 23, 1
; %bb.6186:                             ;   in Loop: Header=BB4_6082 Depth=3
	s_or_b32 exec_lo, exec_lo, s17
	v_lshrrev_b32_e32 v5, 21, v5
	v_min_i32_e32 v8, 31, v4
	v_cmp_gt_i32_e32 vcc_lo, 32, v4
	v_and_b32_sdwa v1, v1, v101 dst_sel:DWORD dst_unused:UNUSED_PAD src0_sel:BYTE_3 src1_sel:DWORD
	v_lshlrev_b32_e32 v8, 2, v8
	v_cndmask_b32_e32 v5, 3, v5, vcc_lo
	v_and_b32_e32 v8, 0xfc, v8
	v_and_b32_e32 v17, 3, v5
	v_or_b32_e32 v4, v4, v5
	v_or3_b32 v1, v8, v1, v17
	v_cmp_ne_u32_e32 vcc_lo, 0, v4
	v_cndmask_b32_e32 v37, 0, v1, vcc_lo
.LBB4_6187:                             ;   in Loop: Header=BB4_6082 Depth=3
	s_or_b32 exec_lo, exec_lo, s23
.LBB4_6188:                             ;   in Loop: Header=BB4_6082 Depth=3
	s_or_b32 exec_lo, exec_lo, s22
	v_cmp_gt_i16_sdwa s22, v9, v100 src0_sel:BYTE_3 src1_sel:DWORD
	s_mov_b32 s17, 0
	s_and_saveexec_b32 s23, s22
	s_xor_b32 s22, exec_lo, s23
	s_cbranch_execz .LBB4_6651
; %bb.6189:                             ;   in Loop: Header=BB4_6082 Depth=3
	v_cmp_eq_u16_sdwa s76, v9, v101 src0_sel:BYTE_3 src1_sel:DWORD
	s_mov_b32 s17, -1
	s_and_saveexec_b32 s23, s76
; %bb.6190:                             ;   in Loop: Header=BB4_6082 Depth=3
	s_xor_b32 s17, exec_lo, -1
; %bb.6191:                             ;   in Loop: Header=BB4_6082 Depth=3
	s_or_b32 exec_lo, exec_lo, s23
	s_and_b32 s17, s17, exec_lo
	s_or_saveexec_b32 s22, s22
	v_mov_b32_e32 v1, 0x7f800001
	s_xor_b32 exec_lo, exec_lo, s22
	s_cbranch_execnz .LBB4_6652
.LBB4_6192:                             ;   in Loop: Header=BB4_6082 Depth=3
	s_or_b32 exec_lo, exec_lo, s22
	s_and_saveexec_b32 s22, s17
	s_cbranch_execz .LBB4_6194
.LBB4_6193:                             ;   in Loop: Header=BB4_6082 Depth=3
	v_bfe_u32 v1, v9, 24, 2
	v_bfe_u32 v8, v9, 26, 5
	v_ffbh_u32_e32 v4, v1
	v_cmp_eq_u32_e32 vcc_lo, 0, v8
	v_min_u32_e32 v4, 32, v4
	v_subrev_nc_u32_e32 v5, 29, v4
	v_sub_nc_u32_e32 v4, 30, v4
	v_lshlrev_b32_sdwa v5, v5, v9 dst_sel:DWORD dst_unused:UNUSED_PAD src0_sel:DWORD src1_sel:BYTE_3
	v_cndmask_b32_e32 v4, v8, v4, vcc_lo
	v_and_b32_e32 v5, 3, v5
	v_lshl_add_u32 v4, v4, 23, 0x37800000
	v_cndmask_b32_e32 v1, v1, v5, vcc_lo
	v_and_b32_e32 v5, 0x80000000, v9
	v_lshlrev_b32_e32 v1, 21, v1
	v_or3_b32 v1, v5, v4, v1
.LBB4_6194:                             ;   in Loop: Header=BB4_6082 Depth=3
	s_or_b32 exec_lo, exec_lo, s22
	v_mul_f32_e32 v1, s18, v1
	v_mov_b32_e32 v74, 0x8000
	s_mov_b32 s22, exec_lo
	v_and_b32_e32 v4, 0x7f800000, v1
	v_cmpx_ne_u32_e32 0x7f800000, v4
	s_cbranch_execz .LBB4_6202
; %bb.6195:                             ;   in Loop: Header=BB4_6082 Depth=3
	v_mov_b32_e32 v74, 0
	s_mov_b32 s23, exec_lo
	v_cmpx_ne_u32_e32 0, v1
	s_cbranch_execz .LBB4_6201
; %bb.6196:                             ;   in Loop: Header=BB4_6082 Depth=3
	v_bfe_u32 v4, v1, 23, 8
	v_and_b32_e32 v5, 0x7fffff, v1
	v_sub_nc_u32_e32 v8, 0x70, v4
	v_cmp_gt_u32_e32 vcc_lo, 0x71, v4
	v_or_b32_e32 v9, 0x800000, v5
	v_cndmask_b32_e32 v8, 0, v8, vcc_lo
	v_cmp_eq_u32_e32 vcc_lo, 0, v4
	v_add_nc_u32_e32 v4, 0xffffff91, v4
	v_cndmask_b32_e64 v8, v8, 0x6f, vcc_lo
	v_cndmask_b32_e32 v5, v9, v5, vcc_lo
	v_cndmask_b32_e64 v4, v4, 0xffffff92, vcc_lo
	v_lshl_add_u32 v9, 0x200000, v8, -1
	v_lshrrev_b32_e32 v17, v8, v5
	v_lshlrev_b32_e64 v20, v8, 0x100000
	v_add_nc_u32_e32 v8, v8, v4
	v_and_b32_e32 v5, v9, v5
	v_bfe_u32 v18, v17, 21, 1
	v_cmp_eq_u32_e64 s17, v5, v20
	v_add_nc_u32_e32 v9, -1, v18
	v_cndmask_b32_e64 v5, 0, v9, s17
	v_lshrrev_b32_e32 v9, 23, v17
	s_mov_b32 s17, exec_lo
	v_add_nc_u32_e32 v5, v5, v17
	v_xor_b32_e32 v9, 1, v9
	v_and_b32_e32 v4, 0x1fffff, v5
	v_add_nc_u32_e32 v5, v4, v17
                                        ; implicit-def: $vgpr4
	v_cmpx_ne_u32_e64 v8, v9
	s_xor_b32 s17, exec_lo, s17
; %bb.6197:                             ;   in Loop: Header=BB4_6082 Depth=3
	v_cmp_lt_u32_e32 vcc_lo, 0xffffff, v5
	v_sub_nc_u32_e32 v4, v8, v9
	v_cndmask_b32_e64 v8, 0, 1, vcc_lo
	v_add_co_ci_u32_e64 v4, null, 0, v4, vcc_lo
	v_lshrrev_b32_e32 v5, v8, v5
; %bb.6198:                             ;   in Loop: Header=BB4_6082 Depth=3
	s_andn2_saveexec_b32 s17, s17
; %bb.6199:                             ;   in Loop: Header=BB4_6082 Depth=3
	v_bfe_u32 v4, v5, 23, 1
; %bb.6200:                             ;   in Loop: Header=BB4_6082 Depth=3
	s_or_b32 exec_lo, exec_lo, s17
	v_lshrrev_b32_e32 v5, 21, v5
	v_min_i32_e32 v8, 31, v4
	v_cmp_gt_i32_e32 vcc_lo, 32, v4
	v_and_b32_sdwa v1, v1, v101 dst_sel:DWORD dst_unused:UNUSED_PAD src0_sel:BYTE_3 src1_sel:DWORD
	v_lshlrev_b32_e32 v8, 2, v8
	v_cndmask_b32_e32 v5, 3, v5, vcc_lo
	v_and_b32_e32 v8, 0xfc, v8
	v_and_b32_e32 v9, 3, v5
	v_or_b32_e32 v4, v4, v5
	v_or3_b32 v1, v1, v8, v9
	v_cmp_ne_u32_e32 vcc_lo, 0, v4
	v_lshlrev_b32_e32 v1, 8, v1
	v_cndmask_b32_e32 v74, 0, v1, vcc_lo
.LBB4_6201:                             ;   in Loop: Header=BB4_6082 Depth=3
	s_or_b32 exec_lo, exec_lo, s23
.LBB4_6202:                             ;   in Loop: Header=BB4_6082 Depth=3
	s_or_b32 exec_lo, exec_lo, s22
	v_cmp_gt_i16_sdwa s22, v10, v100 src0_sel:BYTE_0 src1_sel:DWORD
	s_mov_b32 s17, 0
	s_and_saveexec_b32 s23, s22
	s_xor_b32 s22, exec_lo, s23
	s_cbranch_execz .LBB4_6653
; %bb.6203:                             ;   in Loop: Header=BB4_6082 Depth=3
	v_cmp_eq_u16_sdwa s76, v10, v101 src0_sel:BYTE_0 src1_sel:DWORD
	s_mov_b32 s17, -1
	s_and_saveexec_b32 s23, s76
; %bb.6204:                             ;   in Loop: Header=BB4_6082 Depth=3
	s_xor_b32 s17, exec_lo, -1
; %bb.6205:                             ;   in Loop: Header=BB4_6082 Depth=3
	s_or_b32 exec_lo, exec_lo, s23
	s_and_b32 s17, s17, exec_lo
	s_or_saveexec_b32 s22, s22
	v_mov_b32_e32 v1, 0x7f800001
	s_xor_b32 exec_lo, exec_lo, s22
	s_cbranch_execnz .LBB4_6654
.LBB4_6206:                             ;   in Loop: Header=BB4_6082 Depth=3
	s_or_b32 exec_lo, exec_lo, s22
	s_and_saveexec_b32 s22, s17
	s_cbranch_execz .LBB4_6208
.LBB4_6207:                             ;   in Loop: Header=BB4_6082 Depth=3
	v_and_b32_e32 v1, 3, v10
	v_bfe_u32 v8, v10, 2, 5
	v_lshlrev_b32_e32 v9, 24, v10
	v_ffbh_u32_e32 v4, v1
	v_cmp_eq_u32_e32 vcc_lo, 0, v8
	v_min_u32_e32 v4, 32, v4
	v_subrev_nc_u32_e32 v5, 29, v4
	v_sub_nc_u32_e32 v4, 30, v4
	v_lshlrev_b32_e32 v5, v5, v10
	v_cndmask_b32_e32 v4, v8, v4, vcc_lo
	v_and_b32_e32 v5, 3, v5
	v_lshl_add_u32 v4, v4, 23, 0x37800000
	v_cndmask_b32_e32 v1, v1, v5, vcc_lo
	v_and_b32_e32 v5, 0x80000000, v9
	v_lshlrev_b32_e32 v1, 21, v1
	v_or3_b32 v1, v5, v4, v1
.LBB4_6208:                             ;   in Loop: Header=BB4_6082 Depth=3
	s_or_b32 exec_lo, exec_lo, s22
	v_mul_f32_e32 v1, s18, v1
	v_mov_b32_e32 v21, 0x80
	s_mov_b32 s22, exec_lo
	v_and_b32_e32 v4, 0x7f800000, v1
	v_cmpx_ne_u32_e32 0x7f800000, v4
	s_cbranch_execz .LBB4_6216
; %bb.6209:                             ;   in Loop: Header=BB4_6082 Depth=3
	v_mov_b32_e32 v21, 0
	s_mov_b32 s23, exec_lo
	v_cmpx_ne_u32_e32 0, v1
	s_cbranch_execz .LBB4_6215
; %bb.6210:                             ;   in Loop: Header=BB4_6082 Depth=3
	v_bfe_u32 v4, v1, 23, 8
	v_and_b32_e32 v5, 0x7fffff, v1
	v_sub_nc_u32_e32 v8, 0x70, v4
	v_cmp_gt_u32_e32 vcc_lo, 0x71, v4
	v_or_b32_e32 v9, 0x800000, v5
	v_cndmask_b32_e32 v8, 0, v8, vcc_lo
	v_cmp_eq_u32_e32 vcc_lo, 0, v4
	v_add_nc_u32_e32 v4, 0xffffff91, v4
	v_cndmask_b32_e64 v8, v8, 0x6f, vcc_lo
	v_cndmask_b32_e32 v5, v9, v5, vcc_lo
	v_cndmask_b32_e64 v4, v4, 0xffffff92, vcc_lo
	v_lshl_add_u32 v9, 0x200000, v8, -1
	v_lshrrev_b32_e32 v17, v8, v5
	v_lshlrev_b32_e64 v20, v8, 0x100000
	v_add_nc_u32_e32 v8, v8, v4
	v_and_b32_e32 v5, v9, v5
	v_bfe_u32 v18, v17, 21, 1
	v_cmp_eq_u32_e64 s17, v5, v20
	v_add_nc_u32_e32 v9, -1, v18
	v_cndmask_b32_e64 v5, 0, v9, s17
	v_lshrrev_b32_e32 v9, 23, v17
	s_mov_b32 s17, exec_lo
	v_add_nc_u32_e32 v5, v5, v17
	v_xor_b32_e32 v9, 1, v9
	v_and_b32_e32 v4, 0x1fffff, v5
	v_add_nc_u32_e32 v5, v4, v17
                                        ; implicit-def: $vgpr4
	v_cmpx_ne_u32_e64 v8, v9
	s_xor_b32 s17, exec_lo, s17
; %bb.6211:                             ;   in Loop: Header=BB4_6082 Depth=3
	v_cmp_lt_u32_e32 vcc_lo, 0xffffff, v5
	v_sub_nc_u32_e32 v4, v8, v9
	v_cndmask_b32_e64 v8, 0, 1, vcc_lo
	v_add_co_ci_u32_e64 v4, null, 0, v4, vcc_lo
	v_lshrrev_b32_e32 v5, v8, v5
; %bb.6212:                             ;   in Loop: Header=BB4_6082 Depth=3
	s_andn2_saveexec_b32 s17, s17
; %bb.6213:                             ;   in Loop: Header=BB4_6082 Depth=3
	v_bfe_u32 v4, v5, 23, 1
; %bb.6214:                             ;   in Loop: Header=BB4_6082 Depth=3
	s_or_b32 exec_lo, exec_lo, s17
	v_lshrrev_b32_e32 v5, 21, v5
	v_min_i32_e32 v8, 31, v4
	v_cmp_gt_i32_e32 vcc_lo, 32, v4
	v_and_b32_sdwa v1, v1, v101 dst_sel:DWORD dst_unused:UNUSED_PAD src0_sel:BYTE_3 src1_sel:DWORD
	v_lshlrev_b32_e32 v8, 2, v8
	v_cndmask_b32_e32 v5, 3, v5, vcc_lo
	v_and_b32_e32 v8, 0xfc, v8
	v_and_b32_e32 v9, 3, v5
	v_or_b32_e32 v4, v4, v5
	v_or3_b32 v1, v8, v1, v9
	v_cmp_ne_u32_e32 vcc_lo, 0, v4
	v_cndmask_b32_e32 v21, 0, v1, vcc_lo
.LBB4_6215:                             ;   in Loop: Header=BB4_6082 Depth=3
	s_or_b32 exec_lo, exec_lo, s23
.LBB4_6216:                             ;   in Loop: Header=BB4_6082 Depth=3
	s_or_b32 exec_lo, exec_lo, s22
	v_cmp_gt_i16_sdwa s22, v10, v100 src0_sel:BYTE_1 src1_sel:DWORD
	s_mov_b32 s17, 0
	s_and_saveexec_b32 s23, s22
	s_xor_b32 s22, exec_lo, s23
	s_cbranch_execz .LBB4_6655
; %bb.6217:                             ;   in Loop: Header=BB4_6082 Depth=3
	v_cmp_eq_u16_sdwa s76, v10, v101 src0_sel:BYTE_1 src1_sel:DWORD
	s_mov_b32 s17, -1
	s_and_saveexec_b32 s23, s76
; %bb.6218:                             ;   in Loop: Header=BB4_6082 Depth=3
	s_xor_b32 s17, exec_lo, -1
; %bb.6219:                             ;   in Loop: Header=BB4_6082 Depth=3
	s_or_b32 exec_lo, exec_lo, s23
	s_and_b32 s17, s17, exec_lo
	s_or_saveexec_b32 s22, s22
	v_mov_b32_e32 v1, 0x7f800001
	s_xor_b32 exec_lo, exec_lo, s22
	s_cbranch_execnz .LBB4_6656
.LBB4_6220:                             ;   in Loop: Header=BB4_6082 Depth=3
	s_or_b32 exec_lo, exec_lo, s22
	s_and_saveexec_b32 s22, s17
	s_cbranch_execz .LBB4_6222
.LBB4_6221:                             ;   in Loop: Header=BB4_6082 Depth=3
	v_and_b32_sdwa v1, v102, v10 dst_sel:DWORD dst_unused:UNUSED_PAD src0_sel:DWORD src1_sel:BYTE_1
	v_and_b32_e32 v4, 3, v1
	v_bfe_u32 v9, v1, 2, 5
	v_ffbh_u32_e32 v5, v4
	v_cmp_eq_u32_e32 vcc_lo, 0, v9
	v_min_u32_e32 v5, 32, v5
	v_subrev_nc_u32_e32 v8, 29, v5
	v_sub_nc_u32_e32 v5, 30, v5
	v_lshlrev_b32_e32 v1, v8, v1
	v_lshlrev_b32_sdwa v8, v103, v10 dst_sel:DWORD dst_unused:UNUSED_PAD src0_sel:DWORD src1_sel:BYTE_1
	v_cndmask_b32_e32 v5, v9, v5, vcc_lo
	v_and_b32_e32 v1, 3, v1
	v_lshl_add_u32 v5, v5, 23, 0x37800000
	v_cndmask_b32_e32 v1, v4, v1, vcc_lo
	v_and_b32_e32 v4, 0x80000000, v8
	v_lshlrev_b32_e32 v1, 21, v1
	v_or3_b32 v1, v4, v5, v1
.LBB4_6222:                             ;   in Loop: Header=BB4_6082 Depth=3
	s_or_b32 exec_lo, exec_lo, s22
	v_mul_f32_e32 v1, s18, v1
	v_mov_b32_e32 v72, 0x8000
	s_mov_b32 s22, exec_lo
	v_and_b32_e32 v4, 0x7f800000, v1
	v_cmpx_ne_u32_e32 0x7f800000, v4
	s_cbranch_execz .LBB4_6230
; %bb.6223:                             ;   in Loop: Header=BB4_6082 Depth=3
	v_mov_b32_e32 v72, 0
	s_mov_b32 s23, exec_lo
	v_cmpx_ne_u32_e32 0, v1
	s_cbranch_execz .LBB4_6229
; %bb.6224:                             ;   in Loop: Header=BB4_6082 Depth=3
	v_bfe_u32 v4, v1, 23, 8
	v_and_b32_e32 v5, 0x7fffff, v1
	v_sub_nc_u32_e32 v8, 0x70, v4
	v_cmp_gt_u32_e32 vcc_lo, 0x71, v4
	v_or_b32_e32 v9, 0x800000, v5
	v_cndmask_b32_e32 v8, 0, v8, vcc_lo
	v_cmp_eq_u32_e32 vcc_lo, 0, v4
	v_add_nc_u32_e32 v4, 0xffffff91, v4
	v_cndmask_b32_e64 v8, v8, 0x6f, vcc_lo
	v_cndmask_b32_e32 v5, v9, v5, vcc_lo
	v_cndmask_b32_e64 v4, v4, 0xffffff92, vcc_lo
	v_lshl_add_u32 v9, 0x200000, v8, -1
	v_lshrrev_b32_e32 v17, v8, v5
	v_lshlrev_b32_e64 v20, v8, 0x100000
	v_add_nc_u32_e32 v8, v8, v4
	v_and_b32_e32 v5, v9, v5
	v_bfe_u32 v18, v17, 21, 1
	v_cmp_eq_u32_e64 s17, v5, v20
	v_add_nc_u32_e32 v9, -1, v18
	v_cndmask_b32_e64 v5, 0, v9, s17
	v_lshrrev_b32_e32 v9, 23, v17
	s_mov_b32 s17, exec_lo
	v_add_nc_u32_e32 v5, v5, v17
	v_xor_b32_e32 v9, 1, v9
	v_and_b32_e32 v4, 0x1fffff, v5
	v_add_nc_u32_e32 v5, v4, v17
                                        ; implicit-def: $vgpr4
	v_cmpx_ne_u32_e64 v8, v9
	s_xor_b32 s17, exec_lo, s17
; %bb.6225:                             ;   in Loop: Header=BB4_6082 Depth=3
	v_cmp_lt_u32_e32 vcc_lo, 0xffffff, v5
	v_sub_nc_u32_e32 v4, v8, v9
	v_cndmask_b32_e64 v8, 0, 1, vcc_lo
	v_add_co_ci_u32_e64 v4, null, 0, v4, vcc_lo
	v_lshrrev_b32_e32 v5, v8, v5
; %bb.6226:                             ;   in Loop: Header=BB4_6082 Depth=3
	s_andn2_saveexec_b32 s17, s17
; %bb.6227:                             ;   in Loop: Header=BB4_6082 Depth=3
	v_bfe_u32 v4, v5, 23, 1
; %bb.6228:                             ;   in Loop: Header=BB4_6082 Depth=3
	s_or_b32 exec_lo, exec_lo, s17
	v_lshrrev_b32_e32 v5, 21, v5
	v_min_i32_e32 v8, 31, v4
	v_cmp_gt_i32_e32 vcc_lo, 32, v4
	v_and_b32_sdwa v1, v1, v101 dst_sel:DWORD dst_unused:UNUSED_PAD src0_sel:BYTE_3 src1_sel:DWORD
	v_lshlrev_b32_e32 v8, 2, v8
	v_cndmask_b32_e32 v5, 3, v5, vcc_lo
	v_and_b32_e32 v8, 0xfc, v8
	v_and_b32_e32 v9, 3, v5
	v_or_b32_e32 v4, v4, v5
	v_or3_b32 v1, v1, v8, v9
	v_cmp_ne_u32_e32 vcc_lo, 0, v4
	v_lshlrev_b32_e32 v1, 8, v1
	v_cndmask_b32_e32 v72, 0, v1, vcc_lo
.LBB4_6229:                             ;   in Loop: Header=BB4_6082 Depth=3
	s_or_b32 exec_lo, exec_lo, s23
.LBB4_6230:                             ;   in Loop: Header=BB4_6082 Depth=3
	s_or_b32 exec_lo, exec_lo, s22
	v_and_b32_sdwa v4, v10, v112 dst_sel:DWORD dst_unused:UNUSED_PAD src0_sel:WORD_1 src1_sel:DWORD
	s_mov_b32 s17, 0
	s_mov_b32 s22, exec_lo
	v_cmpx_lt_i16_e32 0x7f, v4
	s_xor_b32 s22, exec_lo, s22
	s_cbranch_execz .LBB4_6657
; %bb.6231:                             ;   in Loop: Header=BB4_6082 Depth=3
	s_mov_b32 s17, -1
	s_mov_b32 s23, exec_lo
	v_cmpx_eq_u16_e32 0x80, v4
; %bb.6232:                             ;   in Loop: Header=BB4_6082 Depth=3
	s_xor_b32 s17, exec_lo, -1
; %bb.6233:                             ;   in Loop: Header=BB4_6082 Depth=3
	s_or_b32 exec_lo, exec_lo, s23
	s_and_b32 s17, s17, exec_lo
                                        ; implicit-def: $vgpr4
	s_or_saveexec_b32 s22, s22
	v_mov_b32_e32 v1, 0x7f800001
	s_xor_b32 exec_lo, exec_lo, s22
	s_cbranch_execnz .LBB4_6658
.LBB4_6234:                             ;   in Loop: Header=BB4_6082 Depth=3
	s_or_b32 exec_lo, exec_lo, s22
	s_and_saveexec_b32 s22, s17
	s_cbranch_execz .LBB4_6236
.LBB4_6235:                             ;   in Loop: Header=BB4_6082 Depth=3
	v_bfe_u32 v1, v10, 16, 2
	v_bfe_u32 v8, v10, 18, 5
	v_lshlrev_b32_e32 v9, 8, v10
	v_ffbh_u32_e32 v4, v1
	v_cmp_eq_u32_e32 vcc_lo, 0, v8
	v_min_u32_e32 v4, 32, v4
	v_subrev_nc_u32_e32 v5, 29, v4
	v_sub_nc_u32_e32 v4, 30, v4
	v_lshlrev_b32_sdwa v5, v5, v10 dst_sel:DWORD dst_unused:UNUSED_PAD src0_sel:DWORD src1_sel:WORD_1
	v_cndmask_b32_e32 v4, v8, v4, vcc_lo
	v_and_b32_e32 v5, 3, v5
	v_lshl_add_u32 v4, v4, 23, 0x37800000
	v_cndmask_b32_e32 v1, v1, v5, vcc_lo
	v_and_b32_e32 v5, 0x80000000, v9
	v_lshlrev_b32_e32 v1, 21, v1
	v_or3_b32 v1, v5, v4, v1
.LBB4_6236:                             ;   in Loop: Header=BB4_6082 Depth=3
	s_or_b32 exec_lo, exec_lo, s22
	v_mul_f32_e32 v1, s18, v1
	v_and_b32_e32 v4, 0x7f800000, v1
	v_cmp_ne_u32_e32 vcc_lo, 0x7f800000, v4
	v_mov_b32_e32 v4, 0x80
	s_and_saveexec_b32 s22, vcc_lo
	s_cbranch_execz .LBB4_6244
; %bb.6237:                             ;   in Loop: Header=BB4_6082 Depth=3
	v_mov_b32_e32 v4, 0
	s_mov_b32 s23, exec_lo
	v_cmpx_ne_u32_e32 0, v1
	s_cbranch_execz .LBB4_6243
; %bb.6238:                             ;   in Loop: Header=BB4_6082 Depth=3
	v_bfe_u32 v4, v1, 23, 8
	v_and_b32_e32 v5, 0x7fffff, v1
	v_sub_nc_u32_e32 v8, 0x70, v4
	v_cmp_gt_u32_e32 vcc_lo, 0x71, v4
	v_or_b32_e32 v9, 0x800000, v5
	v_cndmask_b32_e32 v8, 0, v8, vcc_lo
	v_cmp_eq_u32_e32 vcc_lo, 0, v4
	v_add_nc_u32_e32 v4, 0xffffff91, v4
	v_cndmask_b32_e64 v8, v8, 0x6f, vcc_lo
	v_cndmask_b32_e32 v5, v9, v5, vcc_lo
	v_cndmask_b32_e64 v4, v4, 0xffffff92, vcc_lo
	v_lshl_add_u32 v9, 0x200000, v8, -1
	v_lshrrev_b32_e32 v17, v8, v5
	v_lshlrev_b32_e64 v20, v8, 0x100000
	v_add_nc_u32_e32 v8, v8, v4
	v_and_b32_e32 v5, v9, v5
	v_bfe_u32 v18, v17, 21, 1
	v_cmp_eq_u32_e64 s17, v5, v20
	v_add_nc_u32_e32 v9, -1, v18
	v_cndmask_b32_e64 v5, 0, v9, s17
	v_lshrrev_b32_e32 v9, 23, v17
	s_mov_b32 s17, exec_lo
	v_add_nc_u32_e32 v5, v5, v17
	v_xor_b32_e32 v9, 1, v9
	v_and_b32_e32 v4, 0x1fffff, v5
	v_add_nc_u32_e32 v5, v4, v17
                                        ; implicit-def: $vgpr4
	v_cmpx_ne_u32_e64 v8, v9
	s_xor_b32 s17, exec_lo, s17
; %bb.6239:                             ;   in Loop: Header=BB4_6082 Depth=3
	v_cmp_lt_u32_e32 vcc_lo, 0xffffff, v5
	v_sub_nc_u32_e32 v4, v8, v9
	v_cndmask_b32_e64 v8, 0, 1, vcc_lo
	v_add_co_ci_u32_e64 v4, null, 0, v4, vcc_lo
	v_lshrrev_b32_e32 v5, v8, v5
; %bb.6240:                             ;   in Loop: Header=BB4_6082 Depth=3
	s_andn2_saveexec_b32 s17, s17
; %bb.6241:                             ;   in Loop: Header=BB4_6082 Depth=3
	v_bfe_u32 v4, v5, 23, 1
; %bb.6242:                             ;   in Loop: Header=BB4_6082 Depth=3
	s_or_b32 exec_lo, exec_lo, s17
	v_lshrrev_b32_e32 v5, 21, v5
	v_min_i32_e32 v8, 31, v4
	v_cmp_gt_i32_e32 vcc_lo, 32, v4
	v_and_b32_sdwa v1, v1, v101 dst_sel:DWORD dst_unused:UNUSED_PAD src0_sel:BYTE_3 src1_sel:DWORD
	v_lshlrev_b32_e32 v8, 2, v8
	v_cndmask_b32_e32 v5, 3, v5, vcc_lo
	v_and_b32_e32 v8, 0xfc, v8
	v_and_b32_e32 v9, 3, v5
	v_or_b32_e32 v4, v4, v5
	v_or3_b32 v1, v8, v1, v9
	v_cmp_ne_u32_e32 vcc_lo, 0, v4
	v_cndmask_b32_e32 v4, 0, v1, vcc_lo
.LBB4_6243:                             ;   in Loop: Header=BB4_6082 Depth=3
	s_or_b32 exec_lo, exec_lo, s23
.LBB4_6244:                             ;   in Loop: Header=BB4_6082 Depth=3
	s_or_b32 exec_lo, exec_lo, s22
	v_cmp_gt_i16_sdwa s22, v10, v100 src0_sel:BYTE_3 src1_sel:DWORD
	s_mov_b32 s17, 0
	s_and_saveexec_b32 s23, s22
	s_xor_b32 s22, exec_lo, s23
	s_cbranch_execz .LBB4_6659
; %bb.6245:                             ;   in Loop: Header=BB4_6082 Depth=3
	v_cmp_eq_u16_sdwa s76, v10, v101 src0_sel:BYTE_3 src1_sel:DWORD
	s_mov_b32 s17, -1
	s_and_saveexec_b32 s23, s76
; %bb.6246:                             ;   in Loop: Header=BB4_6082 Depth=3
	s_xor_b32 s17, exec_lo, -1
; %bb.6247:                             ;   in Loop: Header=BB4_6082 Depth=3
	s_or_b32 exec_lo, exec_lo, s23
	s_and_b32 s17, s17, exec_lo
	s_or_saveexec_b32 s22, s22
	v_mov_b32_e32 v1, 0x7f800001
	s_xor_b32 exec_lo, exec_lo, s22
	s_cbranch_execnz .LBB4_6660
.LBB4_6248:                             ;   in Loop: Header=BB4_6082 Depth=3
	s_or_b32 exec_lo, exec_lo, s22
	s_and_saveexec_b32 s22, s17
	s_cbranch_execz .LBB4_6250
.LBB4_6249:                             ;   in Loop: Header=BB4_6082 Depth=3
	v_bfe_u32 v1, v10, 24, 2
	v_bfe_u32 v9, v10, 26, 5
	v_ffbh_u32_e32 v5, v1
	v_cmp_eq_u32_e32 vcc_lo, 0, v9
	v_min_u32_e32 v5, 32, v5
	v_subrev_nc_u32_e32 v8, 29, v5
	v_sub_nc_u32_e32 v5, 30, v5
	v_lshlrev_b32_sdwa v8, v8, v10 dst_sel:DWORD dst_unused:UNUSED_PAD src0_sel:DWORD src1_sel:BYTE_3
	v_cndmask_b32_e32 v5, v9, v5, vcc_lo
	v_and_b32_e32 v8, 3, v8
	v_lshl_add_u32 v5, v5, 23, 0x37800000
	v_cndmask_b32_e32 v1, v1, v8, vcc_lo
	v_and_b32_e32 v8, 0x80000000, v10
	v_lshlrev_b32_e32 v1, 21, v1
	v_or3_b32 v1, v8, v5, v1
.LBB4_6250:                             ;   in Loop: Header=BB4_6082 Depth=3
	s_or_b32 exec_lo, exec_lo, s22
	v_mul_f32_e32 v1, s18, v1
	v_mov_b32_e32 v36, 0x8000
	s_mov_b32 s22, exec_lo
	v_and_b32_e32 v5, 0x7f800000, v1
	v_cmpx_ne_u32_e32 0x7f800000, v5
	s_cbranch_execz .LBB4_6258
; %bb.6251:                             ;   in Loop: Header=BB4_6082 Depth=3
	v_mov_b32_e32 v36, 0
	s_mov_b32 s23, exec_lo
	v_cmpx_ne_u32_e32 0, v1
	s_cbranch_execz .LBB4_6257
; %bb.6252:                             ;   in Loop: Header=BB4_6082 Depth=3
	v_bfe_u32 v5, v1, 23, 8
	v_and_b32_e32 v8, 0x7fffff, v1
	v_sub_nc_u32_e32 v9, 0x70, v5
	v_cmp_gt_u32_e32 vcc_lo, 0x71, v5
	v_or_b32_e32 v10, 0x800000, v8
	v_cndmask_b32_e32 v9, 0, v9, vcc_lo
	v_cmp_eq_u32_e32 vcc_lo, 0, v5
	v_add_nc_u32_e32 v5, 0xffffff91, v5
	v_cndmask_b32_e64 v9, v9, 0x6f, vcc_lo
	v_cndmask_b32_e32 v8, v10, v8, vcc_lo
	v_cndmask_b32_e64 v5, v5, 0xffffff92, vcc_lo
	v_lshl_add_u32 v10, 0x200000, v9, -1
	v_lshrrev_b32_e32 v17, v9, v8
	v_lshlrev_b32_e64 v20, v9, 0x100000
	v_add_nc_u32_e32 v9, v9, v5
	v_and_b32_e32 v8, v10, v8
	v_bfe_u32 v18, v17, 21, 1
	v_cmp_eq_u32_e64 s17, v8, v20
	v_add_nc_u32_e32 v10, -1, v18
	v_cndmask_b32_e64 v8, 0, v10, s17
	v_lshrrev_b32_e32 v10, 23, v17
	s_mov_b32 s17, exec_lo
	v_add_nc_u32_e32 v8, v8, v17
	v_xor_b32_e32 v10, 1, v10
	v_and_b32_e32 v5, 0x1fffff, v8
	v_add_nc_u32_e32 v8, v5, v17
                                        ; implicit-def: $vgpr5
	v_cmpx_ne_u32_e64 v9, v10
	s_xor_b32 s17, exec_lo, s17
; %bb.6253:                             ;   in Loop: Header=BB4_6082 Depth=3
	v_cmp_lt_u32_e32 vcc_lo, 0xffffff, v8
	v_sub_nc_u32_e32 v5, v9, v10
	v_cndmask_b32_e64 v9, 0, 1, vcc_lo
	v_add_co_ci_u32_e64 v5, null, 0, v5, vcc_lo
	v_lshrrev_b32_e32 v8, v9, v8
; %bb.6254:                             ;   in Loop: Header=BB4_6082 Depth=3
	s_andn2_saveexec_b32 s17, s17
; %bb.6255:                             ;   in Loop: Header=BB4_6082 Depth=3
	v_bfe_u32 v5, v8, 23, 1
; %bb.6256:                             ;   in Loop: Header=BB4_6082 Depth=3
	s_or_b32 exec_lo, exec_lo, s17
	v_lshrrev_b32_e32 v8, 21, v8
	v_min_i32_e32 v9, 31, v5
	v_cmp_gt_i32_e32 vcc_lo, 32, v5
	v_and_b32_sdwa v1, v1, v101 dst_sel:DWORD dst_unused:UNUSED_PAD src0_sel:BYTE_3 src1_sel:DWORD
	v_lshlrev_b32_e32 v9, 2, v9
	v_cndmask_b32_e32 v8, 3, v8, vcc_lo
	v_and_b32_e32 v9, 0xfc, v9
	v_and_b32_e32 v10, 3, v8
	v_or_b32_e32 v5, v5, v8
	v_or3_b32 v1, v1, v9, v10
	v_cmp_ne_u32_e32 vcc_lo, 0, v5
	v_lshlrev_b32_e32 v1, 8, v1
	v_cndmask_b32_e32 v36, 0, v1, vcc_lo
.LBB4_6257:                             ;   in Loop: Header=BB4_6082 Depth=3
	s_or_b32 exec_lo, exec_lo, s23
.LBB4_6258:                             ;   in Loop: Header=BB4_6082 Depth=3
	s_or_b32 exec_lo, exec_lo, s22
	v_cmp_gt_i16_sdwa s22, v11, v100 src0_sel:BYTE_0 src1_sel:DWORD
	s_mov_b32 s17, 0
	s_and_saveexec_b32 s23, s22
	s_xor_b32 s22, exec_lo, s23
	s_cbranch_execz .LBB4_6661
; %bb.6259:                             ;   in Loop: Header=BB4_6082 Depth=3
	v_cmp_eq_u16_sdwa s76, v11, v101 src0_sel:BYTE_0 src1_sel:DWORD
	s_mov_b32 s17, -1
	s_and_saveexec_b32 s23, s76
; %bb.6260:                             ;   in Loop: Header=BB4_6082 Depth=3
	s_xor_b32 s17, exec_lo, -1
; %bb.6261:                             ;   in Loop: Header=BB4_6082 Depth=3
	s_or_b32 exec_lo, exec_lo, s23
	s_and_b32 s17, s17, exec_lo
	s_or_saveexec_b32 s22, s22
	v_mov_b32_e32 v1, 0x7f800001
	s_xor_b32 exec_lo, exec_lo, s22
	s_cbranch_execnz .LBB4_6662
.LBB4_6262:                             ;   in Loop: Header=BB4_6082 Depth=3
	s_or_b32 exec_lo, exec_lo, s22
	s_and_saveexec_b32 s22, s17
	s_cbranch_execz .LBB4_6264
.LBB4_6263:                             ;   in Loop: Header=BB4_6082 Depth=3
	v_and_b32_e32 v1, 3, v11
	v_bfe_u32 v9, v11, 2, 5
	v_lshlrev_b32_e32 v10, 24, v11
	v_ffbh_u32_e32 v5, v1
	v_cmp_eq_u32_e32 vcc_lo, 0, v9
	v_min_u32_e32 v5, 32, v5
	v_subrev_nc_u32_e32 v8, 29, v5
	v_sub_nc_u32_e32 v5, 30, v5
	v_lshlrev_b32_e32 v8, v8, v11
	v_cndmask_b32_e32 v5, v9, v5, vcc_lo
	v_and_b32_e32 v8, 3, v8
	v_lshl_add_u32 v5, v5, 23, 0x37800000
	v_cndmask_b32_e32 v1, v1, v8, vcc_lo
	v_and_b32_e32 v8, 0x80000000, v10
	v_lshlrev_b32_e32 v1, 21, v1
	v_or3_b32 v1, v8, v5, v1
.LBB4_6264:                             ;   in Loop: Header=BB4_6082 Depth=3
	s_or_b32 exec_lo, exec_lo, s22
	v_mul_f32_e32 v1, s18, v1
	v_mov_b32_e32 v18, 0x80
	s_mov_b32 s22, exec_lo
	v_and_b32_e32 v5, 0x7f800000, v1
	v_cmpx_ne_u32_e32 0x7f800000, v5
	s_cbranch_execz .LBB4_6272
; %bb.6265:                             ;   in Loop: Header=BB4_6082 Depth=3
	v_mov_b32_e32 v18, 0
	s_mov_b32 s23, exec_lo
	v_cmpx_ne_u32_e32 0, v1
	s_cbranch_execz .LBB4_6271
; %bb.6266:                             ;   in Loop: Header=BB4_6082 Depth=3
	v_bfe_u32 v5, v1, 23, 8
	v_and_b32_e32 v8, 0x7fffff, v1
	v_sub_nc_u32_e32 v9, 0x70, v5
	v_cmp_gt_u32_e32 vcc_lo, 0x71, v5
	v_or_b32_e32 v10, 0x800000, v8
	v_cndmask_b32_e32 v9, 0, v9, vcc_lo
	v_cmp_eq_u32_e32 vcc_lo, 0, v5
	v_add_nc_u32_e32 v5, 0xffffff91, v5
	v_cndmask_b32_e64 v9, v9, 0x6f, vcc_lo
	v_cndmask_b32_e32 v8, v10, v8, vcc_lo
	v_cndmask_b32_e64 v5, v5, 0xffffff92, vcc_lo
	v_lshl_add_u32 v10, 0x200000, v9, -1
	v_lshrrev_b32_e32 v17, v9, v8
	v_lshlrev_b32_e64 v20, v9, 0x100000
	v_add_nc_u32_e32 v9, v9, v5
	v_and_b32_e32 v8, v10, v8
	v_bfe_u32 v18, v17, 21, 1
	v_cmp_eq_u32_e64 s17, v8, v20
	v_add_nc_u32_e32 v10, -1, v18
	v_cndmask_b32_e64 v8, 0, v10, s17
	v_lshrrev_b32_e32 v10, 23, v17
	s_mov_b32 s17, exec_lo
	v_add_nc_u32_e32 v8, v8, v17
	v_xor_b32_e32 v10, 1, v10
	v_and_b32_e32 v5, 0x1fffff, v8
	v_add_nc_u32_e32 v8, v5, v17
                                        ; implicit-def: $vgpr5
	v_cmpx_ne_u32_e64 v9, v10
	s_xor_b32 s17, exec_lo, s17
; %bb.6267:                             ;   in Loop: Header=BB4_6082 Depth=3
	v_cmp_lt_u32_e32 vcc_lo, 0xffffff, v8
	v_sub_nc_u32_e32 v5, v9, v10
	v_cndmask_b32_e64 v9, 0, 1, vcc_lo
	v_add_co_ci_u32_e64 v5, null, 0, v5, vcc_lo
	v_lshrrev_b32_e32 v8, v9, v8
; %bb.6268:                             ;   in Loop: Header=BB4_6082 Depth=3
	s_andn2_saveexec_b32 s17, s17
; %bb.6269:                             ;   in Loop: Header=BB4_6082 Depth=3
	v_bfe_u32 v5, v8, 23, 1
; %bb.6270:                             ;   in Loop: Header=BB4_6082 Depth=3
	s_or_b32 exec_lo, exec_lo, s17
	v_lshrrev_b32_e32 v8, 21, v8
	v_min_i32_e32 v9, 31, v5
	v_cmp_gt_i32_e32 vcc_lo, 32, v5
	v_and_b32_sdwa v1, v1, v101 dst_sel:DWORD dst_unused:UNUSED_PAD src0_sel:BYTE_3 src1_sel:DWORD
	v_lshlrev_b32_e32 v9, 2, v9
	v_cndmask_b32_e32 v8, 3, v8, vcc_lo
	v_and_b32_e32 v9, 0xfc, v9
	v_and_b32_e32 v10, 3, v8
	v_or_b32_e32 v5, v5, v8
	v_or3_b32 v1, v9, v1, v10
	v_cmp_ne_u32_e32 vcc_lo, 0, v5
	v_cndmask_b32_e32 v18, 0, v1, vcc_lo
.LBB4_6271:                             ;   in Loop: Header=BB4_6082 Depth=3
	s_or_b32 exec_lo, exec_lo, s23
.LBB4_6272:                             ;   in Loop: Header=BB4_6082 Depth=3
	s_or_b32 exec_lo, exec_lo, s22
	v_cmp_gt_i16_sdwa s22, v11, v100 src0_sel:BYTE_1 src1_sel:DWORD
	s_mov_b32 s17, 0
	s_and_saveexec_b32 s23, s22
	s_xor_b32 s22, exec_lo, s23
	s_cbranch_execz .LBB4_6663
; %bb.6273:                             ;   in Loop: Header=BB4_6082 Depth=3
	v_cmp_eq_u16_sdwa s76, v11, v101 src0_sel:BYTE_1 src1_sel:DWORD
	s_mov_b32 s17, -1
	s_and_saveexec_b32 s23, s76
; %bb.6274:                             ;   in Loop: Header=BB4_6082 Depth=3
	s_xor_b32 s17, exec_lo, -1
; %bb.6275:                             ;   in Loop: Header=BB4_6082 Depth=3
	s_or_b32 exec_lo, exec_lo, s23
	s_and_b32 s17, s17, exec_lo
	s_or_saveexec_b32 s22, s22
	v_mov_b32_e32 v1, 0x7f800001
	s_xor_b32 exec_lo, exec_lo, s22
	s_cbranch_execnz .LBB4_6664
.LBB4_6276:                             ;   in Loop: Header=BB4_6082 Depth=3
	s_or_b32 exec_lo, exec_lo, s22
	s_and_saveexec_b32 s22, s17
	s_cbranch_execz .LBB4_6278
.LBB4_6277:                             ;   in Loop: Header=BB4_6082 Depth=3
	v_and_b32_sdwa v1, v102, v11 dst_sel:DWORD dst_unused:UNUSED_PAD src0_sel:DWORD src1_sel:BYTE_1
	v_and_b32_e32 v5, 3, v1
	v_bfe_u32 v10, v1, 2, 5
	v_ffbh_u32_e32 v8, v5
	v_cmp_eq_u32_e32 vcc_lo, 0, v10
	v_min_u32_e32 v8, 32, v8
	v_subrev_nc_u32_e32 v9, 29, v8
	v_sub_nc_u32_e32 v8, 30, v8
	v_lshlrev_b32_e32 v1, v9, v1
	v_lshlrev_b32_sdwa v9, v103, v11 dst_sel:DWORD dst_unused:UNUSED_PAD src0_sel:DWORD src1_sel:BYTE_1
	v_cndmask_b32_e32 v8, v10, v8, vcc_lo
	v_and_b32_e32 v1, 3, v1
	v_lshl_add_u32 v8, v8, 23, 0x37800000
	v_cndmask_b32_e32 v1, v5, v1, vcc_lo
	v_and_b32_e32 v5, 0x80000000, v9
	v_lshlrev_b32_e32 v1, 21, v1
	v_or3_b32 v1, v5, v8, v1
.LBB4_6278:                             ;   in Loop: Header=BB4_6082 Depth=3
	s_or_b32 exec_lo, exec_lo, s22
	v_mul_f32_e32 v1, s18, v1
	v_and_b32_e32 v5, 0x7f800000, v1
	v_cmp_ne_u32_e32 vcc_lo, 0x7f800000, v5
	v_mov_b32_e32 v5, 0x8000
	s_and_saveexec_b32 s22, vcc_lo
	s_cbranch_execz .LBB4_6286
; %bb.6279:                             ;   in Loop: Header=BB4_6082 Depth=3
	v_mov_b32_e32 v5, 0
	s_mov_b32 s23, exec_lo
	v_cmpx_ne_u32_e32 0, v1
	s_cbranch_execz .LBB4_6285
; %bb.6280:                             ;   in Loop: Header=BB4_6082 Depth=3
	v_bfe_u32 v5, v1, 23, 8
	v_and_b32_e32 v8, 0x7fffff, v1
	v_sub_nc_u32_e32 v9, 0x70, v5
	v_cmp_gt_u32_e32 vcc_lo, 0x71, v5
	v_or_b32_e32 v10, 0x800000, v8
	v_cndmask_b32_e32 v9, 0, v9, vcc_lo
	v_cmp_eq_u32_e32 vcc_lo, 0, v5
	v_add_nc_u32_e32 v5, 0xffffff91, v5
	v_cndmask_b32_e64 v9, v9, 0x6f, vcc_lo
	v_cndmask_b32_e32 v8, v10, v8, vcc_lo
	v_cndmask_b32_e64 v5, v5, 0xffffff92, vcc_lo
	v_lshl_add_u32 v10, 0x200000, v9, -1
	v_lshrrev_b32_e32 v17, v9, v8
	v_lshlrev_b32_e64 v31, v9, 0x100000
	v_add_nc_u32_e32 v9, v9, v5
	v_and_b32_e32 v8, v10, v8
	v_bfe_u32 v20, v17, 21, 1
	v_cmp_eq_u32_e64 s17, v8, v31
	v_add_nc_u32_e32 v10, -1, v20
	v_cndmask_b32_e64 v8, 0, v10, s17
	v_lshrrev_b32_e32 v10, 23, v17
	s_mov_b32 s17, exec_lo
	v_add_nc_u32_e32 v8, v8, v17
	v_xor_b32_e32 v10, 1, v10
	v_and_b32_e32 v5, 0x1fffff, v8
	v_add_nc_u32_e32 v8, v5, v17
                                        ; implicit-def: $vgpr5
	v_cmpx_ne_u32_e64 v9, v10
	s_xor_b32 s17, exec_lo, s17
; %bb.6281:                             ;   in Loop: Header=BB4_6082 Depth=3
	v_cmp_lt_u32_e32 vcc_lo, 0xffffff, v8
	v_sub_nc_u32_e32 v5, v9, v10
	v_cndmask_b32_e64 v9, 0, 1, vcc_lo
	v_add_co_ci_u32_e64 v5, null, 0, v5, vcc_lo
	v_lshrrev_b32_e32 v8, v9, v8
; %bb.6282:                             ;   in Loop: Header=BB4_6082 Depth=3
	s_andn2_saveexec_b32 s17, s17
; %bb.6283:                             ;   in Loop: Header=BB4_6082 Depth=3
	v_bfe_u32 v5, v8, 23, 1
; %bb.6284:                             ;   in Loop: Header=BB4_6082 Depth=3
	s_or_b32 exec_lo, exec_lo, s17
	v_lshrrev_b32_e32 v8, 21, v8
	v_min_i32_e32 v9, 31, v5
	v_cmp_gt_i32_e32 vcc_lo, 32, v5
	v_and_b32_sdwa v1, v1, v101 dst_sel:DWORD dst_unused:UNUSED_PAD src0_sel:BYTE_3 src1_sel:DWORD
	v_lshlrev_b32_e32 v9, 2, v9
	v_cndmask_b32_e32 v8, 3, v8, vcc_lo
	v_and_b32_e32 v9, 0xfc, v9
	v_and_b32_e32 v10, 3, v8
	v_or_b32_e32 v5, v5, v8
	v_or3_b32 v1, v1, v9, v10
	v_cmp_ne_u32_e32 vcc_lo, 0, v5
	v_lshlrev_b32_e32 v1, 8, v1
	v_cndmask_b32_e32 v5, 0, v1, vcc_lo
.LBB4_6285:                             ;   in Loop: Header=BB4_6082 Depth=3
	s_or_b32 exec_lo, exec_lo, s23
.LBB4_6286:                             ;   in Loop: Header=BB4_6082 Depth=3
	s_or_b32 exec_lo, exec_lo, s22
	v_and_b32_sdwa v8, v11, v112 dst_sel:DWORD dst_unused:UNUSED_PAD src0_sel:WORD_1 src1_sel:DWORD
	s_mov_b32 s17, 0
	s_mov_b32 s22, exec_lo
	v_cmpx_lt_i16_e32 0x7f, v8
	s_xor_b32 s22, exec_lo, s22
	s_cbranch_execz .LBB4_6665
; %bb.6287:                             ;   in Loop: Header=BB4_6082 Depth=3
	s_mov_b32 s17, -1
	s_mov_b32 s23, exec_lo
	v_cmpx_eq_u16_e32 0x80, v8
; %bb.6288:                             ;   in Loop: Header=BB4_6082 Depth=3
	s_xor_b32 s17, exec_lo, -1
; %bb.6289:                             ;   in Loop: Header=BB4_6082 Depth=3
	s_or_b32 exec_lo, exec_lo, s23
	s_and_b32 s17, s17, exec_lo
                                        ; implicit-def: $vgpr8
	s_or_saveexec_b32 s22, s22
	v_mov_b32_e32 v1, 0x7f800001
	s_xor_b32 exec_lo, exec_lo, s22
	s_cbranch_execnz .LBB4_6666
.LBB4_6290:                             ;   in Loop: Header=BB4_6082 Depth=3
	s_or_b32 exec_lo, exec_lo, s22
	s_and_saveexec_b32 s22, s17
	s_cbranch_execz .LBB4_6292
.LBB4_6291:                             ;   in Loop: Header=BB4_6082 Depth=3
	v_bfe_u32 v1, v11, 16, 2
	v_bfe_u32 v10, v11, 18, 5
	v_lshlrev_b32_e32 v17, 8, v11
	v_ffbh_u32_e32 v8, v1
	v_cmp_eq_u32_e32 vcc_lo, 0, v10
	v_min_u32_e32 v8, 32, v8
	v_subrev_nc_u32_e32 v9, 29, v8
	v_sub_nc_u32_e32 v8, 30, v8
	v_lshlrev_b32_sdwa v9, v9, v11 dst_sel:DWORD dst_unused:UNUSED_PAD src0_sel:DWORD src1_sel:WORD_1
	v_cndmask_b32_e32 v8, v10, v8, vcc_lo
	v_and_b32_e32 v9, 3, v9
	v_lshl_add_u32 v8, v8, 23, 0x37800000
	v_cndmask_b32_e32 v1, v1, v9, vcc_lo
	v_and_b32_e32 v9, 0x80000000, v17
	v_lshlrev_b32_e32 v1, 21, v1
	v_or3_b32 v1, v9, v8, v1
.LBB4_6292:                             ;   in Loop: Header=BB4_6082 Depth=3
	s_or_b32 exec_lo, exec_lo, s22
	v_mul_f32_e32 v1, s18, v1
	v_mov_b32_e32 v17, 0x80
	s_mov_b32 s22, exec_lo
	v_and_b32_e32 v8, 0x7f800000, v1
	v_cmpx_ne_u32_e32 0x7f800000, v8
	s_cbranch_execz .LBB4_6300
; %bb.6293:                             ;   in Loop: Header=BB4_6082 Depth=3
	v_mov_b32_e32 v17, 0
	s_mov_b32 s23, exec_lo
	v_cmpx_ne_u32_e32 0, v1
	s_cbranch_execz .LBB4_6299
; %bb.6294:                             ;   in Loop: Header=BB4_6082 Depth=3
	v_bfe_u32 v8, v1, 23, 8
	v_and_b32_e32 v9, 0x7fffff, v1
	v_sub_nc_u32_e32 v10, 0x70, v8
	v_cmp_gt_u32_e32 vcc_lo, 0x71, v8
	v_or_b32_e32 v17, 0x800000, v9
	v_cndmask_b32_e32 v10, 0, v10, vcc_lo
	v_cmp_eq_u32_e32 vcc_lo, 0, v8
	v_add_nc_u32_e32 v8, 0xffffff91, v8
	v_cndmask_b32_e64 v10, v10, 0x6f, vcc_lo
	v_cndmask_b32_e32 v9, v17, v9, vcc_lo
	v_cndmask_b32_e64 v8, v8, 0xffffff92, vcc_lo
	v_lshl_add_u32 v17, 0x200000, v10, -1
	v_lshrrev_b32_e32 v20, v10, v9
	v_lshlrev_b32_e64 v35, v10, 0x100000
	v_add_nc_u32_e32 v10, v10, v8
	v_and_b32_e32 v9, v17, v9
	v_bfe_u32 v31, v20, 21, 1
	v_cmp_eq_u32_e64 s17, v9, v35
	v_add_nc_u32_e32 v17, -1, v31
	v_cndmask_b32_e64 v9, 0, v17, s17
	v_lshrrev_b32_e32 v17, 23, v20
	s_mov_b32 s17, exec_lo
	v_add_nc_u32_e32 v9, v9, v20
	v_xor_b32_e32 v17, 1, v17
	v_and_b32_e32 v8, 0x1fffff, v9
	v_add_nc_u32_e32 v9, v8, v20
                                        ; implicit-def: $vgpr8
	v_cmpx_ne_u32_e64 v10, v17
	s_xor_b32 s17, exec_lo, s17
; %bb.6295:                             ;   in Loop: Header=BB4_6082 Depth=3
	v_cmp_lt_u32_e32 vcc_lo, 0xffffff, v9
	v_sub_nc_u32_e32 v8, v10, v17
	v_cndmask_b32_e64 v10, 0, 1, vcc_lo
	v_add_co_ci_u32_e64 v8, null, 0, v8, vcc_lo
	v_lshrrev_b32_e32 v9, v10, v9
; %bb.6296:                             ;   in Loop: Header=BB4_6082 Depth=3
	s_andn2_saveexec_b32 s17, s17
; %bb.6297:                             ;   in Loop: Header=BB4_6082 Depth=3
	v_bfe_u32 v8, v9, 23, 1
; %bb.6298:                             ;   in Loop: Header=BB4_6082 Depth=3
	s_or_b32 exec_lo, exec_lo, s17
	v_lshrrev_b32_e32 v9, 21, v9
	v_min_i32_e32 v10, 31, v8
	v_cmp_gt_i32_e32 vcc_lo, 32, v8
	v_and_b32_sdwa v1, v1, v101 dst_sel:DWORD dst_unused:UNUSED_PAD src0_sel:BYTE_3 src1_sel:DWORD
	v_lshlrev_b32_e32 v10, 2, v10
	v_cndmask_b32_e32 v9, 3, v9, vcc_lo
	v_and_b32_e32 v10, 0xfc, v10
	v_and_b32_e32 v17, 3, v9
	v_or_b32_e32 v8, v8, v9
	v_or3_b32 v1, v10, v1, v17
	v_cmp_ne_u32_e32 vcc_lo, 0, v8
	v_cndmask_b32_e32 v17, 0, v1, vcc_lo
.LBB4_6299:                             ;   in Loop: Header=BB4_6082 Depth=3
	s_or_b32 exec_lo, exec_lo, s23
.LBB4_6300:                             ;   in Loop: Header=BB4_6082 Depth=3
	s_or_b32 exec_lo, exec_lo, s22
	v_cmp_gt_i16_sdwa s22, v11, v100 src0_sel:BYTE_3 src1_sel:DWORD
	s_mov_b32 s17, 0
	s_and_saveexec_b32 s23, s22
	s_xor_b32 s22, exec_lo, s23
	s_cbranch_execz .LBB4_6667
; %bb.6301:                             ;   in Loop: Header=BB4_6082 Depth=3
	v_cmp_eq_u16_sdwa s76, v11, v101 src0_sel:BYTE_3 src1_sel:DWORD
	s_mov_b32 s17, -1
	s_and_saveexec_b32 s23, s76
; %bb.6302:                             ;   in Loop: Header=BB4_6082 Depth=3
	s_xor_b32 s17, exec_lo, -1
; %bb.6303:                             ;   in Loop: Header=BB4_6082 Depth=3
	s_or_b32 exec_lo, exec_lo, s23
	s_and_b32 s17, s17, exec_lo
	s_or_saveexec_b32 s22, s22
	v_mov_b32_e32 v1, 0x7f800001
	s_xor_b32 exec_lo, exec_lo, s22
	s_cbranch_execnz .LBB4_6668
.LBB4_6304:                             ;   in Loop: Header=BB4_6082 Depth=3
	s_or_b32 exec_lo, exec_lo, s22
	s_and_saveexec_b32 s22, s17
	s_cbranch_execz .LBB4_6306
.LBB4_6305:                             ;   in Loop: Header=BB4_6082 Depth=3
	v_bfe_u32 v1, v11, 24, 2
	v_bfe_u32 v10, v11, 26, 5
	v_ffbh_u32_e32 v8, v1
	v_cmp_eq_u32_e32 vcc_lo, 0, v10
	v_min_u32_e32 v8, 32, v8
	v_subrev_nc_u32_e32 v9, 29, v8
	v_sub_nc_u32_e32 v8, 30, v8
	v_lshlrev_b32_sdwa v9, v9, v11 dst_sel:DWORD dst_unused:UNUSED_PAD src0_sel:DWORD src1_sel:BYTE_3
	v_cndmask_b32_e32 v8, v10, v8, vcc_lo
	v_and_b32_e32 v9, 3, v9
	v_lshl_add_u32 v8, v8, 23, 0x37800000
	v_cndmask_b32_e32 v1, v1, v9, vcc_lo
	v_and_b32_e32 v9, 0x80000000, v11
	v_lshlrev_b32_e32 v1, 21, v1
	v_or3_b32 v1, v9, v8, v1
.LBB4_6306:                             ;   in Loop: Header=BB4_6082 Depth=3
	s_or_b32 exec_lo, exec_lo, s22
	v_mul_f32_e32 v1, s18, v1
	v_mov_b32_e32 v20, 0x8000
	s_mov_b32 s18, exec_lo
	v_and_b32_e32 v8, 0x7f800000, v1
	v_cmpx_ne_u32_e32 0x7f800000, v8
	s_cbranch_execz .LBB4_6314
; %bb.6307:                             ;   in Loop: Header=BB4_6082 Depth=3
	v_mov_b32_e32 v20, 0
	s_mov_b32 s22, exec_lo
	v_cmpx_ne_u32_e32 0, v1
	s_cbranch_execz .LBB4_6313
; %bb.6308:                             ;   in Loop: Header=BB4_6082 Depth=3
	v_bfe_u32 v8, v1, 23, 8
	v_and_b32_e32 v9, 0x7fffff, v1
	v_sub_nc_u32_e32 v10, 0x70, v8
	v_cmp_gt_u32_e32 vcc_lo, 0x71, v8
	v_or_b32_e32 v11, 0x800000, v9
	v_cndmask_b32_e32 v10, 0, v10, vcc_lo
	v_cmp_eq_u32_e32 vcc_lo, 0, v8
	v_add_nc_u32_e32 v8, 0xffffff91, v8
	v_cndmask_b32_e64 v10, v10, 0x6f, vcc_lo
	v_cndmask_b32_e32 v9, v11, v9, vcc_lo
	v_cndmask_b32_e64 v8, v8, 0xffffff92, vcc_lo
	v_lshl_add_u32 v11, 0x200000, v10, -1
	v_lshrrev_b32_e32 v20, v10, v9
	v_lshlrev_b32_e64 v35, v10, 0x100000
	v_add_nc_u32_e32 v10, v10, v8
	v_and_b32_e32 v9, v11, v9
	v_bfe_u32 v31, v20, 21, 1
	v_cmp_eq_u32_e64 s17, v9, v35
	v_add_nc_u32_e32 v11, -1, v31
	v_cndmask_b32_e64 v9, 0, v11, s17
	v_lshrrev_b32_e32 v11, 23, v20
	s_mov_b32 s17, exec_lo
	v_add_nc_u32_e32 v9, v9, v20
	v_xor_b32_e32 v11, 1, v11
	v_and_b32_e32 v8, 0x1fffff, v9
	v_add_nc_u32_e32 v9, v8, v20
                                        ; implicit-def: $vgpr8
	v_cmpx_ne_u32_e64 v10, v11
	s_xor_b32 s17, exec_lo, s17
; %bb.6309:                             ;   in Loop: Header=BB4_6082 Depth=3
	v_cmp_lt_u32_e32 vcc_lo, 0xffffff, v9
	v_sub_nc_u32_e32 v8, v10, v11
	v_cndmask_b32_e64 v10, 0, 1, vcc_lo
	v_add_co_ci_u32_e64 v8, null, 0, v8, vcc_lo
	v_lshrrev_b32_e32 v9, v10, v9
; %bb.6310:                             ;   in Loop: Header=BB4_6082 Depth=3
	s_andn2_saveexec_b32 s17, s17
; %bb.6311:                             ;   in Loop: Header=BB4_6082 Depth=3
	v_bfe_u32 v8, v9, 23, 1
; %bb.6312:                             ;   in Loop: Header=BB4_6082 Depth=3
	s_or_b32 exec_lo, exec_lo, s17
	v_lshrrev_b32_e32 v9, 21, v9
	v_min_i32_e32 v10, 31, v8
	v_cmp_gt_i32_e32 vcc_lo, 32, v8
	v_and_b32_sdwa v1, v1, v101 dst_sel:DWORD dst_unused:UNUSED_PAD src0_sel:BYTE_3 src1_sel:DWORD
	v_lshlrev_b32_e32 v10, 2, v10
	v_cndmask_b32_e32 v9, 3, v9, vcc_lo
	v_and_b32_e32 v10, 0xfc, v10
	v_and_b32_e32 v11, 3, v9
	v_or_b32_e32 v8, v8, v9
	v_or3_b32 v1, v1, v10, v11
	v_cmp_ne_u32_e32 vcc_lo, 0, v8
	v_lshlrev_b32_e32 v1, 8, v1
	v_cndmask_b32_e32 v20, 0, v1, vcc_lo
.LBB4_6313:                             ;   in Loop: Header=BB4_6082 Depth=3
	s_or_b32 exec_lo, exec_lo, s22
.LBB4_6314:                             ;   in Loop: Header=BB4_6082 Depth=3
	s_or_b32 exec_lo, exec_lo, s18
	global_load_dwordx4 v[8:11], v[14:15], off slc
	v_or_b32_e32 v1, v19, v16
	s_mov_b32 s17, 0
	v_cmp_gt_i16_sdwa s18, v1, v100 src0_sel:BYTE_0 src1_sel:DWORD
	s_and_saveexec_b32 s22, s18
	s_xor_b32 s18, exec_lo, s22
	s_cbranch_execz .LBB4_6669
; %bb.6315:                             ;   in Loop: Header=BB4_6082 Depth=3
	v_cmp_eq_u16_sdwa s23, v1, v101 src0_sel:BYTE_0 src1_sel:DWORD
	s_mov_b32 s17, -1
	s_and_saveexec_b32 s22, s23
; %bb.6316:                             ;   in Loop: Header=BB4_6082 Depth=3
	s_xor_b32 s17, exec_lo, -1
; %bb.6317:                             ;   in Loop: Header=BB4_6082 Depth=3
	s_or_b32 exec_lo, exec_lo, s22
	s_and_b32 s17, s17, exec_lo
	s_or_saveexec_b32 s18, s18
	v_mov_b32_e32 v16, 0x7f800001
	s_xor_b32 exec_lo, exec_lo, s18
	s_cbranch_execnz .LBB4_6670
.LBB4_6318:                             ;   in Loop: Header=BB4_6082 Depth=3
	s_or_b32 exec_lo, exec_lo, s18
	s_and_saveexec_b32 s18, s17
	s_cbranch_execz .LBB4_6320
.LBB4_6319:                             ;   in Loop: Header=BB4_6082 Depth=3
	v_and_b32_e32 v16, 3, v1
	v_bfe_u32 v35, v1, 2, 5
	v_lshlrev_b32_e32 v50, 24, v1
	v_ffbh_u32_e32 v19, v16
	v_cmp_eq_u32_e32 vcc_lo, 0, v35
	v_min_u32_e32 v19, 32, v19
	v_subrev_nc_u32_e32 v31, 29, v19
	v_sub_nc_u32_e32 v19, 30, v19
	v_lshlrev_b32_e32 v31, v31, v1
	v_cndmask_b32_e32 v19, v35, v19, vcc_lo
	v_and_b32_e32 v31, 3, v31
	v_lshl_add_u32 v19, v19, 23, 0x37800000
	v_cndmask_b32_e32 v16, v16, v31, vcc_lo
	v_and_b32_e32 v31, 0x80000000, v50
	v_lshlrev_b32_e32 v16, 21, v16
	v_or3_b32 v16, v31, v19, v16
.LBB4_6320:                             ;   in Loop: Header=BB4_6082 Depth=3
	s_or_b32 exec_lo, exec_lo, s18
	s_waitcnt vmcnt(0)
	v_cmp_gt_i16_sdwa s18, v8, v100 src0_sel:BYTE_0 src1_sel:DWORD
	s_mov_b32 s17, 0
	s_and_saveexec_b32 s22, s18
	s_xor_b32 s18, exec_lo, s22
	s_cbranch_execz .LBB4_6671
; %bb.6321:                             ;   in Loop: Header=BB4_6082 Depth=3
	v_cmp_eq_u16_sdwa s23, v8, v101 src0_sel:BYTE_0 src1_sel:DWORD
	s_mov_b32 s17, -1
	s_and_saveexec_b32 s22, s23
; %bb.6322:                             ;   in Loop: Header=BB4_6082 Depth=3
	s_xor_b32 s17, exec_lo, -1
; %bb.6323:                             ;   in Loop: Header=BB4_6082 Depth=3
	s_or_b32 exec_lo, exec_lo, s22
	s_and_b32 s17, s17, exec_lo
	s_or_saveexec_b32 s18, s18
	v_mov_b32_e32 v19, 0x7f800001
	s_xor_b32 exec_lo, exec_lo, s18
	s_cbranch_execnz .LBB4_6672
.LBB4_6324:                             ;   in Loop: Header=BB4_6082 Depth=3
	s_or_b32 exec_lo, exec_lo, s18
	s_and_saveexec_b32 s18, s17
	s_cbranch_execz .LBB4_6326
.LBB4_6325:                             ;   in Loop: Header=BB4_6082 Depth=3
	v_and_b32_e32 v19, 3, v8
	v_bfe_u32 v50, v8, 2, 5
	v_lshlrev_b32_e32 v51, 24, v8
	v_ffbh_u32_e32 v31, v19
	v_cmp_eq_u32_e32 vcc_lo, 0, v50
	v_min_u32_e32 v31, 32, v31
	v_subrev_nc_u32_e32 v35, 29, v31
	v_sub_nc_u32_e32 v31, 30, v31
	v_lshlrev_b32_e32 v35, v35, v8
	v_cndmask_b32_e32 v31, v50, v31, vcc_lo
	v_and_b32_e32 v35, 3, v35
	v_lshl_add_u32 v31, v31, 23, 0x37800000
	v_cndmask_b32_e32 v19, v19, v35, vcc_lo
	v_and_b32_e32 v35, 0x80000000, v51
	v_lshlrev_b32_e32 v19, 21, v19
	v_or3_b32 v19, v35, v31, v19
.LBB4_6326:                             ;   in Loop: Header=BB4_6082 Depth=3
	s_or_b32 exec_lo, exec_lo, s18
	v_add_f32_e32 v19, v16, v19
	v_and_b32_e32 v16, 0x7f800000, v19
	v_cmp_ne_u32_e32 vcc_lo, 0x7f800000, v16
	v_mov_b32_e32 v16, 0x80
	s_and_saveexec_b32 s18, vcc_lo
	s_cbranch_execz .LBB4_6334
; %bb.6327:                             ;   in Loop: Header=BB4_6082 Depth=3
	v_mov_b32_e32 v16, 0
	s_mov_b32 s22, exec_lo
	v_cmpx_ne_u32_e32 0, v19
	s_cbranch_execz .LBB4_6333
; %bb.6328:                             ;   in Loop: Header=BB4_6082 Depth=3
	v_bfe_u32 v16, v19, 23, 8
	v_and_b32_e32 v31, 0x7fffff, v19
	v_sub_nc_u32_e32 v35, 0x70, v16
	v_cmp_gt_u32_e32 vcc_lo, 0x71, v16
	v_or_b32_e32 v50, 0x800000, v31
	v_cndmask_b32_e32 v35, 0, v35, vcc_lo
	v_cmp_eq_u32_e32 vcc_lo, 0, v16
	v_add_nc_u32_e32 v16, 0xffffff91, v16
	v_cndmask_b32_e64 v35, v35, 0x6f, vcc_lo
	v_cndmask_b32_e32 v31, v50, v31, vcc_lo
	v_cndmask_b32_e64 v16, v16, 0xffffff92, vcc_lo
	v_lshl_add_u32 v50, 0x200000, v35, -1
	v_lshrrev_b32_e32 v51, v35, v31
	v_lshlrev_b32_e64 v97, v35, 0x100000
	v_add_nc_u32_e32 v35, v35, v16
	v_and_b32_e32 v31, v50, v31
	v_bfe_u32 v96, v51, 21, 1
	v_cmp_eq_u32_e64 s17, v31, v97
	v_add_nc_u32_e32 v50, -1, v96
	v_cndmask_b32_e64 v31, 0, v50, s17
	v_lshrrev_b32_e32 v50, 23, v51
	s_mov_b32 s17, exec_lo
	v_add_nc_u32_e32 v31, v31, v51
	v_xor_b32_e32 v50, 1, v50
	v_and_b32_e32 v16, 0x1fffff, v31
	v_add_nc_u32_e32 v31, v16, v51
                                        ; implicit-def: $vgpr16
	v_cmpx_ne_u32_e64 v35, v50
	s_xor_b32 s17, exec_lo, s17
; %bb.6329:                             ;   in Loop: Header=BB4_6082 Depth=3
	v_cmp_lt_u32_e32 vcc_lo, 0xffffff, v31
	v_sub_nc_u32_e32 v16, v35, v50
	v_cndmask_b32_e64 v35, 0, 1, vcc_lo
	v_add_co_ci_u32_e64 v16, null, 0, v16, vcc_lo
	v_lshrrev_b32_e32 v31, v35, v31
; %bb.6330:                             ;   in Loop: Header=BB4_6082 Depth=3
	s_andn2_saveexec_b32 s17, s17
; %bb.6331:                             ;   in Loop: Header=BB4_6082 Depth=3
	v_bfe_u32 v16, v31, 23, 1
; %bb.6332:                             ;   in Loop: Header=BB4_6082 Depth=3
	s_or_b32 exec_lo, exec_lo, s17
	v_lshrrev_b32_e32 v31, 21, v31
	v_min_i32_e32 v35, 31, v16
	v_cmp_gt_i32_e32 vcc_lo, 32, v16
	v_and_b32_sdwa v19, v19, v101 dst_sel:DWORD dst_unused:UNUSED_PAD src0_sel:BYTE_3 src1_sel:DWORD
	v_lshlrev_b32_e32 v35, 2, v35
	v_cndmask_b32_e32 v31, 3, v31, vcc_lo
	v_and_b32_e32 v35, 0xfc, v35
	v_and_b32_e32 v50, 3, v31
	v_or_b32_e32 v16, v16, v31
	v_or3_b32 v19, v35, v19, v50
	v_cmp_ne_u32_e32 vcc_lo, 0, v16
	v_cndmask_b32_e32 v16, 0, v19, vcc_lo
.LBB4_6333:                             ;   in Loop: Header=BB4_6082 Depth=3
	s_or_b32 exec_lo, exec_lo, s22
.LBB4_6334:                             ;   in Loop: Header=BB4_6082 Depth=3
	s_or_b32 exec_lo, exec_lo, s18
	v_cmp_gt_i16_sdwa s18, v1, v100 src0_sel:BYTE_1 src1_sel:DWORD
	s_mov_b32 s17, 0
	s_and_saveexec_b32 s22, s18
	s_xor_b32 s18, exec_lo, s22
	s_cbranch_execz .LBB4_6673
; %bb.6335:                             ;   in Loop: Header=BB4_6082 Depth=3
	v_cmp_eq_u16_sdwa s23, v1, v101 src0_sel:BYTE_1 src1_sel:DWORD
	s_mov_b32 s17, -1
	s_and_saveexec_b32 s22, s23
; %bb.6336:                             ;   in Loop: Header=BB4_6082 Depth=3
	s_xor_b32 s17, exec_lo, -1
; %bb.6337:                             ;   in Loop: Header=BB4_6082 Depth=3
	s_or_b32 exec_lo, exec_lo, s22
	s_and_b32 s17, s17, exec_lo
	s_or_saveexec_b32 s18, s18
	v_mov_b32_e32 v19, 0x7f800001
	s_xor_b32 exec_lo, exec_lo, s18
	s_cbranch_execnz .LBB4_6674
.LBB4_6338:                             ;   in Loop: Header=BB4_6082 Depth=3
	s_or_b32 exec_lo, exec_lo, s18
	s_and_saveexec_b32 s18, s17
	s_cbranch_execz .LBB4_6340
.LBB4_6339:                             ;   in Loop: Header=BB4_6082 Depth=3
	v_and_b32_sdwa v19, v102, v1 dst_sel:DWORD dst_unused:UNUSED_PAD src0_sel:DWORD src1_sel:BYTE_1
	v_and_b32_e32 v31, 3, v19
	v_bfe_u32 v51, v19, 2, 5
	v_ffbh_u32_e32 v35, v31
	v_cmp_eq_u32_e32 vcc_lo, 0, v51
	v_min_u32_e32 v35, 32, v35
	v_subrev_nc_u32_e32 v50, 29, v35
	v_sub_nc_u32_e32 v35, 30, v35
	v_lshlrev_b32_e32 v19, v50, v19
	v_lshlrev_b32_sdwa v50, v103, v1 dst_sel:DWORD dst_unused:UNUSED_PAD src0_sel:DWORD src1_sel:BYTE_1
	v_cndmask_b32_e32 v35, v51, v35, vcc_lo
	v_and_b32_e32 v19, 3, v19
	v_lshl_add_u32 v35, v35, 23, 0x37800000
	v_cndmask_b32_e32 v19, v31, v19, vcc_lo
	v_and_b32_e32 v31, 0x80000000, v50
	v_lshlrev_b32_e32 v19, 21, v19
	v_or3_b32 v19, v31, v35, v19
.LBB4_6340:                             ;   in Loop: Header=BB4_6082 Depth=3
	s_or_b32 exec_lo, exec_lo, s18
	v_cmp_gt_i16_sdwa s18, v8, v100 src0_sel:BYTE_1 src1_sel:DWORD
	s_mov_b32 s17, 0
	s_and_saveexec_b32 s22, s18
	s_xor_b32 s18, exec_lo, s22
	s_cbranch_execz .LBB4_6675
; %bb.6341:                             ;   in Loop: Header=BB4_6082 Depth=3
	v_cmp_eq_u16_sdwa s23, v8, v101 src0_sel:BYTE_1 src1_sel:DWORD
	s_mov_b32 s17, -1
	s_and_saveexec_b32 s22, s23
; %bb.6342:                             ;   in Loop: Header=BB4_6082 Depth=3
	s_xor_b32 s17, exec_lo, -1
; %bb.6343:                             ;   in Loop: Header=BB4_6082 Depth=3
	s_or_b32 exec_lo, exec_lo, s22
	s_and_b32 s17, s17, exec_lo
	s_or_saveexec_b32 s18, s18
	v_mov_b32_e32 v31, 0x7f800001
	s_xor_b32 exec_lo, exec_lo, s18
	s_cbranch_execnz .LBB4_6676
.LBB4_6344:                             ;   in Loop: Header=BB4_6082 Depth=3
	s_or_b32 exec_lo, exec_lo, s18
	s_and_saveexec_b32 s18, s17
	s_cbranch_execz .LBB4_6346
.LBB4_6345:                             ;   in Loop: Header=BB4_6082 Depth=3
	v_and_b32_sdwa v31, v102, v8 dst_sel:DWORD dst_unused:UNUSED_PAD src0_sel:DWORD src1_sel:BYTE_1
	v_and_b32_e32 v35, 3, v31
	v_bfe_u32 v96, v31, 2, 5
	v_ffbh_u32_e32 v50, v35
	v_cmp_eq_u32_e32 vcc_lo, 0, v96
	v_min_u32_e32 v50, 32, v50
	v_subrev_nc_u32_e32 v51, 29, v50
	v_sub_nc_u32_e32 v50, 30, v50
	v_lshlrev_b32_e32 v31, v51, v31
	v_lshlrev_b32_sdwa v51, v103, v8 dst_sel:DWORD dst_unused:UNUSED_PAD src0_sel:DWORD src1_sel:BYTE_1
	v_cndmask_b32_e32 v50, v96, v50, vcc_lo
	v_and_b32_e32 v31, 3, v31
	v_lshl_add_u32 v50, v50, 23, 0x37800000
	v_cndmask_b32_e32 v31, v35, v31, vcc_lo
	v_and_b32_e32 v35, 0x80000000, v51
	v_lshlrev_b32_e32 v31, 21, v31
	v_or3_b32 v31, v35, v50, v31
.LBB4_6346:                             ;   in Loop: Header=BB4_6082 Depth=3
	s_or_b32 exec_lo, exec_lo, s18
	v_add_f32_e32 v31, v19, v31
	v_and_b32_e32 v19, 0x7f800000, v31
	v_cmp_ne_u32_e32 vcc_lo, 0x7f800000, v19
	v_mov_b32_e32 v19, 0x8000
	s_and_saveexec_b32 s18, vcc_lo
	s_cbranch_execz .LBB4_6354
; %bb.6347:                             ;   in Loop: Header=BB4_6082 Depth=3
	v_mov_b32_e32 v19, 0
	s_mov_b32 s22, exec_lo
	v_cmpx_ne_u32_e32 0, v31
	s_cbranch_execz .LBB4_6353
; %bb.6348:                             ;   in Loop: Header=BB4_6082 Depth=3
	v_bfe_u32 v19, v31, 23, 8
	v_and_b32_e32 v35, 0x7fffff, v31
	v_sub_nc_u32_e32 v50, 0x70, v19
	v_cmp_gt_u32_e32 vcc_lo, 0x71, v19
	v_or_b32_e32 v51, 0x800000, v35
	v_cndmask_b32_e32 v50, 0, v50, vcc_lo
	v_cmp_eq_u32_e32 vcc_lo, 0, v19
	v_add_nc_u32_e32 v19, 0xffffff91, v19
	v_cndmask_b32_e64 v50, v50, 0x6f, vcc_lo
	v_cndmask_b32_e32 v35, v51, v35, vcc_lo
	v_cndmask_b32_e64 v19, v19, 0xffffff92, vcc_lo
	v_lshl_add_u32 v51, 0x200000, v50, -1
	v_lshrrev_b32_e32 v96, v50, v35
	v_lshlrev_b32_e64 v115, v50, 0x100000
	v_add_nc_u32_e32 v50, v50, v19
	v_and_b32_e32 v35, v51, v35
	v_bfe_u32 v97, v96, 21, 1
	v_cmp_eq_u32_e64 s17, v35, v115
	v_add_nc_u32_e32 v51, -1, v97
	v_cndmask_b32_e64 v35, 0, v51, s17
	v_lshrrev_b32_e32 v51, 23, v96
	s_mov_b32 s17, exec_lo
	v_add_nc_u32_e32 v35, v35, v96
	v_xor_b32_e32 v51, 1, v51
	v_and_b32_e32 v19, 0x1fffff, v35
	v_add_nc_u32_e32 v35, v19, v96
                                        ; implicit-def: $vgpr19
	v_cmpx_ne_u32_e64 v50, v51
	s_xor_b32 s17, exec_lo, s17
; %bb.6349:                             ;   in Loop: Header=BB4_6082 Depth=3
	v_cmp_lt_u32_e32 vcc_lo, 0xffffff, v35
	v_sub_nc_u32_e32 v19, v50, v51
	v_cndmask_b32_e64 v50, 0, 1, vcc_lo
	v_add_co_ci_u32_e64 v19, null, 0, v19, vcc_lo
	v_lshrrev_b32_e32 v35, v50, v35
; %bb.6350:                             ;   in Loop: Header=BB4_6082 Depth=3
	s_andn2_saveexec_b32 s17, s17
; %bb.6351:                             ;   in Loop: Header=BB4_6082 Depth=3
	v_bfe_u32 v19, v35, 23, 1
; %bb.6352:                             ;   in Loop: Header=BB4_6082 Depth=3
	s_or_b32 exec_lo, exec_lo, s17
	v_lshrrev_b32_e32 v35, 21, v35
	v_min_i32_e32 v50, 31, v19
	v_cmp_gt_i32_e32 vcc_lo, 32, v19
	v_and_b32_sdwa v31, v31, v101 dst_sel:DWORD dst_unused:UNUSED_PAD src0_sel:BYTE_3 src1_sel:DWORD
	v_lshlrev_b32_e32 v50, 2, v50
	v_cndmask_b32_e32 v35, 3, v35, vcc_lo
	v_and_b32_e32 v50, 0xfc, v50
	v_and_b32_e32 v51, 3, v35
	v_or_b32_e32 v19, v19, v35
	v_or3_b32 v31, v31, v50, v51
	v_cmp_ne_u32_e32 vcc_lo, 0, v19
	v_lshlrev_b32_e32 v31, 8, v31
	v_cndmask_b32_e32 v19, 0, v31, vcc_lo
.LBB4_6353:                             ;   in Loop: Header=BB4_6082 Depth=3
	s_or_b32 exec_lo, exec_lo, s22
.LBB4_6354:                             ;   in Loop: Header=BB4_6082 Depth=3
	s_or_b32 exec_lo, exec_lo, s18
	v_or_b32_e32 v31, v34, v30
	s_mov_b32 s17, 0
	v_cmp_gt_i16_sdwa s18, v31, v100 src0_sel:BYTE_0 src1_sel:DWORD
	s_and_saveexec_b32 s22, s18
	s_xor_b32 s18, exec_lo, s22
	s_cbranch_execz .LBB4_6677
; %bb.6355:                             ;   in Loop: Header=BB4_6082 Depth=3
	v_cmp_eq_u16_sdwa s23, v31, v101 src0_sel:BYTE_0 src1_sel:DWORD
	s_mov_b32 s17, -1
	s_and_saveexec_b32 s22, s23
; %bb.6356:                             ;   in Loop: Header=BB4_6082 Depth=3
	s_xor_b32 s17, exec_lo, -1
; %bb.6357:                             ;   in Loop: Header=BB4_6082 Depth=3
	s_or_b32 exec_lo, exec_lo, s22
	s_and_b32 s17, s17, exec_lo
	s_or_saveexec_b32 s18, s18
	v_mov_b32_e32 v30, 0x7f800001
	s_xor_b32 exec_lo, exec_lo, s18
	s_cbranch_execnz .LBB4_6678
.LBB4_6358:                             ;   in Loop: Header=BB4_6082 Depth=3
	s_or_b32 exec_lo, exec_lo, s18
	v_lshl_or_b32 v1, v31, 16, v1
	s_and_saveexec_b32 s18, s17
	s_cbranch_execz .LBB4_6360
.LBB4_6359:                             ;   in Loop: Header=BB4_6082 Depth=3
	v_bfe_u32 v30, v1, 16, 2
	v_bfe_u32 v35, v1, 18, 5
	v_lshlrev_b32_e32 v50, 8, v1
	v_ffbh_u32_e32 v31, v30
	v_cmp_eq_u32_e32 vcc_lo, 0, v35
	v_min_u32_e32 v31, 32, v31
	v_subrev_nc_u32_e32 v34, 29, v31
	v_sub_nc_u32_e32 v31, 30, v31
	v_lshlrev_b32_sdwa v34, v34, v1 dst_sel:DWORD dst_unused:UNUSED_PAD src0_sel:DWORD src1_sel:WORD_1
	v_cndmask_b32_e32 v31, v35, v31, vcc_lo
	v_and_b32_e32 v34, 3, v34
	v_lshl_add_u32 v31, v31, 23, 0x37800000
	v_cndmask_b32_e32 v30, v30, v34, vcc_lo
	v_and_b32_e32 v34, 0x80000000, v50
	v_lshlrev_b32_e32 v30, 21, v30
	v_or3_b32 v30, v34, v31, v30
.LBB4_6360:                             ;   in Loop: Header=BB4_6082 Depth=3
	s_or_b32 exec_lo, exec_lo, s18
	v_and_b32_sdwa v34, v8, v112 dst_sel:DWORD dst_unused:UNUSED_PAD src0_sel:WORD_1 src1_sel:DWORD
	s_mov_b32 s17, 0
	s_mov_b32 s18, exec_lo
	v_cmpx_lt_i16_e32 0x7f, v34
	s_xor_b32 s18, exec_lo, s18
	s_cbranch_execz .LBB4_6679
; %bb.6361:                             ;   in Loop: Header=BB4_6082 Depth=3
	s_mov_b32 s17, -1
	s_mov_b32 s22, exec_lo
	v_cmpx_eq_u16_e32 0x80, v34
; %bb.6362:                             ;   in Loop: Header=BB4_6082 Depth=3
	s_xor_b32 s17, exec_lo, -1
; %bb.6363:                             ;   in Loop: Header=BB4_6082 Depth=3
	s_or_b32 exec_lo, exec_lo, s22
	s_and_b32 s17, s17, exec_lo
                                        ; implicit-def: $vgpr34
	s_or_saveexec_b32 s18, s18
	v_mov_b32_e32 v31, 0x7f800001
	s_xor_b32 exec_lo, exec_lo, s18
	s_cbranch_execnz .LBB4_6680
.LBB4_6364:                             ;   in Loop: Header=BB4_6082 Depth=3
	s_or_b32 exec_lo, exec_lo, s18
	s_and_saveexec_b32 s18, s17
	s_cbranch_execz .LBB4_6366
.LBB4_6365:                             ;   in Loop: Header=BB4_6082 Depth=3
	v_and_b32_sdwa v31, v8, v114 dst_sel:DWORD dst_unused:UNUSED_PAD src0_sel:WORD_1 src1_sel:DWORD
	v_bfe_u32 v50, v8, 18, 5
	v_lshlrev_b32_sdwa v51, v103, v8 dst_sel:DWORD dst_unused:UNUSED_PAD src0_sel:DWORD src1_sel:WORD_1
	v_ffbh_u32_e32 v34, v31
	v_cmp_eq_u32_e32 vcc_lo, 0, v50
	v_min_u32_e32 v34, 32, v34
	v_subrev_nc_u32_e32 v35, 29, v34
	v_sub_nc_u32_e32 v34, 30, v34
	v_lshlrev_b32_sdwa v35, v35, v8 dst_sel:DWORD dst_unused:UNUSED_PAD src0_sel:DWORD src1_sel:WORD_1
	v_cndmask_b32_e32 v34, v50, v34, vcc_lo
	v_and_b32_e32 v35, 3, v35
	v_lshl_add_u32 v34, v34, 23, 0x37800000
	v_cndmask_b32_e32 v31, v31, v35, vcc_lo
	v_and_b32_e32 v35, 0x80000000, v51
	v_lshlrev_b32_e32 v31, 21, v31
	v_or3_b32 v31, v35, v34, v31
.LBB4_6366:                             ;   in Loop: Header=BB4_6082 Depth=3
	s_or_b32 exec_lo, exec_lo, s18
	v_add_f32_e32 v31, v30, v31
	v_and_b32_e32 v30, 0x7f800000, v31
	v_cmp_ne_u32_e32 vcc_lo, 0x7f800000, v30
	v_mov_b32_e32 v30, 0x80
	s_and_saveexec_b32 s18, vcc_lo
	s_cbranch_execz .LBB4_6374
; %bb.6367:                             ;   in Loop: Header=BB4_6082 Depth=3
	v_mov_b32_e32 v30, 0
	s_mov_b32 s22, exec_lo
	v_cmpx_ne_u32_e32 0, v31
	s_cbranch_execz .LBB4_6373
; %bb.6368:                             ;   in Loop: Header=BB4_6082 Depth=3
	v_bfe_u32 v30, v31, 23, 8
	v_and_b32_e32 v34, 0x7fffff, v31
	v_sub_nc_u32_e32 v35, 0x70, v30
	v_cmp_gt_u32_e32 vcc_lo, 0x71, v30
	v_or_b32_e32 v50, 0x800000, v34
	v_cndmask_b32_e32 v35, 0, v35, vcc_lo
	v_cmp_eq_u32_e32 vcc_lo, 0, v30
	v_add_nc_u32_e32 v30, 0xffffff91, v30
	v_cndmask_b32_e64 v35, v35, 0x6f, vcc_lo
	v_cndmask_b32_e32 v34, v50, v34, vcc_lo
	v_cndmask_b32_e64 v30, v30, 0xffffff92, vcc_lo
	v_lshl_add_u32 v50, 0x200000, v35, -1
	v_lshrrev_b32_e32 v51, v35, v34
	v_lshlrev_b32_e64 v97, v35, 0x100000
	v_add_nc_u32_e32 v35, v35, v30
	v_and_b32_e32 v34, v50, v34
	v_bfe_u32 v96, v51, 21, 1
	v_cmp_eq_u32_e64 s17, v34, v97
	v_add_nc_u32_e32 v50, -1, v96
	v_cndmask_b32_e64 v34, 0, v50, s17
	v_lshrrev_b32_e32 v50, 23, v51
	s_mov_b32 s17, exec_lo
	v_add_nc_u32_e32 v34, v34, v51
	v_xor_b32_e32 v50, 1, v50
	v_and_b32_e32 v30, 0x1fffff, v34
	v_add_nc_u32_e32 v34, v30, v51
                                        ; implicit-def: $vgpr30
	v_cmpx_ne_u32_e64 v35, v50
	s_xor_b32 s17, exec_lo, s17
; %bb.6369:                             ;   in Loop: Header=BB4_6082 Depth=3
	v_cmp_lt_u32_e32 vcc_lo, 0xffffff, v34
	v_sub_nc_u32_e32 v30, v35, v50
	v_cndmask_b32_e64 v35, 0, 1, vcc_lo
	v_add_co_ci_u32_e64 v30, null, 0, v30, vcc_lo
	v_lshrrev_b32_e32 v34, v35, v34
; %bb.6370:                             ;   in Loop: Header=BB4_6082 Depth=3
	s_andn2_saveexec_b32 s17, s17
; %bb.6371:                             ;   in Loop: Header=BB4_6082 Depth=3
	v_bfe_u32 v30, v34, 23, 1
; %bb.6372:                             ;   in Loop: Header=BB4_6082 Depth=3
	s_or_b32 exec_lo, exec_lo, s17
	v_lshrrev_b32_e32 v34, 21, v34
	v_min_i32_e32 v35, 31, v30
	v_cmp_gt_i32_e32 vcc_lo, 32, v30
	v_and_b32_sdwa v31, v31, v101 dst_sel:DWORD dst_unused:UNUSED_PAD src0_sel:BYTE_3 src1_sel:DWORD
	v_lshlrev_b32_e32 v35, 2, v35
	v_cndmask_b32_e32 v34, 3, v34, vcc_lo
	v_and_b32_e32 v35, 0xfc, v35
	v_and_b32_e32 v50, 3, v34
	v_or_b32_e32 v30, v30, v34
	v_or3_b32 v31, v35, v31, v50
	v_cmp_ne_u32_e32 vcc_lo, 0, v30
	v_cndmask_b32_e32 v30, 0, v31, vcc_lo
.LBB4_6373:                             ;   in Loop: Header=BB4_6082 Depth=3
	s_or_b32 exec_lo, exec_lo, s22
.LBB4_6374:                             ;   in Loop: Header=BB4_6082 Depth=3
	s_or_b32 exec_lo, exec_lo, s18
	v_cmp_gt_i16_sdwa s18, v1, v100 src0_sel:BYTE_3 src1_sel:DWORD
	s_mov_b32 s17, 0
	s_and_saveexec_b32 s22, s18
	s_xor_b32 s18, exec_lo, s22
	s_cbranch_execz .LBB4_6681
; %bb.6375:                             ;   in Loop: Header=BB4_6082 Depth=3
	v_cmp_eq_u16_sdwa s23, v1, v101 src0_sel:BYTE_3 src1_sel:DWORD
	s_mov_b32 s17, -1
	s_and_saveexec_b32 s22, s23
; %bb.6376:                             ;   in Loop: Header=BB4_6082 Depth=3
	s_xor_b32 s17, exec_lo, -1
; %bb.6377:                             ;   in Loop: Header=BB4_6082 Depth=3
	s_or_b32 exec_lo, exec_lo, s22
	s_and_b32 s17, s17, exec_lo
	s_or_saveexec_b32 s18, s18
	v_mov_b32_e32 v31, 0x7f800001
	s_xor_b32 exec_lo, exec_lo, s18
	s_cbranch_execnz .LBB4_6682
.LBB4_6378:                             ;   in Loop: Header=BB4_6082 Depth=3
	s_or_b32 exec_lo, exec_lo, s18
	s_and_saveexec_b32 s18, s17
	s_cbranch_execz .LBB4_6380
.LBB4_6379:                             ;   in Loop: Header=BB4_6082 Depth=3
	v_bfe_u32 v31, v1, 24, 2
	v_bfe_u32 v50, v1, 26, 5
	v_ffbh_u32_e32 v34, v31
	v_cmp_eq_u32_e32 vcc_lo, 0, v50
	v_min_u32_e32 v34, 32, v34
	v_subrev_nc_u32_e32 v35, 29, v34
	v_sub_nc_u32_e32 v34, 30, v34
	v_lshlrev_b32_sdwa v35, v35, v1 dst_sel:DWORD dst_unused:UNUSED_PAD src0_sel:DWORD src1_sel:BYTE_3
	v_cndmask_b32_e32 v34, v50, v34, vcc_lo
	v_and_b32_e32 v1, 0x80000000, v1
	v_and_b32_e32 v35, 3, v35
	v_lshl_add_u32 v34, v34, 23, 0x37800000
	v_cndmask_b32_e32 v31, v31, v35, vcc_lo
	v_lshlrev_b32_e32 v31, 21, v31
	v_or3_b32 v31, v1, v34, v31
.LBB4_6380:                             ;   in Loop: Header=BB4_6082 Depth=3
	s_or_b32 exec_lo, exec_lo, s18
	v_cmp_gt_i16_sdwa s18, v8, v100 src0_sel:BYTE_3 src1_sel:DWORD
	s_mov_b32 s17, 0
	s_and_saveexec_b32 s22, s18
	s_xor_b32 s18, exec_lo, s22
	s_cbranch_execz .LBB4_6683
; %bb.6381:                             ;   in Loop: Header=BB4_6082 Depth=3
	v_cmp_eq_u16_sdwa s23, v8, v101 src0_sel:BYTE_3 src1_sel:DWORD
	s_mov_b32 s17, -1
	s_and_saveexec_b32 s22, s23
; %bb.6382:                             ;   in Loop: Header=BB4_6082 Depth=3
	s_xor_b32 s17, exec_lo, -1
; %bb.6383:                             ;   in Loop: Header=BB4_6082 Depth=3
	s_or_b32 exec_lo, exec_lo, s22
	s_and_b32 s17, s17, exec_lo
	s_or_saveexec_b32 s18, s18
	v_mov_b32_e32 v1, 0x7f800001
	s_xor_b32 exec_lo, exec_lo, s18
	s_cbranch_execnz .LBB4_6684
.LBB4_6384:                             ;   in Loop: Header=BB4_6082 Depth=3
	s_or_b32 exec_lo, exec_lo, s18
	s_and_saveexec_b32 s18, s17
	s_cbranch_execz .LBB4_6386
.LBB4_6385:                             ;   in Loop: Header=BB4_6082 Depth=3
	v_and_b32_sdwa v1, v8, v114 dst_sel:DWORD dst_unused:UNUSED_PAD src0_sel:BYTE_3 src1_sel:DWORD
	v_bfe_u32 v50, v8, 26, 5
	v_ffbh_u32_e32 v34, v1
	v_cmp_eq_u32_e32 vcc_lo, 0, v50
	v_min_u32_e32 v34, 32, v34
	v_subrev_nc_u32_e32 v35, 29, v34
	v_sub_nc_u32_e32 v34, 30, v34
	v_lshlrev_b32_sdwa v35, v35, v8 dst_sel:DWORD dst_unused:UNUSED_PAD src0_sel:DWORD src1_sel:BYTE_3
	v_cndmask_b32_e32 v34, v50, v34, vcc_lo
	v_and_b32_e32 v8, 0x80000000, v8
	v_and_b32_e32 v35, 3, v35
	v_lshl_add_u32 v34, v34, 23, 0x37800000
	v_cndmask_b32_e32 v1, v1, v35, vcc_lo
	v_lshlrev_b32_e32 v1, 21, v1
	v_or3_b32 v1, v8, v34, v1
.LBB4_6386:                             ;   in Loop: Header=BB4_6082 Depth=3
	s_or_b32 exec_lo, exec_lo, s18
	v_add_f32_e32 v1, v31, v1
	v_and_b32_e32 v8, 0x7f800000, v1
	v_cmp_ne_u32_e32 vcc_lo, 0x7f800000, v8
	v_mov_b32_e32 v8, 0x8000
	s_and_saveexec_b32 s18, vcc_lo
	s_cbranch_execz .LBB4_6394
; %bb.6387:                             ;   in Loop: Header=BB4_6082 Depth=3
	v_mov_b32_e32 v8, 0
	s_mov_b32 s22, exec_lo
	v_cmpx_ne_u32_e32 0, v1
	s_cbranch_execz .LBB4_6393
; %bb.6388:                             ;   in Loop: Header=BB4_6082 Depth=3
	v_bfe_u32 v8, v1, 23, 8
	v_and_b32_e32 v31, 0x7fffff, v1
	v_sub_nc_u32_e32 v34, 0x70, v8
	v_cmp_gt_u32_e32 vcc_lo, 0x71, v8
	v_or_b32_e32 v35, 0x800000, v31
	v_cndmask_b32_e32 v34, 0, v34, vcc_lo
	v_cmp_eq_u32_e32 vcc_lo, 0, v8
	v_add_nc_u32_e32 v8, 0xffffff91, v8
	v_cndmask_b32_e64 v34, v34, 0x6f, vcc_lo
	v_cndmask_b32_e32 v31, v35, v31, vcc_lo
	v_cndmask_b32_e64 v8, v8, 0xffffff92, vcc_lo
	v_lshl_add_u32 v35, 0x200000, v34, -1
	v_lshrrev_b32_e32 v50, v34, v31
	v_lshlrev_b32_e64 v96, v34, 0x100000
	v_add_nc_u32_e32 v34, v34, v8
	v_and_b32_e32 v31, v35, v31
	v_bfe_u32 v51, v50, 21, 1
	v_cmp_eq_u32_e64 s17, v31, v96
	v_add_nc_u32_e32 v35, -1, v51
	v_cndmask_b32_e64 v31, 0, v35, s17
	v_lshrrev_b32_e32 v35, 23, v50
	s_mov_b32 s17, exec_lo
	v_add_nc_u32_e32 v31, v31, v50
	v_xor_b32_e32 v35, 1, v35
	v_and_b32_e32 v8, 0x1fffff, v31
	v_add_nc_u32_e32 v31, v8, v50
                                        ; implicit-def: $vgpr8
	v_cmpx_ne_u32_e64 v34, v35
	s_xor_b32 s17, exec_lo, s17
; %bb.6389:                             ;   in Loop: Header=BB4_6082 Depth=3
	v_cmp_lt_u32_e32 vcc_lo, 0xffffff, v31
	v_sub_nc_u32_e32 v8, v34, v35
	v_cndmask_b32_e64 v34, 0, 1, vcc_lo
	v_add_co_ci_u32_e64 v8, null, 0, v8, vcc_lo
	v_lshrrev_b32_e32 v31, v34, v31
; %bb.6390:                             ;   in Loop: Header=BB4_6082 Depth=3
	s_andn2_saveexec_b32 s17, s17
; %bb.6391:                             ;   in Loop: Header=BB4_6082 Depth=3
	v_bfe_u32 v8, v31, 23, 1
; %bb.6392:                             ;   in Loop: Header=BB4_6082 Depth=3
	s_or_b32 exec_lo, exec_lo, s17
	v_lshrrev_b32_e32 v31, 21, v31
	v_min_i32_e32 v34, 31, v8
	v_cmp_gt_i32_e32 vcc_lo, 32, v8
	v_and_b32_sdwa v1, v1, v101 dst_sel:DWORD dst_unused:UNUSED_PAD src0_sel:BYTE_3 src1_sel:DWORD
	v_lshlrev_b32_e32 v34, 2, v34
	v_cndmask_b32_e32 v31, 3, v31, vcc_lo
	v_and_b32_e32 v34, 0xfc, v34
	v_and_b32_e32 v35, 3, v31
	v_or_b32_e32 v8, v8, v31
	v_or3_b32 v1, v1, v34, v35
	v_cmp_ne_u32_e32 vcc_lo, 0, v8
	v_lshlrev_b32_e32 v1, 8, v1
	v_cndmask_b32_e32 v8, 0, v1, vcc_lo
.LBB4_6393:                             ;   in Loop: Header=BB4_6082 Depth=3
	s_or_b32 exec_lo, exec_lo, s22
.LBB4_6394:                             ;   in Loop: Header=BB4_6082 Depth=3
	s_or_b32 exec_lo, exec_lo, s18
	v_or_b32_e32 v1, v75, v73
	s_mov_b32 s17, 0
	v_cmp_gt_i16_sdwa s18, v1, v100 src0_sel:BYTE_0 src1_sel:DWORD
	s_and_saveexec_b32 s22, s18
	s_xor_b32 s18, exec_lo, s22
	s_cbranch_execz .LBB4_6685
; %bb.6395:                             ;   in Loop: Header=BB4_6082 Depth=3
	v_cmp_eq_u16_sdwa s23, v1, v101 src0_sel:BYTE_0 src1_sel:DWORD
	s_mov_b32 s17, -1
	s_and_saveexec_b32 s22, s23
; %bb.6396:                             ;   in Loop: Header=BB4_6082 Depth=3
	s_xor_b32 s17, exec_lo, -1
; %bb.6397:                             ;   in Loop: Header=BB4_6082 Depth=3
	s_or_b32 exec_lo, exec_lo, s22
	s_and_b32 s17, s17, exec_lo
	s_or_saveexec_b32 s18, s18
	v_mov_b32_e32 v31, 0x7f800001
	s_xor_b32 exec_lo, exec_lo, s18
	s_cbranch_execnz .LBB4_6686
.LBB4_6398:                             ;   in Loop: Header=BB4_6082 Depth=3
	s_or_b32 exec_lo, exec_lo, s18
	s_and_saveexec_b32 s18, s17
	s_cbranch_execz .LBB4_6400
.LBB4_6399:                             ;   in Loop: Header=BB4_6082 Depth=3
	v_and_b32_e32 v31, 3, v1
	v_bfe_u32 v50, v1, 2, 5
	v_lshlrev_b32_e32 v51, 24, v1
	v_ffbh_u32_e32 v34, v31
	v_cmp_eq_u32_e32 vcc_lo, 0, v50
	v_min_u32_e32 v34, 32, v34
	v_subrev_nc_u32_e32 v35, 29, v34
	v_sub_nc_u32_e32 v34, 30, v34
	v_lshlrev_b32_e32 v35, v35, v1
	v_cndmask_b32_e32 v34, v50, v34, vcc_lo
	v_and_b32_e32 v35, 3, v35
	v_lshl_add_u32 v34, v34, 23, 0x37800000
	v_cndmask_b32_e32 v31, v31, v35, vcc_lo
	v_and_b32_e32 v35, 0x80000000, v51
	v_lshlrev_b32_e32 v31, 21, v31
	v_or3_b32 v31, v35, v34, v31
.LBB4_6400:                             ;   in Loop: Header=BB4_6082 Depth=3
	s_or_b32 exec_lo, exec_lo, s18
	v_cmp_gt_i16_sdwa s18, v9, v100 src0_sel:BYTE_0 src1_sel:DWORD
	s_mov_b32 s17, 0
	s_and_saveexec_b32 s22, s18
	s_xor_b32 s18, exec_lo, s22
	s_cbranch_execz .LBB4_6687
; %bb.6401:                             ;   in Loop: Header=BB4_6082 Depth=3
	v_cmp_eq_u16_sdwa s23, v9, v101 src0_sel:BYTE_0 src1_sel:DWORD
	s_mov_b32 s17, -1
	s_and_saveexec_b32 s22, s23
; %bb.6402:                             ;   in Loop: Header=BB4_6082 Depth=3
	s_xor_b32 s17, exec_lo, -1
; %bb.6403:                             ;   in Loop: Header=BB4_6082 Depth=3
	s_or_b32 exec_lo, exec_lo, s22
	s_and_b32 s17, s17, exec_lo
	s_or_saveexec_b32 s18, s18
	v_mov_b32_e32 v34, 0x7f800001
	s_xor_b32 exec_lo, exec_lo, s18
	s_cbranch_execnz .LBB4_6688
.LBB4_6404:                             ;   in Loop: Header=BB4_6082 Depth=3
	s_or_b32 exec_lo, exec_lo, s18
	s_and_saveexec_b32 s18, s17
	s_cbranch_execz .LBB4_6406
.LBB4_6405:                             ;   in Loop: Header=BB4_6082 Depth=3
	v_and_b32_e32 v34, 3, v9
	v_bfe_u32 v51, v9, 2, 5
	v_lshlrev_b32_e32 v96, 24, v9
	v_ffbh_u32_e32 v35, v34
	v_cmp_eq_u32_e32 vcc_lo, 0, v51
	v_min_u32_e32 v35, 32, v35
	v_subrev_nc_u32_e32 v50, 29, v35
	v_sub_nc_u32_e32 v35, 30, v35
	v_lshlrev_b32_e32 v50, v50, v9
	v_cndmask_b32_e32 v35, v51, v35, vcc_lo
	v_and_b32_e32 v50, 3, v50
	v_lshl_add_u32 v35, v35, 23, 0x37800000
	v_cndmask_b32_e32 v34, v34, v50, vcc_lo
	v_and_b32_e32 v50, 0x80000000, v96
	v_lshlrev_b32_e32 v34, 21, v34
	v_or3_b32 v34, v50, v35, v34
.LBB4_6406:                             ;   in Loop: Header=BB4_6082 Depth=3
	s_or_b32 exec_lo, exec_lo, s18
	v_add_f32_e32 v31, v31, v34
	v_mov_b32_e32 v73, 0x80
	s_mov_b32 s18, exec_lo
	v_and_b32_e32 v34, 0x7f800000, v31
	v_cmpx_ne_u32_e32 0x7f800000, v34
	s_cbranch_execz .LBB4_6414
; %bb.6407:                             ;   in Loop: Header=BB4_6082 Depth=3
	v_mov_b32_e32 v73, 0
	s_mov_b32 s22, exec_lo
	v_cmpx_ne_u32_e32 0, v31
	s_cbranch_execz .LBB4_6413
; %bb.6408:                             ;   in Loop: Header=BB4_6082 Depth=3
	v_bfe_u32 v34, v31, 23, 8
	v_and_b32_e32 v35, 0x7fffff, v31
	v_sub_nc_u32_e32 v50, 0x70, v34
	v_cmp_gt_u32_e32 vcc_lo, 0x71, v34
	v_or_b32_e32 v51, 0x800000, v35
	v_cndmask_b32_e32 v50, 0, v50, vcc_lo
	v_cmp_eq_u32_e32 vcc_lo, 0, v34
	v_add_nc_u32_e32 v34, 0xffffff91, v34
	v_cndmask_b32_e64 v50, v50, 0x6f, vcc_lo
	v_cndmask_b32_e32 v35, v51, v35, vcc_lo
	v_cndmask_b32_e64 v34, v34, 0xffffff92, vcc_lo
	v_lshl_add_u32 v51, 0x200000, v50, -1
	v_lshrrev_b32_e32 v96, v50, v35
	v_lshlrev_b32_e64 v115, v50, 0x100000
	v_add_nc_u32_e32 v50, v50, v34
	v_and_b32_e32 v35, v51, v35
	v_bfe_u32 v97, v96, 21, 1
	v_cmp_eq_u32_e64 s17, v35, v115
	v_add_nc_u32_e32 v51, -1, v97
	v_cndmask_b32_e64 v35, 0, v51, s17
	v_lshrrev_b32_e32 v51, 23, v96
	s_mov_b32 s17, exec_lo
	v_add_nc_u32_e32 v35, v35, v96
	v_xor_b32_e32 v51, 1, v51
	v_and_b32_e32 v34, 0x1fffff, v35
	v_add_nc_u32_e32 v35, v34, v96
                                        ; implicit-def: $vgpr34
	v_cmpx_ne_u32_e64 v50, v51
	s_xor_b32 s17, exec_lo, s17
; %bb.6409:                             ;   in Loop: Header=BB4_6082 Depth=3
	v_cmp_lt_u32_e32 vcc_lo, 0xffffff, v35
	v_sub_nc_u32_e32 v34, v50, v51
	v_cndmask_b32_e64 v50, 0, 1, vcc_lo
	v_add_co_ci_u32_e64 v34, null, 0, v34, vcc_lo
	v_lshrrev_b32_e32 v35, v50, v35
; %bb.6410:                             ;   in Loop: Header=BB4_6082 Depth=3
	s_andn2_saveexec_b32 s17, s17
; %bb.6411:                             ;   in Loop: Header=BB4_6082 Depth=3
	v_bfe_u32 v34, v35, 23, 1
; %bb.6412:                             ;   in Loop: Header=BB4_6082 Depth=3
	s_or_b32 exec_lo, exec_lo, s17
	v_lshrrev_b32_e32 v35, 21, v35
	v_min_i32_e32 v50, 31, v34
	v_cmp_gt_i32_e32 vcc_lo, 32, v34
	v_and_b32_sdwa v31, v31, v101 dst_sel:DWORD dst_unused:UNUSED_PAD src0_sel:BYTE_3 src1_sel:DWORD
	v_lshlrev_b32_e32 v50, 2, v50
	v_cndmask_b32_e32 v35, 3, v35, vcc_lo
	v_and_b32_e32 v50, 0xfc, v50
	v_and_b32_e32 v51, 3, v35
	v_or_b32_e32 v34, v34, v35
	v_or3_b32 v31, v50, v31, v51
	v_cmp_ne_u32_e32 vcc_lo, 0, v34
	v_cndmask_b32_e32 v73, 0, v31, vcc_lo
.LBB4_6413:                             ;   in Loop: Header=BB4_6082 Depth=3
	s_or_b32 exec_lo, exec_lo, s22
.LBB4_6414:                             ;   in Loop: Header=BB4_6082 Depth=3
	s_or_b32 exec_lo, exec_lo, s18
	v_cmp_gt_i16_sdwa s18, v1, v100 src0_sel:BYTE_1 src1_sel:DWORD
	s_mov_b32 s17, 0
	s_and_saveexec_b32 s22, s18
	s_xor_b32 s18, exec_lo, s22
	s_cbranch_execz .LBB4_6689
; %bb.6415:                             ;   in Loop: Header=BB4_6082 Depth=3
	v_cmp_eq_u16_sdwa s23, v1, v101 src0_sel:BYTE_1 src1_sel:DWORD
	s_mov_b32 s17, -1
	s_and_saveexec_b32 s22, s23
; %bb.6416:                             ;   in Loop: Header=BB4_6082 Depth=3
	s_xor_b32 s17, exec_lo, -1
; %bb.6417:                             ;   in Loop: Header=BB4_6082 Depth=3
	s_or_b32 exec_lo, exec_lo, s22
	s_and_b32 s17, s17, exec_lo
	s_or_saveexec_b32 s18, s18
	v_mov_b32_e32 v31, 0x7f800001
	s_xor_b32 exec_lo, exec_lo, s18
	s_cbranch_execnz .LBB4_6690
.LBB4_6418:                             ;   in Loop: Header=BB4_6082 Depth=3
	s_or_b32 exec_lo, exec_lo, s18
	s_and_saveexec_b32 s18, s17
	s_cbranch_execz .LBB4_6420
.LBB4_6419:                             ;   in Loop: Header=BB4_6082 Depth=3
	v_and_b32_sdwa v31, v102, v1 dst_sel:DWORD dst_unused:UNUSED_PAD src0_sel:DWORD src1_sel:BYTE_1
	v_and_b32_e32 v34, 3, v31
	v_bfe_u32 v51, v31, 2, 5
	v_ffbh_u32_e32 v35, v34
	v_cmp_eq_u32_e32 vcc_lo, 0, v51
	v_min_u32_e32 v35, 32, v35
	v_subrev_nc_u32_e32 v50, 29, v35
	v_sub_nc_u32_e32 v35, 30, v35
	v_lshlrev_b32_e32 v31, v50, v31
	v_lshlrev_b32_sdwa v50, v103, v1 dst_sel:DWORD dst_unused:UNUSED_PAD src0_sel:DWORD src1_sel:BYTE_1
	v_cndmask_b32_e32 v35, v51, v35, vcc_lo
	v_and_b32_e32 v31, 3, v31
	v_lshl_add_u32 v35, v35, 23, 0x37800000
	v_cndmask_b32_e32 v31, v34, v31, vcc_lo
	v_and_b32_e32 v34, 0x80000000, v50
	v_lshlrev_b32_e32 v31, 21, v31
	v_or3_b32 v31, v34, v35, v31
.LBB4_6420:                             ;   in Loop: Header=BB4_6082 Depth=3
	s_or_b32 exec_lo, exec_lo, s18
	v_cmp_gt_i16_sdwa s18, v9, v100 src0_sel:BYTE_1 src1_sel:DWORD
	s_mov_b32 s17, 0
	s_and_saveexec_b32 s22, s18
	s_xor_b32 s18, exec_lo, s22
	s_cbranch_execz .LBB4_6691
; %bb.6421:                             ;   in Loop: Header=BB4_6082 Depth=3
	v_cmp_eq_u16_sdwa s23, v9, v101 src0_sel:BYTE_1 src1_sel:DWORD
	s_mov_b32 s17, -1
	s_and_saveexec_b32 s22, s23
; %bb.6422:                             ;   in Loop: Header=BB4_6082 Depth=3
	s_xor_b32 s17, exec_lo, -1
; %bb.6423:                             ;   in Loop: Header=BB4_6082 Depth=3
	s_or_b32 exec_lo, exec_lo, s22
	s_and_b32 s17, s17, exec_lo
	s_or_saveexec_b32 s18, s18
	v_mov_b32_e32 v34, 0x7f800001
	s_xor_b32 exec_lo, exec_lo, s18
	s_cbranch_execnz .LBB4_6692
.LBB4_6424:                             ;   in Loop: Header=BB4_6082 Depth=3
	s_or_b32 exec_lo, exec_lo, s18
	s_and_saveexec_b32 s18, s17
	s_cbranch_execz .LBB4_6426
.LBB4_6425:                             ;   in Loop: Header=BB4_6082 Depth=3
	v_and_b32_sdwa v34, v102, v9 dst_sel:DWORD dst_unused:UNUSED_PAD src0_sel:DWORD src1_sel:BYTE_1
	v_and_b32_e32 v35, 3, v34
	v_bfe_u32 v96, v34, 2, 5
	v_ffbh_u32_e32 v50, v35
	v_cmp_eq_u32_e32 vcc_lo, 0, v96
	v_min_u32_e32 v50, 32, v50
	v_subrev_nc_u32_e32 v51, 29, v50
	v_sub_nc_u32_e32 v50, 30, v50
	v_lshlrev_b32_e32 v34, v51, v34
	v_lshlrev_b32_sdwa v51, v103, v9 dst_sel:DWORD dst_unused:UNUSED_PAD src0_sel:DWORD src1_sel:BYTE_1
	v_cndmask_b32_e32 v50, v96, v50, vcc_lo
	v_and_b32_e32 v34, 3, v34
	v_lshl_add_u32 v50, v50, 23, 0x37800000
	v_cndmask_b32_e32 v34, v35, v34, vcc_lo
	v_and_b32_e32 v35, 0x80000000, v51
	v_lshlrev_b32_e32 v34, 21, v34
	v_or3_b32 v34, v35, v50, v34
.LBB4_6426:                             ;   in Loop: Header=BB4_6082 Depth=3
	s_or_b32 exec_lo, exec_lo, s18
	v_add_f32_e32 v31, v31, v34
	v_and_b32_e32 v34, 0x7f800000, v31
	v_cmp_ne_u32_e32 vcc_lo, 0x7f800000, v34
	v_mov_b32_e32 v34, 0x8000
	s_and_saveexec_b32 s18, vcc_lo
	s_cbranch_execz .LBB4_6434
; %bb.6427:                             ;   in Loop: Header=BB4_6082 Depth=3
	v_mov_b32_e32 v34, 0
	s_mov_b32 s22, exec_lo
	v_cmpx_ne_u32_e32 0, v31
	s_cbranch_execz .LBB4_6433
; %bb.6428:                             ;   in Loop: Header=BB4_6082 Depth=3
	v_bfe_u32 v34, v31, 23, 8
	v_and_b32_e32 v35, 0x7fffff, v31
	v_sub_nc_u32_e32 v50, 0x70, v34
	v_cmp_gt_u32_e32 vcc_lo, 0x71, v34
	v_or_b32_e32 v51, 0x800000, v35
	v_cndmask_b32_e32 v50, 0, v50, vcc_lo
	v_cmp_eq_u32_e32 vcc_lo, 0, v34
	v_add_nc_u32_e32 v34, 0xffffff91, v34
	v_cndmask_b32_e64 v50, v50, 0x6f, vcc_lo
	v_cndmask_b32_e32 v35, v51, v35, vcc_lo
	v_cndmask_b32_e64 v34, v34, 0xffffff92, vcc_lo
	v_lshl_add_u32 v51, 0x200000, v50, -1
	v_lshrrev_b32_e32 v96, v50, v35
	v_lshlrev_b32_e64 v115, v50, 0x100000
	v_add_nc_u32_e32 v50, v50, v34
	v_and_b32_e32 v35, v51, v35
	v_bfe_u32 v97, v96, 21, 1
	v_cmp_eq_u32_e64 s17, v35, v115
	v_add_nc_u32_e32 v51, -1, v97
	v_cndmask_b32_e64 v35, 0, v51, s17
	v_lshrrev_b32_e32 v51, 23, v96
	s_mov_b32 s17, exec_lo
	v_add_nc_u32_e32 v35, v35, v96
	v_xor_b32_e32 v51, 1, v51
	v_and_b32_e32 v34, 0x1fffff, v35
	v_add_nc_u32_e32 v35, v34, v96
                                        ; implicit-def: $vgpr34
	v_cmpx_ne_u32_e64 v50, v51
	s_xor_b32 s17, exec_lo, s17
; %bb.6429:                             ;   in Loop: Header=BB4_6082 Depth=3
	v_cmp_lt_u32_e32 vcc_lo, 0xffffff, v35
	v_sub_nc_u32_e32 v34, v50, v51
	v_cndmask_b32_e64 v50, 0, 1, vcc_lo
	v_add_co_ci_u32_e64 v34, null, 0, v34, vcc_lo
	v_lshrrev_b32_e32 v35, v50, v35
; %bb.6430:                             ;   in Loop: Header=BB4_6082 Depth=3
	s_andn2_saveexec_b32 s17, s17
; %bb.6431:                             ;   in Loop: Header=BB4_6082 Depth=3
	v_bfe_u32 v34, v35, 23, 1
; %bb.6432:                             ;   in Loop: Header=BB4_6082 Depth=3
	s_or_b32 exec_lo, exec_lo, s17
	v_lshrrev_b32_e32 v35, 21, v35
	v_min_i32_e32 v50, 31, v34
	v_cmp_gt_i32_e32 vcc_lo, 32, v34
	v_and_b32_sdwa v31, v31, v101 dst_sel:DWORD dst_unused:UNUSED_PAD src0_sel:BYTE_3 src1_sel:DWORD
	v_lshlrev_b32_e32 v50, 2, v50
	v_cndmask_b32_e32 v35, 3, v35, vcc_lo
	v_and_b32_e32 v50, 0xfc, v50
	v_and_b32_e32 v51, 3, v35
	v_or_b32_e32 v34, v34, v35
	v_or3_b32 v31, v31, v50, v51
	v_cmp_ne_u32_e32 vcc_lo, 0, v34
	v_lshlrev_b32_e32 v31, 8, v31
	v_cndmask_b32_e32 v34, 0, v31, vcc_lo
.LBB4_6433:                             ;   in Loop: Header=BB4_6082 Depth=3
	s_or_b32 exec_lo, exec_lo, s22
.LBB4_6434:                             ;   in Loop: Header=BB4_6082 Depth=3
	s_or_b32 exec_lo, exec_lo, s18
	v_or_b32_e32 v35, v74, v37
	s_mov_b32 s17, 0
	v_cmp_gt_i16_sdwa s18, v35, v100 src0_sel:BYTE_0 src1_sel:DWORD
	s_and_saveexec_b32 s22, s18
	s_xor_b32 s18, exec_lo, s22
	s_cbranch_execz .LBB4_6693
; %bb.6435:                             ;   in Loop: Header=BB4_6082 Depth=3
	v_cmp_eq_u16_sdwa s23, v35, v101 src0_sel:BYTE_0 src1_sel:DWORD
	s_mov_b32 s17, -1
	s_and_saveexec_b32 s22, s23
; %bb.6436:                             ;   in Loop: Header=BB4_6082 Depth=3
	s_xor_b32 s17, exec_lo, -1
; %bb.6437:                             ;   in Loop: Header=BB4_6082 Depth=3
	s_or_b32 exec_lo, exec_lo, s22
	s_and_b32 s17, s17, exec_lo
	s_or_saveexec_b32 s18, s18
	v_mov_b32_e32 v31, 0x7f800001
	s_xor_b32 exec_lo, exec_lo, s18
	s_cbranch_execnz .LBB4_6694
.LBB4_6438:                             ;   in Loop: Header=BB4_6082 Depth=3
	s_or_b32 exec_lo, exec_lo, s18
	v_lshl_or_b32 v1, v35, 16, v1
	s_and_saveexec_b32 s18, s17
	s_cbranch_execz .LBB4_6440
.LBB4_6439:                             ;   in Loop: Header=BB4_6082 Depth=3
	v_bfe_u32 v31, v1, 16, 2
	v_bfe_u32 v50, v1, 18, 5
	v_lshlrev_b32_e32 v51, 8, v1
	v_ffbh_u32_e32 v35, v31
	v_cmp_eq_u32_e32 vcc_lo, 0, v50
	v_min_u32_e32 v35, 32, v35
	v_subrev_nc_u32_e32 v37, 29, v35
	v_sub_nc_u32_e32 v35, 30, v35
	v_lshlrev_b32_sdwa v37, v37, v1 dst_sel:DWORD dst_unused:UNUSED_PAD src0_sel:DWORD src1_sel:WORD_1
	v_cndmask_b32_e32 v35, v50, v35, vcc_lo
	v_and_b32_e32 v37, 3, v37
	v_lshl_add_u32 v35, v35, 23, 0x37800000
	v_cndmask_b32_e32 v31, v31, v37, vcc_lo
	v_and_b32_e32 v37, 0x80000000, v51
	v_lshlrev_b32_e32 v31, 21, v31
	v_or3_b32 v31, v37, v35, v31
.LBB4_6440:                             ;   in Loop: Header=BB4_6082 Depth=3
	s_or_b32 exec_lo, exec_lo, s18
	v_and_b32_sdwa v37, v9, v112 dst_sel:DWORD dst_unused:UNUSED_PAD src0_sel:WORD_1 src1_sel:DWORD
	s_mov_b32 s17, 0
	s_mov_b32 s18, exec_lo
	v_cmpx_lt_i16_e32 0x7f, v37
	s_xor_b32 s18, exec_lo, s18
	s_cbranch_execz .LBB4_6695
; %bb.6441:                             ;   in Loop: Header=BB4_6082 Depth=3
	s_mov_b32 s17, -1
	s_mov_b32 s22, exec_lo
	v_cmpx_eq_u16_e32 0x80, v37
; %bb.6442:                             ;   in Loop: Header=BB4_6082 Depth=3
	s_xor_b32 s17, exec_lo, -1
; %bb.6443:                             ;   in Loop: Header=BB4_6082 Depth=3
	s_or_b32 exec_lo, exec_lo, s22
	s_and_b32 s17, s17, exec_lo
                                        ; implicit-def: $vgpr37
	s_or_saveexec_b32 s18, s18
	v_mov_b32_e32 v35, 0x7f800001
	s_xor_b32 exec_lo, exec_lo, s18
	s_cbranch_execnz .LBB4_6696
.LBB4_6444:                             ;   in Loop: Header=BB4_6082 Depth=3
	s_or_b32 exec_lo, exec_lo, s18
	s_and_saveexec_b32 s18, s17
	s_cbranch_execz .LBB4_6446
.LBB4_6445:                             ;   in Loop: Header=BB4_6082 Depth=3
	v_and_b32_sdwa v35, v9, v114 dst_sel:DWORD dst_unused:UNUSED_PAD src0_sel:WORD_1 src1_sel:DWORD
	v_bfe_u32 v51, v9, 18, 5
	v_lshlrev_b32_sdwa v96, v103, v9 dst_sel:DWORD dst_unused:UNUSED_PAD src0_sel:DWORD src1_sel:WORD_1
	v_ffbh_u32_e32 v37, v35
	v_cmp_eq_u32_e32 vcc_lo, 0, v51
	v_min_u32_e32 v37, 32, v37
	v_subrev_nc_u32_e32 v50, 29, v37
	v_sub_nc_u32_e32 v37, 30, v37
	v_lshlrev_b32_sdwa v50, v50, v9 dst_sel:DWORD dst_unused:UNUSED_PAD src0_sel:DWORD src1_sel:WORD_1
	v_cndmask_b32_e32 v37, v51, v37, vcc_lo
	v_and_b32_e32 v50, 3, v50
	v_lshl_add_u32 v37, v37, 23, 0x37800000
	v_cndmask_b32_e32 v35, v35, v50, vcc_lo
	v_and_b32_e32 v50, 0x80000000, v96
	v_lshlrev_b32_e32 v35, 21, v35
	v_or3_b32 v35, v50, v37, v35
.LBB4_6446:                             ;   in Loop: Header=BB4_6082 Depth=3
	s_or_b32 exec_lo, exec_lo, s18
	v_add_f32_e32 v31, v31, v35
	v_and_b32_e32 v35, 0x7f800000, v31
	v_cmp_ne_u32_e32 vcc_lo, 0x7f800000, v35
	v_mov_b32_e32 v35, 0x80
	s_and_saveexec_b32 s18, vcc_lo
	s_cbranch_execz .LBB4_6454
; %bb.6447:                             ;   in Loop: Header=BB4_6082 Depth=3
	v_mov_b32_e32 v35, 0
	s_mov_b32 s22, exec_lo
	v_cmpx_ne_u32_e32 0, v31
	s_cbranch_execz .LBB4_6453
; %bb.6448:                             ;   in Loop: Header=BB4_6082 Depth=3
	v_bfe_u32 v35, v31, 23, 8
	v_and_b32_e32 v37, 0x7fffff, v31
	v_sub_nc_u32_e32 v50, 0x70, v35
	v_cmp_gt_u32_e32 vcc_lo, 0x71, v35
	v_or_b32_e32 v51, 0x800000, v37
	v_cndmask_b32_e32 v50, 0, v50, vcc_lo
	v_cmp_eq_u32_e32 vcc_lo, 0, v35
	v_add_nc_u32_e32 v35, 0xffffff91, v35
	v_cndmask_b32_e64 v50, v50, 0x6f, vcc_lo
	v_cndmask_b32_e32 v37, v51, v37, vcc_lo
	v_cndmask_b32_e64 v35, v35, 0xffffff92, vcc_lo
	v_lshl_add_u32 v51, 0x200000, v50, -1
	v_lshrrev_b32_e32 v96, v50, v37
	v_lshlrev_b32_e64 v115, v50, 0x100000
	v_add_nc_u32_e32 v50, v50, v35
	v_and_b32_e32 v37, v51, v37
	v_bfe_u32 v97, v96, 21, 1
	v_cmp_eq_u32_e64 s17, v37, v115
	v_add_nc_u32_e32 v51, -1, v97
	v_cndmask_b32_e64 v37, 0, v51, s17
	v_lshrrev_b32_e32 v51, 23, v96
	s_mov_b32 s17, exec_lo
	v_add_nc_u32_e32 v37, v37, v96
	v_xor_b32_e32 v51, 1, v51
	v_and_b32_e32 v35, 0x1fffff, v37
	v_add_nc_u32_e32 v37, v35, v96
                                        ; implicit-def: $vgpr35
	v_cmpx_ne_u32_e64 v50, v51
	s_xor_b32 s17, exec_lo, s17
; %bb.6449:                             ;   in Loop: Header=BB4_6082 Depth=3
	v_cmp_lt_u32_e32 vcc_lo, 0xffffff, v37
	v_sub_nc_u32_e32 v35, v50, v51
	v_cndmask_b32_e64 v50, 0, 1, vcc_lo
	v_add_co_ci_u32_e64 v35, null, 0, v35, vcc_lo
	v_lshrrev_b32_e32 v37, v50, v37
; %bb.6450:                             ;   in Loop: Header=BB4_6082 Depth=3
	s_andn2_saveexec_b32 s17, s17
; %bb.6451:                             ;   in Loop: Header=BB4_6082 Depth=3
	v_bfe_u32 v35, v37, 23, 1
; %bb.6452:                             ;   in Loop: Header=BB4_6082 Depth=3
	s_or_b32 exec_lo, exec_lo, s17
	v_lshrrev_b32_e32 v37, 21, v37
	v_min_i32_e32 v50, 31, v35
	v_cmp_gt_i32_e32 vcc_lo, 32, v35
	v_and_b32_sdwa v31, v31, v101 dst_sel:DWORD dst_unused:UNUSED_PAD src0_sel:BYTE_3 src1_sel:DWORD
	v_lshlrev_b32_e32 v50, 2, v50
	v_cndmask_b32_e32 v37, 3, v37, vcc_lo
	v_and_b32_e32 v50, 0xfc, v50
	v_and_b32_e32 v51, 3, v37
	v_or_b32_e32 v35, v35, v37
	v_or3_b32 v31, v50, v31, v51
	v_cmp_ne_u32_e32 vcc_lo, 0, v35
	v_cndmask_b32_e32 v35, 0, v31, vcc_lo
.LBB4_6453:                             ;   in Loop: Header=BB4_6082 Depth=3
	s_or_b32 exec_lo, exec_lo, s22
.LBB4_6454:                             ;   in Loop: Header=BB4_6082 Depth=3
	s_or_b32 exec_lo, exec_lo, s18
	v_cmp_gt_i16_sdwa s18, v1, v100 src0_sel:BYTE_3 src1_sel:DWORD
	s_mov_b32 s17, 0
	s_and_saveexec_b32 s22, s18
	s_xor_b32 s18, exec_lo, s22
	s_cbranch_execz .LBB4_6697
; %bb.6455:                             ;   in Loop: Header=BB4_6082 Depth=3
	v_cmp_eq_u16_sdwa s23, v1, v101 src0_sel:BYTE_3 src1_sel:DWORD
	s_mov_b32 s17, -1
	s_and_saveexec_b32 s22, s23
; %bb.6456:                             ;   in Loop: Header=BB4_6082 Depth=3
	s_xor_b32 s17, exec_lo, -1
; %bb.6457:                             ;   in Loop: Header=BB4_6082 Depth=3
	s_or_b32 exec_lo, exec_lo, s22
	s_and_b32 s17, s17, exec_lo
	s_or_saveexec_b32 s18, s18
	v_mov_b32_e32 v31, 0x7f800001
	s_xor_b32 exec_lo, exec_lo, s18
	s_cbranch_execnz .LBB4_6698
.LBB4_6458:                             ;   in Loop: Header=BB4_6082 Depth=3
	s_or_b32 exec_lo, exec_lo, s18
	s_and_saveexec_b32 s18, s17
	s_cbranch_execz .LBB4_6460
.LBB4_6459:                             ;   in Loop: Header=BB4_6082 Depth=3
	v_bfe_u32 v31, v1, 24, 2
	v_bfe_u32 v51, v1, 26, 5
	v_ffbh_u32_e32 v37, v31
	v_cmp_eq_u32_e32 vcc_lo, 0, v51
	v_min_u32_e32 v37, 32, v37
	v_subrev_nc_u32_e32 v50, 29, v37
	v_sub_nc_u32_e32 v37, 30, v37
	v_lshlrev_b32_sdwa v50, v50, v1 dst_sel:DWORD dst_unused:UNUSED_PAD src0_sel:DWORD src1_sel:BYTE_3
	v_cndmask_b32_e32 v37, v51, v37, vcc_lo
	v_and_b32_e32 v1, 0x80000000, v1
	v_and_b32_e32 v50, 3, v50
	v_lshl_add_u32 v37, v37, 23, 0x37800000
	v_cndmask_b32_e32 v31, v31, v50, vcc_lo
	v_lshlrev_b32_e32 v31, 21, v31
	v_or3_b32 v31, v1, v37, v31
.LBB4_6460:                             ;   in Loop: Header=BB4_6082 Depth=3
	s_or_b32 exec_lo, exec_lo, s18
	v_cmp_gt_i16_sdwa s18, v9, v100 src0_sel:BYTE_3 src1_sel:DWORD
	s_mov_b32 s17, 0
	s_and_saveexec_b32 s22, s18
	s_xor_b32 s18, exec_lo, s22
	s_cbranch_execz .LBB4_6699
; %bb.6461:                             ;   in Loop: Header=BB4_6082 Depth=3
	v_cmp_eq_u16_sdwa s23, v9, v101 src0_sel:BYTE_3 src1_sel:DWORD
	s_mov_b32 s17, -1
	s_and_saveexec_b32 s22, s23
; %bb.6462:                             ;   in Loop: Header=BB4_6082 Depth=3
	s_xor_b32 s17, exec_lo, -1
; %bb.6463:                             ;   in Loop: Header=BB4_6082 Depth=3
	s_or_b32 exec_lo, exec_lo, s22
	s_and_b32 s17, s17, exec_lo
	s_or_saveexec_b32 s18, s18
	v_mov_b32_e32 v1, 0x7f800001
	s_xor_b32 exec_lo, exec_lo, s18
	s_cbranch_execnz .LBB4_6700
.LBB4_6464:                             ;   in Loop: Header=BB4_6082 Depth=3
	s_or_b32 exec_lo, exec_lo, s18
	s_and_saveexec_b32 s18, s17
	s_cbranch_execz .LBB4_6466
.LBB4_6465:                             ;   in Loop: Header=BB4_6082 Depth=3
	v_and_b32_sdwa v1, v9, v114 dst_sel:DWORD dst_unused:UNUSED_PAD src0_sel:BYTE_3 src1_sel:DWORD
	v_bfe_u32 v51, v9, 26, 5
	v_ffbh_u32_e32 v37, v1
	v_cmp_eq_u32_e32 vcc_lo, 0, v51
	v_min_u32_e32 v37, 32, v37
	v_subrev_nc_u32_e32 v50, 29, v37
	v_sub_nc_u32_e32 v37, 30, v37
	v_lshlrev_b32_sdwa v50, v50, v9 dst_sel:DWORD dst_unused:UNUSED_PAD src0_sel:DWORD src1_sel:BYTE_3
	v_cndmask_b32_e32 v37, v51, v37, vcc_lo
	v_and_b32_e32 v9, 0x80000000, v9
	v_and_b32_e32 v50, 3, v50
	v_lshl_add_u32 v37, v37, 23, 0x37800000
	v_cndmask_b32_e32 v1, v1, v50, vcc_lo
	v_lshlrev_b32_e32 v1, 21, v1
	v_or3_b32 v1, v9, v37, v1
.LBB4_6466:                             ;   in Loop: Header=BB4_6082 Depth=3
	s_or_b32 exec_lo, exec_lo, s18
	v_add_f32_e32 v1, v31, v1
	v_and_b32_e32 v9, 0x7f800000, v1
	v_cmp_ne_u32_e32 vcc_lo, 0x7f800000, v9
	v_mov_b32_e32 v9, 0x8000
	s_and_saveexec_b32 s18, vcc_lo
	s_cbranch_execz .LBB4_6474
; %bb.6467:                             ;   in Loop: Header=BB4_6082 Depth=3
	v_mov_b32_e32 v9, 0
	s_mov_b32 s22, exec_lo
	v_cmpx_ne_u32_e32 0, v1
	s_cbranch_execz .LBB4_6473
; %bb.6468:                             ;   in Loop: Header=BB4_6082 Depth=3
	v_bfe_u32 v9, v1, 23, 8
	v_and_b32_e32 v31, 0x7fffff, v1
	v_sub_nc_u32_e32 v37, 0x70, v9
	v_cmp_gt_u32_e32 vcc_lo, 0x71, v9
	v_or_b32_e32 v50, 0x800000, v31
	v_cndmask_b32_e32 v37, 0, v37, vcc_lo
	v_cmp_eq_u32_e32 vcc_lo, 0, v9
	v_add_nc_u32_e32 v9, 0xffffff91, v9
	v_cndmask_b32_e64 v37, v37, 0x6f, vcc_lo
	v_cndmask_b32_e32 v31, v50, v31, vcc_lo
	v_cndmask_b32_e64 v9, v9, 0xffffff92, vcc_lo
	v_lshl_add_u32 v50, 0x200000, v37, -1
	v_lshrrev_b32_e32 v51, v37, v31
	v_lshlrev_b32_e64 v97, v37, 0x100000
	v_add_nc_u32_e32 v37, v37, v9
	v_and_b32_e32 v31, v50, v31
	v_bfe_u32 v96, v51, 21, 1
	v_cmp_eq_u32_e64 s17, v31, v97
	v_add_nc_u32_e32 v50, -1, v96
	v_cndmask_b32_e64 v31, 0, v50, s17
	v_lshrrev_b32_e32 v50, 23, v51
	s_mov_b32 s17, exec_lo
	v_add_nc_u32_e32 v31, v31, v51
	v_xor_b32_e32 v50, 1, v50
	v_and_b32_e32 v9, 0x1fffff, v31
	v_add_nc_u32_e32 v31, v9, v51
                                        ; implicit-def: $vgpr9
	v_cmpx_ne_u32_e64 v37, v50
	s_xor_b32 s17, exec_lo, s17
; %bb.6469:                             ;   in Loop: Header=BB4_6082 Depth=3
	v_cmp_lt_u32_e32 vcc_lo, 0xffffff, v31
	v_sub_nc_u32_e32 v9, v37, v50
	v_cndmask_b32_e64 v37, 0, 1, vcc_lo
	v_add_co_ci_u32_e64 v9, null, 0, v9, vcc_lo
	v_lshrrev_b32_e32 v31, v37, v31
; %bb.6470:                             ;   in Loop: Header=BB4_6082 Depth=3
	s_andn2_saveexec_b32 s17, s17
; %bb.6471:                             ;   in Loop: Header=BB4_6082 Depth=3
	v_bfe_u32 v9, v31, 23, 1
; %bb.6472:                             ;   in Loop: Header=BB4_6082 Depth=3
	s_or_b32 exec_lo, exec_lo, s17
	v_lshrrev_b32_e32 v31, 21, v31
	v_min_i32_e32 v37, 31, v9
	v_cmp_gt_i32_e32 vcc_lo, 32, v9
	v_and_b32_sdwa v1, v1, v101 dst_sel:DWORD dst_unused:UNUSED_PAD src0_sel:BYTE_3 src1_sel:DWORD
	v_lshlrev_b32_e32 v37, 2, v37
	v_cndmask_b32_e32 v31, 3, v31, vcc_lo
	v_and_b32_e32 v37, 0xfc, v37
	v_and_b32_e32 v50, 3, v31
	v_or_b32_e32 v9, v9, v31
	v_or3_b32 v1, v1, v37, v50
	v_cmp_ne_u32_e32 vcc_lo, 0, v9
	v_lshlrev_b32_e32 v1, 8, v1
	v_cndmask_b32_e32 v9, 0, v1, vcc_lo
.LBB4_6473:                             ;   in Loop: Header=BB4_6082 Depth=3
	s_or_b32 exec_lo, exec_lo, s22
.LBB4_6474:                             ;   in Loop: Header=BB4_6082 Depth=3
	s_or_b32 exec_lo, exec_lo, s18
	v_or_b32_e32 v1, v72, v21
	s_mov_b32 s17, 0
	v_cmp_gt_i16_sdwa s18, v1, v100 src0_sel:BYTE_0 src1_sel:DWORD
	s_and_saveexec_b32 s22, s18
	s_xor_b32 s18, exec_lo, s22
	s_cbranch_execz .LBB4_6701
; %bb.6475:                             ;   in Loop: Header=BB4_6082 Depth=3
	v_cmp_eq_u16_sdwa s23, v1, v101 src0_sel:BYTE_0 src1_sel:DWORD
	s_mov_b32 s17, -1
	s_and_saveexec_b32 s22, s23
; %bb.6476:                             ;   in Loop: Header=BB4_6082 Depth=3
	s_xor_b32 s17, exec_lo, -1
; %bb.6477:                             ;   in Loop: Header=BB4_6082 Depth=3
	s_or_b32 exec_lo, exec_lo, s22
	s_and_b32 s17, s17, exec_lo
	s_or_saveexec_b32 s18, s18
	v_mov_b32_e32 v21, 0x7f800001
	s_xor_b32 exec_lo, exec_lo, s18
	s_cbranch_execnz .LBB4_6702
.LBB4_6478:                             ;   in Loop: Header=BB4_6082 Depth=3
	s_or_b32 exec_lo, exec_lo, s18
	s_and_saveexec_b32 s18, s17
	s_cbranch_execz .LBB4_6480
.LBB4_6479:                             ;   in Loop: Header=BB4_6082 Depth=3
	v_and_b32_e32 v21, 3, v1
	v_bfe_u32 v50, v1, 2, 5
	v_lshlrev_b32_e32 v51, 24, v1
	v_ffbh_u32_e32 v31, v21
	v_cmp_eq_u32_e32 vcc_lo, 0, v50
	v_min_u32_e32 v31, 32, v31
	v_subrev_nc_u32_e32 v37, 29, v31
	v_sub_nc_u32_e32 v31, 30, v31
	v_lshlrev_b32_e32 v37, v37, v1
	v_cndmask_b32_e32 v31, v50, v31, vcc_lo
	v_and_b32_e32 v37, 3, v37
	v_lshl_add_u32 v31, v31, 23, 0x37800000
	v_cndmask_b32_e32 v21, v21, v37, vcc_lo
	v_and_b32_e32 v37, 0x80000000, v51
	v_lshlrev_b32_e32 v21, 21, v21
	v_or3_b32 v21, v37, v31, v21
.LBB4_6480:                             ;   in Loop: Header=BB4_6082 Depth=3
	s_or_b32 exec_lo, exec_lo, s18
	v_cmp_gt_i16_sdwa s18, v10, v100 src0_sel:BYTE_0 src1_sel:DWORD
	s_mov_b32 s17, 0
	s_and_saveexec_b32 s22, s18
	s_xor_b32 s18, exec_lo, s22
	s_cbranch_execz .LBB4_6703
; %bb.6481:                             ;   in Loop: Header=BB4_6082 Depth=3
	v_cmp_eq_u16_sdwa s23, v10, v101 src0_sel:BYTE_0 src1_sel:DWORD
	s_mov_b32 s17, -1
	s_and_saveexec_b32 s22, s23
; %bb.6482:                             ;   in Loop: Header=BB4_6082 Depth=3
	s_xor_b32 s17, exec_lo, -1
; %bb.6483:                             ;   in Loop: Header=BB4_6082 Depth=3
	s_or_b32 exec_lo, exec_lo, s22
	s_and_b32 s17, s17, exec_lo
	s_or_saveexec_b32 s18, s18
	v_mov_b32_e32 v31, 0x7f800001
	s_xor_b32 exec_lo, exec_lo, s18
	s_cbranch_execnz .LBB4_6704
.LBB4_6484:                             ;   in Loop: Header=BB4_6082 Depth=3
	s_or_b32 exec_lo, exec_lo, s18
	s_and_saveexec_b32 s18, s17
	s_cbranch_execz .LBB4_6486
.LBB4_6485:                             ;   in Loop: Header=BB4_6082 Depth=3
	v_and_b32_e32 v31, 3, v10
	v_bfe_u32 v51, v10, 2, 5
	v_lshlrev_b32_e32 v96, 24, v10
	v_ffbh_u32_e32 v37, v31
	v_cmp_eq_u32_e32 vcc_lo, 0, v51
	v_min_u32_e32 v37, 32, v37
	v_subrev_nc_u32_e32 v50, 29, v37
	v_sub_nc_u32_e32 v37, 30, v37
	v_lshlrev_b32_e32 v50, v50, v10
	v_cndmask_b32_e32 v37, v51, v37, vcc_lo
	v_and_b32_e32 v50, 3, v50
	v_lshl_add_u32 v37, v37, 23, 0x37800000
	v_cndmask_b32_e32 v31, v31, v50, vcc_lo
	v_and_b32_e32 v50, 0x80000000, v96
	v_lshlrev_b32_e32 v31, 21, v31
	v_or3_b32 v31, v50, v37, v31
.LBB4_6486:                             ;   in Loop: Header=BB4_6082 Depth=3
	s_or_b32 exec_lo, exec_lo, s18
	v_add_f32_e32 v31, v21, v31
	v_and_b32_e32 v21, 0x7f800000, v31
	v_cmp_ne_u32_e32 vcc_lo, 0x7f800000, v21
	v_mov_b32_e32 v21, 0x80
	s_and_saveexec_b32 s18, vcc_lo
	s_cbranch_execz .LBB4_6494
; %bb.6487:                             ;   in Loop: Header=BB4_6082 Depth=3
	v_mov_b32_e32 v21, 0
	s_mov_b32 s22, exec_lo
	v_cmpx_ne_u32_e32 0, v31
	s_cbranch_execz .LBB4_6493
; %bb.6488:                             ;   in Loop: Header=BB4_6082 Depth=3
	v_bfe_u32 v21, v31, 23, 8
	v_and_b32_e32 v37, 0x7fffff, v31
	v_sub_nc_u32_e32 v50, 0x70, v21
	v_cmp_gt_u32_e32 vcc_lo, 0x71, v21
	v_or_b32_e32 v51, 0x800000, v37
	v_cndmask_b32_e32 v50, 0, v50, vcc_lo
	v_cmp_eq_u32_e32 vcc_lo, 0, v21
	v_add_nc_u32_e32 v21, 0xffffff91, v21
	v_cndmask_b32_e64 v50, v50, 0x6f, vcc_lo
	v_cndmask_b32_e32 v37, v51, v37, vcc_lo
	v_cndmask_b32_e64 v21, v21, 0xffffff92, vcc_lo
	v_lshl_add_u32 v51, 0x200000, v50, -1
	v_lshrrev_b32_e32 v96, v50, v37
	v_lshlrev_b32_e64 v115, v50, 0x100000
	v_add_nc_u32_e32 v50, v50, v21
	v_and_b32_e32 v37, v51, v37
	v_bfe_u32 v97, v96, 21, 1
	v_cmp_eq_u32_e64 s17, v37, v115
	v_add_nc_u32_e32 v51, -1, v97
	v_cndmask_b32_e64 v37, 0, v51, s17
	v_lshrrev_b32_e32 v51, 23, v96
	s_mov_b32 s17, exec_lo
	v_add_nc_u32_e32 v37, v37, v96
	v_xor_b32_e32 v51, 1, v51
	v_and_b32_e32 v21, 0x1fffff, v37
	v_add_nc_u32_e32 v37, v21, v96
                                        ; implicit-def: $vgpr21
	v_cmpx_ne_u32_e64 v50, v51
	s_xor_b32 s17, exec_lo, s17
; %bb.6489:                             ;   in Loop: Header=BB4_6082 Depth=3
	v_cmp_lt_u32_e32 vcc_lo, 0xffffff, v37
	v_sub_nc_u32_e32 v21, v50, v51
	v_cndmask_b32_e64 v50, 0, 1, vcc_lo
	v_add_co_ci_u32_e64 v21, null, 0, v21, vcc_lo
	v_lshrrev_b32_e32 v37, v50, v37
; %bb.6490:                             ;   in Loop: Header=BB4_6082 Depth=3
	s_andn2_saveexec_b32 s17, s17
; %bb.6491:                             ;   in Loop: Header=BB4_6082 Depth=3
	v_bfe_u32 v21, v37, 23, 1
; %bb.6492:                             ;   in Loop: Header=BB4_6082 Depth=3
	s_or_b32 exec_lo, exec_lo, s17
	v_lshrrev_b32_e32 v37, 21, v37
	v_min_i32_e32 v50, 31, v21
	v_cmp_gt_i32_e32 vcc_lo, 32, v21
	v_and_b32_sdwa v31, v31, v101 dst_sel:DWORD dst_unused:UNUSED_PAD src0_sel:BYTE_3 src1_sel:DWORD
	v_lshlrev_b32_e32 v50, 2, v50
	v_cndmask_b32_e32 v37, 3, v37, vcc_lo
	v_and_b32_e32 v50, 0xfc, v50
	v_and_b32_e32 v51, 3, v37
	v_or_b32_e32 v21, v21, v37
	v_or3_b32 v31, v50, v31, v51
	v_cmp_ne_u32_e32 vcc_lo, 0, v21
	v_cndmask_b32_e32 v21, 0, v31, vcc_lo
.LBB4_6493:                             ;   in Loop: Header=BB4_6082 Depth=3
	s_or_b32 exec_lo, exec_lo, s22
.LBB4_6494:                             ;   in Loop: Header=BB4_6082 Depth=3
	s_or_b32 exec_lo, exec_lo, s18
	v_cmp_gt_i16_sdwa s18, v1, v100 src0_sel:BYTE_1 src1_sel:DWORD
	s_mov_b32 s17, 0
	s_and_saveexec_b32 s22, s18
	s_xor_b32 s18, exec_lo, s22
	s_cbranch_execz .LBB4_6705
; %bb.6495:                             ;   in Loop: Header=BB4_6082 Depth=3
	v_cmp_eq_u16_sdwa s23, v1, v101 src0_sel:BYTE_1 src1_sel:DWORD
	s_mov_b32 s17, -1
	s_and_saveexec_b32 s22, s23
; %bb.6496:                             ;   in Loop: Header=BB4_6082 Depth=3
	s_xor_b32 s17, exec_lo, -1
; %bb.6497:                             ;   in Loop: Header=BB4_6082 Depth=3
	s_or_b32 exec_lo, exec_lo, s22
	s_and_b32 s17, s17, exec_lo
	s_or_saveexec_b32 s18, s18
	v_mov_b32_e32 v31, 0x7f800001
	s_xor_b32 exec_lo, exec_lo, s18
	s_cbranch_execnz .LBB4_6706
.LBB4_6498:                             ;   in Loop: Header=BB4_6082 Depth=3
	s_or_b32 exec_lo, exec_lo, s18
	s_and_saveexec_b32 s18, s17
	s_cbranch_execz .LBB4_6500
.LBB4_6499:                             ;   in Loop: Header=BB4_6082 Depth=3
	v_and_b32_sdwa v31, v102, v1 dst_sel:DWORD dst_unused:UNUSED_PAD src0_sel:DWORD src1_sel:BYTE_1
	v_and_b32_e32 v37, 3, v31
	v_bfe_u32 v96, v31, 2, 5
	v_ffbh_u32_e32 v50, v37
	v_cmp_eq_u32_e32 vcc_lo, 0, v96
	v_min_u32_e32 v50, 32, v50
	v_subrev_nc_u32_e32 v51, 29, v50
	v_sub_nc_u32_e32 v50, 30, v50
	v_lshlrev_b32_e32 v31, v51, v31
	v_lshlrev_b32_sdwa v51, v103, v1 dst_sel:DWORD dst_unused:UNUSED_PAD src0_sel:DWORD src1_sel:BYTE_1
	v_cndmask_b32_e32 v50, v96, v50, vcc_lo
	v_and_b32_e32 v31, 3, v31
	v_lshl_add_u32 v50, v50, 23, 0x37800000
	v_cndmask_b32_e32 v31, v37, v31, vcc_lo
	v_and_b32_e32 v37, 0x80000000, v51
	v_lshlrev_b32_e32 v31, 21, v31
	v_or3_b32 v31, v37, v50, v31
.LBB4_6500:                             ;   in Loop: Header=BB4_6082 Depth=3
	s_or_b32 exec_lo, exec_lo, s18
	v_cmp_gt_i16_sdwa s18, v10, v100 src0_sel:BYTE_1 src1_sel:DWORD
	s_mov_b32 s17, 0
	s_and_saveexec_b32 s22, s18
	s_xor_b32 s18, exec_lo, s22
	s_cbranch_execz .LBB4_6707
; %bb.6501:                             ;   in Loop: Header=BB4_6082 Depth=3
	v_cmp_eq_u16_sdwa s23, v10, v101 src0_sel:BYTE_1 src1_sel:DWORD
	s_mov_b32 s17, -1
	s_and_saveexec_b32 s22, s23
; %bb.6502:                             ;   in Loop: Header=BB4_6082 Depth=3
	s_xor_b32 s17, exec_lo, -1
; %bb.6503:                             ;   in Loop: Header=BB4_6082 Depth=3
	s_or_b32 exec_lo, exec_lo, s22
	s_and_b32 s17, s17, exec_lo
	s_or_saveexec_b32 s18, s18
	v_mov_b32_e32 v37, 0x7f800001
	s_xor_b32 exec_lo, exec_lo, s18
	s_cbranch_execnz .LBB4_6708
.LBB4_6504:                             ;   in Loop: Header=BB4_6082 Depth=3
	s_or_b32 exec_lo, exec_lo, s18
	s_and_saveexec_b32 s18, s17
	s_cbranch_execz .LBB4_6506
.LBB4_6505:                             ;   in Loop: Header=BB4_6082 Depth=3
	v_and_b32_sdwa v37, v102, v10 dst_sel:DWORD dst_unused:UNUSED_PAD src0_sel:DWORD src1_sel:BYTE_1
	v_and_b32_e32 v50, 3, v37
	v_bfe_u32 v97, v37, 2, 5
	v_ffbh_u32_e32 v51, v50
	v_cmp_eq_u32_e32 vcc_lo, 0, v97
	v_min_u32_e32 v51, 32, v51
	v_subrev_nc_u32_e32 v96, 29, v51
	v_sub_nc_u32_e32 v51, 30, v51
	v_lshlrev_b32_e32 v37, v96, v37
	v_lshlrev_b32_sdwa v96, v103, v10 dst_sel:DWORD dst_unused:UNUSED_PAD src0_sel:DWORD src1_sel:BYTE_1
	v_cndmask_b32_e32 v51, v97, v51, vcc_lo
	v_and_b32_e32 v37, 3, v37
	v_lshl_add_u32 v51, v51, 23, 0x37800000
	v_cndmask_b32_e32 v37, v50, v37, vcc_lo
	v_and_b32_e32 v50, 0x80000000, v96
	v_lshlrev_b32_e32 v37, 21, v37
	v_or3_b32 v37, v50, v51, v37
.LBB4_6506:                             ;   in Loop: Header=BB4_6082 Depth=3
	s_or_b32 exec_lo, exec_lo, s18
	v_add_f32_e32 v37, v31, v37
	v_and_b32_e32 v31, 0x7f800000, v37
	v_cmp_ne_u32_e32 vcc_lo, 0x7f800000, v31
	v_mov_b32_e32 v31, 0x8000
	s_and_saveexec_b32 s18, vcc_lo
	s_cbranch_execz .LBB4_6514
; %bb.6507:                             ;   in Loop: Header=BB4_6082 Depth=3
	v_mov_b32_e32 v31, 0
	s_mov_b32 s22, exec_lo
	v_cmpx_ne_u32_e32 0, v37
	s_cbranch_execz .LBB4_6513
; %bb.6508:                             ;   in Loop: Header=BB4_6082 Depth=3
	v_bfe_u32 v31, v37, 23, 8
	v_and_b32_e32 v50, 0x7fffff, v37
	v_sub_nc_u32_e32 v51, 0x70, v31
	v_cmp_gt_u32_e32 vcc_lo, 0x71, v31
	v_or_b32_e32 v96, 0x800000, v50
	v_cndmask_b32_e32 v51, 0, v51, vcc_lo
	v_cmp_eq_u32_e32 vcc_lo, 0, v31
	v_add_nc_u32_e32 v31, 0xffffff91, v31
	v_cndmask_b32_e64 v51, v51, 0x6f, vcc_lo
	v_cndmask_b32_e32 v50, v96, v50, vcc_lo
	v_cndmask_b32_e64 v31, v31, 0xffffff92, vcc_lo
	v_lshl_add_u32 v96, 0x200000, v51, -1
	v_lshrrev_b32_e32 v97, v51, v50
	v_lshlrev_b32_e64 v40, v51, 0x100000
	v_add_nc_u32_e32 v51, v51, v31
	v_and_b32_e32 v50, v96, v50
	v_bfe_u32 v115, v97, 21, 1
	v_cmp_eq_u32_e64 s17, v50, v40
	v_add_nc_u32_e32 v96, -1, v115
	v_cndmask_b32_e64 v50, 0, v96, s17
	v_lshrrev_b32_e32 v96, 23, v97
	s_mov_b32 s17, exec_lo
	v_add_nc_u32_e32 v50, v50, v97
	v_xor_b32_e32 v96, 1, v96
	v_and_b32_e32 v31, 0x1fffff, v50
	v_add_nc_u32_e32 v50, v31, v97
                                        ; implicit-def: $vgpr31
	v_cmpx_ne_u32_e64 v51, v96
	s_xor_b32 s17, exec_lo, s17
; %bb.6509:                             ;   in Loop: Header=BB4_6082 Depth=3
	v_cmp_lt_u32_e32 vcc_lo, 0xffffff, v50
	v_sub_nc_u32_e32 v31, v51, v96
	v_cndmask_b32_e64 v51, 0, 1, vcc_lo
	v_add_co_ci_u32_e64 v31, null, 0, v31, vcc_lo
	v_lshrrev_b32_e32 v50, v51, v50
; %bb.6510:                             ;   in Loop: Header=BB4_6082 Depth=3
	s_andn2_saveexec_b32 s17, s17
; %bb.6511:                             ;   in Loop: Header=BB4_6082 Depth=3
	v_bfe_u32 v31, v50, 23, 1
; %bb.6512:                             ;   in Loop: Header=BB4_6082 Depth=3
	s_or_b32 exec_lo, exec_lo, s17
	v_lshrrev_b32_e32 v50, 21, v50
	v_min_i32_e32 v51, 31, v31
	v_cmp_gt_i32_e32 vcc_lo, 32, v31
	v_and_b32_sdwa v37, v37, v101 dst_sel:DWORD dst_unused:UNUSED_PAD src0_sel:BYTE_3 src1_sel:DWORD
	v_lshlrev_b32_e32 v51, 2, v51
	v_cndmask_b32_e32 v50, 3, v50, vcc_lo
	v_and_b32_e32 v51, 0xfc, v51
	v_and_b32_e32 v96, 3, v50
	v_or_b32_e32 v31, v31, v50
	v_or3_b32 v37, v37, v51, v96
	v_cmp_ne_u32_e32 vcc_lo, 0, v31
	v_lshlrev_b32_e32 v37, 8, v37
	v_cndmask_b32_e32 v31, 0, v37, vcc_lo
.LBB4_6513:                             ;   in Loop: Header=BB4_6082 Depth=3
	s_or_b32 exec_lo, exec_lo, s22
.LBB4_6514:                             ;   in Loop: Header=BB4_6082 Depth=3
	s_or_b32 exec_lo, exec_lo, s18
	v_or_b32_e32 v4, v36, v4
	s_mov_b32 s17, 0
	v_cmp_gt_i16_sdwa s18, v4, v100 src0_sel:BYTE_0 src1_sel:DWORD
	s_and_saveexec_b32 s22, s18
	s_xor_b32 s18, exec_lo, s22
	s_cbranch_execz .LBB4_6709
; %bb.6515:                             ;   in Loop: Header=BB4_6082 Depth=3
	v_cmp_eq_u16_sdwa s23, v4, v101 src0_sel:BYTE_0 src1_sel:DWORD
	s_mov_b32 s17, -1
	s_and_saveexec_b32 s22, s23
; %bb.6516:                             ;   in Loop: Header=BB4_6082 Depth=3
	s_xor_b32 s17, exec_lo, -1
; %bb.6517:                             ;   in Loop: Header=BB4_6082 Depth=3
	s_or_b32 exec_lo, exec_lo, s22
	s_and_b32 s17, s17, exec_lo
	s_or_saveexec_b32 s18, s18
	v_mov_b32_e32 v36, 0x7f800001
	s_xor_b32 exec_lo, exec_lo, s18
	s_cbranch_execnz .LBB4_6710
.LBB4_6518:                             ;   in Loop: Header=BB4_6082 Depth=3
	s_or_b32 exec_lo, exec_lo, s18
	v_lshl_or_b32 v4, v4, 16, v1
	s_and_saveexec_b32 s18, s17
	s_cbranch_execz .LBB4_6520
.LBB4_6519:                             ;   in Loop: Header=BB4_6082 Depth=3
	v_bfe_u32 v1, v4, 16, 2
	v_bfe_u32 v50, v4, 18, 5
	v_lshlrev_b32_e32 v51, 8, v4
	v_ffbh_u32_e32 v36, v1
	v_cmp_eq_u32_e32 vcc_lo, 0, v50
	v_min_u32_e32 v36, 32, v36
	v_subrev_nc_u32_e32 v37, 29, v36
	v_sub_nc_u32_e32 v36, 30, v36
	v_lshlrev_b32_sdwa v37, v37, v4 dst_sel:DWORD dst_unused:UNUSED_PAD src0_sel:DWORD src1_sel:WORD_1
	v_cndmask_b32_e32 v36, v50, v36, vcc_lo
	v_and_b32_e32 v37, 3, v37
	v_lshl_add_u32 v36, v36, 23, 0x37800000
	v_cndmask_b32_e32 v1, v1, v37, vcc_lo
	v_and_b32_e32 v37, 0x80000000, v51
	v_lshlrev_b32_e32 v1, 21, v1
	v_or3_b32 v36, v37, v36, v1
.LBB4_6520:                             ;   in Loop: Header=BB4_6082 Depth=3
	s_or_b32 exec_lo, exec_lo, s18
	v_and_b32_sdwa v37, v10, v112 dst_sel:DWORD dst_unused:UNUSED_PAD src0_sel:WORD_1 src1_sel:DWORD
	s_mov_b32 s17, 0
	s_mov_b32 s18, exec_lo
	v_cmpx_lt_i16_e32 0x7f, v37
	s_xor_b32 s18, exec_lo, s18
	s_cbranch_execz .LBB4_6711
; %bb.6521:                             ;   in Loop: Header=BB4_6082 Depth=3
	s_mov_b32 s17, -1
	s_mov_b32 s22, exec_lo
	v_cmpx_eq_u16_e32 0x80, v37
; %bb.6522:                             ;   in Loop: Header=BB4_6082 Depth=3
	s_xor_b32 s17, exec_lo, -1
; %bb.6523:                             ;   in Loop: Header=BB4_6082 Depth=3
	s_or_b32 exec_lo, exec_lo, s22
	s_and_b32 s17, s17, exec_lo
                                        ; implicit-def: $vgpr37
	s_or_saveexec_b32 s18, s18
	v_mov_b32_e32 v1, 0x7f800001
	s_xor_b32 exec_lo, exec_lo, s18
	s_cbranch_execnz .LBB4_6712
.LBB4_6524:                             ;   in Loop: Header=BB4_6082 Depth=3
	s_or_b32 exec_lo, exec_lo, s18
	s_and_saveexec_b32 s18, s17
	s_cbranch_execz .LBB4_6526
.LBB4_6525:                             ;   in Loop: Header=BB4_6082 Depth=3
	v_and_b32_sdwa v1, v10, v114 dst_sel:DWORD dst_unused:UNUSED_PAD src0_sel:WORD_1 src1_sel:DWORD
	v_bfe_u32 v51, v10, 18, 5
	v_lshlrev_b32_sdwa v96, v103, v10 dst_sel:DWORD dst_unused:UNUSED_PAD src0_sel:DWORD src1_sel:WORD_1
	v_ffbh_u32_e32 v37, v1
	v_cmp_eq_u32_e32 vcc_lo, 0, v51
	v_min_u32_e32 v37, 32, v37
	v_subrev_nc_u32_e32 v50, 29, v37
	v_sub_nc_u32_e32 v37, 30, v37
	v_lshlrev_b32_sdwa v50, v50, v10 dst_sel:DWORD dst_unused:UNUSED_PAD src0_sel:DWORD src1_sel:WORD_1
	v_cndmask_b32_e32 v37, v51, v37, vcc_lo
	v_and_b32_e32 v50, 3, v50
	v_lshl_add_u32 v37, v37, 23, 0x37800000
	v_cndmask_b32_e32 v1, v1, v50, vcc_lo
	v_and_b32_e32 v50, 0x80000000, v96
	v_lshlrev_b32_e32 v1, 21, v1
	v_or3_b32 v1, v50, v37, v1
.LBB4_6526:                             ;   in Loop: Header=BB4_6082 Depth=3
	s_or_b32 exec_lo, exec_lo, s18
	v_add_f32_e32 v36, v36, v1
	v_and_b32_e32 v1, 0x7f800000, v36
	v_cmp_ne_u32_e32 vcc_lo, 0x7f800000, v1
	v_mov_b32_e32 v1, 0x80
	s_and_saveexec_b32 s18, vcc_lo
	s_cbranch_execz .LBB4_6534
; %bb.6527:                             ;   in Loop: Header=BB4_6082 Depth=3
	v_mov_b32_e32 v1, 0
	s_mov_b32 s22, exec_lo
	v_cmpx_ne_u32_e32 0, v36
	s_cbranch_execz .LBB4_6533
; %bb.6528:                             ;   in Loop: Header=BB4_6082 Depth=3
	v_bfe_u32 v1, v36, 23, 8
	v_and_b32_e32 v37, 0x7fffff, v36
	v_sub_nc_u32_e32 v50, 0x70, v1
	v_cmp_gt_u32_e32 vcc_lo, 0x71, v1
	v_or_b32_e32 v51, 0x800000, v37
	v_cndmask_b32_e32 v50, 0, v50, vcc_lo
	v_cmp_eq_u32_e32 vcc_lo, 0, v1
	v_add_nc_u32_e32 v1, 0xffffff91, v1
	v_cndmask_b32_e64 v50, v50, 0x6f, vcc_lo
	v_cndmask_b32_e32 v37, v51, v37, vcc_lo
	v_cndmask_b32_e64 v1, v1, 0xffffff92, vcc_lo
	v_lshl_add_u32 v51, 0x200000, v50, -1
	v_lshrrev_b32_e32 v96, v50, v37
	v_lshlrev_b32_e64 v115, v50, 0x100000
	v_add_nc_u32_e32 v50, v50, v1
	v_and_b32_e32 v37, v51, v37
	v_bfe_u32 v97, v96, 21, 1
	v_cmp_eq_u32_e64 s17, v37, v115
	v_add_nc_u32_e32 v51, -1, v97
	v_cndmask_b32_e64 v37, 0, v51, s17
	v_lshrrev_b32_e32 v51, 23, v96
	s_mov_b32 s17, exec_lo
	v_add_nc_u32_e32 v37, v37, v96
	v_xor_b32_e32 v51, 1, v51
	v_and_b32_e32 v1, 0x1fffff, v37
	v_add_nc_u32_e32 v37, v1, v96
                                        ; implicit-def: $vgpr1
	v_cmpx_ne_u32_e64 v50, v51
	s_xor_b32 s17, exec_lo, s17
; %bb.6529:                             ;   in Loop: Header=BB4_6082 Depth=3
	v_cmp_lt_u32_e32 vcc_lo, 0xffffff, v37
	v_sub_nc_u32_e32 v1, v50, v51
	v_cndmask_b32_e64 v50, 0, 1, vcc_lo
	v_add_co_ci_u32_e64 v1, null, 0, v1, vcc_lo
	v_lshrrev_b32_e32 v37, v50, v37
; %bb.6530:                             ;   in Loop: Header=BB4_6082 Depth=3
	s_andn2_saveexec_b32 s17, s17
; %bb.6531:                             ;   in Loop: Header=BB4_6082 Depth=3
	v_bfe_u32 v1, v37, 23, 1
; %bb.6532:                             ;   in Loop: Header=BB4_6082 Depth=3
	s_or_b32 exec_lo, exec_lo, s17
	v_lshrrev_b32_e32 v37, 21, v37
	v_min_i32_e32 v50, 31, v1
	v_cmp_gt_i32_e32 vcc_lo, 32, v1
	v_and_b32_sdwa v36, v36, v101 dst_sel:DWORD dst_unused:UNUSED_PAD src0_sel:BYTE_3 src1_sel:DWORD
	v_lshlrev_b32_e32 v50, 2, v50
	v_cndmask_b32_e32 v37, 3, v37, vcc_lo
	v_and_b32_e32 v50, 0xfc, v50
	v_and_b32_e32 v51, 3, v37
	v_or_b32_e32 v1, v1, v37
	v_or3_b32 v36, v50, v36, v51
	v_cmp_ne_u32_e32 vcc_lo, 0, v1
	v_cndmask_b32_e32 v1, 0, v36, vcc_lo
.LBB4_6533:                             ;   in Loop: Header=BB4_6082 Depth=3
	s_or_b32 exec_lo, exec_lo, s22
.LBB4_6534:                             ;   in Loop: Header=BB4_6082 Depth=3
	s_or_b32 exec_lo, exec_lo, s18
	v_cmp_gt_i16_sdwa s18, v4, v100 src0_sel:BYTE_3 src1_sel:DWORD
	s_mov_b32 s17, 0
	s_and_saveexec_b32 s22, s18
	s_xor_b32 s18, exec_lo, s22
	s_cbranch_execz .LBB4_6713
; %bb.6535:                             ;   in Loop: Header=BB4_6082 Depth=3
	v_cmp_eq_u16_sdwa s23, v4, v101 src0_sel:BYTE_3 src1_sel:DWORD
	s_mov_b32 s17, -1
	s_and_saveexec_b32 s22, s23
; %bb.6536:                             ;   in Loop: Header=BB4_6082 Depth=3
	s_xor_b32 s17, exec_lo, -1
; %bb.6537:                             ;   in Loop: Header=BB4_6082 Depth=3
	s_or_b32 exec_lo, exec_lo, s22
	s_and_b32 s17, s17, exec_lo
	s_or_saveexec_b32 s18, s18
	v_mov_b32_e32 v36, 0x7f800001
	s_xor_b32 exec_lo, exec_lo, s18
	s_cbranch_execnz .LBB4_6714
.LBB4_6538:                             ;   in Loop: Header=BB4_6082 Depth=3
	s_or_b32 exec_lo, exec_lo, s18
	s_and_saveexec_b32 s18, s17
	s_cbranch_execz .LBB4_6540
.LBB4_6539:                             ;   in Loop: Header=BB4_6082 Depth=3
	v_bfe_u32 v36, v4, 24, 2
	v_bfe_u32 v51, v4, 26, 5
	v_ffbh_u32_e32 v37, v36
	v_cmp_eq_u32_e32 vcc_lo, 0, v51
	v_min_u32_e32 v37, 32, v37
	v_subrev_nc_u32_e32 v50, 29, v37
	v_sub_nc_u32_e32 v37, 30, v37
	v_lshlrev_b32_sdwa v50, v50, v4 dst_sel:DWORD dst_unused:UNUSED_PAD src0_sel:DWORD src1_sel:BYTE_3
	v_cndmask_b32_e32 v37, v51, v37, vcc_lo
	v_and_b32_e32 v4, 0x80000000, v4
	v_and_b32_e32 v50, 3, v50
	v_lshl_add_u32 v37, v37, 23, 0x37800000
	v_cndmask_b32_e32 v36, v36, v50, vcc_lo
	v_lshlrev_b32_e32 v36, 21, v36
	v_or3_b32 v36, v4, v37, v36
.LBB4_6540:                             ;   in Loop: Header=BB4_6082 Depth=3
	s_or_b32 exec_lo, exec_lo, s18
	v_cmp_gt_i16_sdwa s18, v10, v100 src0_sel:BYTE_3 src1_sel:DWORD
	s_mov_b32 s17, 0
	s_and_saveexec_b32 s22, s18
	s_xor_b32 s18, exec_lo, s22
	s_cbranch_execz .LBB4_6715
; %bb.6541:                             ;   in Loop: Header=BB4_6082 Depth=3
	v_cmp_eq_u16_sdwa s23, v10, v101 src0_sel:BYTE_3 src1_sel:DWORD
	s_mov_b32 s17, -1
	s_and_saveexec_b32 s22, s23
; %bb.6542:                             ;   in Loop: Header=BB4_6082 Depth=3
	s_xor_b32 s17, exec_lo, -1
; %bb.6543:                             ;   in Loop: Header=BB4_6082 Depth=3
	s_or_b32 exec_lo, exec_lo, s22
	s_and_b32 s17, s17, exec_lo
	s_or_saveexec_b32 s18, s18
	v_mov_b32_e32 v4, 0x7f800001
	s_xor_b32 exec_lo, exec_lo, s18
	s_cbranch_execnz .LBB4_6716
.LBB4_6544:                             ;   in Loop: Header=BB4_6082 Depth=3
	s_or_b32 exec_lo, exec_lo, s18
	s_and_saveexec_b32 s18, s17
	s_cbranch_execz .LBB4_6546
.LBB4_6545:                             ;   in Loop: Header=BB4_6082 Depth=3
	v_and_b32_sdwa v4, v10, v114 dst_sel:DWORD dst_unused:UNUSED_PAD src0_sel:BYTE_3 src1_sel:DWORD
	v_bfe_u32 v51, v10, 26, 5
	v_ffbh_u32_e32 v37, v4
	v_cmp_eq_u32_e32 vcc_lo, 0, v51
	v_min_u32_e32 v37, 32, v37
	v_subrev_nc_u32_e32 v50, 29, v37
	v_sub_nc_u32_e32 v37, 30, v37
	v_lshlrev_b32_sdwa v50, v50, v10 dst_sel:DWORD dst_unused:UNUSED_PAD src0_sel:DWORD src1_sel:BYTE_3
	v_cndmask_b32_e32 v37, v51, v37, vcc_lo
	v_and_b32_e32 v10, 0x80000000, v10
	v_and_b32_e32 v50, 3, v50
	v_lshl_add_u32 v37, v37, 23, 0x37800000
	v_cndmask_b32_e32 v4, v4, v50, vcc_lo
	v_lshlrev_b32_e32 v4, 21, v4
	v_or3_b32 v4, v10, v37, v4
.LBB4_6546:                             ;   in Loop: Header=BB4_6082 Depth=3
	s_or_b32 exec_lo, exec_lo, s18
	v_add_f32_e32 v10, v36, v4
	v_and_b32_e32 v4, 0x7f800000, v10
	v_cmp_ne_u32_e32 vcc_lo, 0x7f800000, v4
	v_mov_b32_e32 v4, 0x8000
	s_and_saveexec_b32 s18, vcc_lo
	s_cbranch_execz .LBB4_6554
; %bb.6547:                             ;   in Loop: Header=BB4_6082 Depth=3
	v_mov_b32_e32 v4, 0
	s_mov_b32 s22, exec_lo
	v_cmpx_ne_u32_e32 0, v10
	s_cbranch_execz .LBB4_6553
; %bb.6548:                             ;   in Loop: Header=BB4_6082 Depth=3
	v_bfe_u32 v4, v10, 23, 8
	v_and_b32_e32 v36, 0x7fffff, v10
	v_sub_nc_u32_e32 v37, 0x70, v4
	v_cmp_gt_u32_e32 vcc_lo, 0x71, v4
	v_or_b32_e32 v50, 0x800000, v36
	v_cndmask_b32_e32 v37, 0, v37, vcc_lo
	v_cmp_eq_u32_e32 vcc_lo, 0, v4
	v_add_nc_u32_e32 v4, 0xffffff91, v4
	v_cndmask_b32_e64 v37, v37, 0x6f, vcc_lo
	v_cndmask_b32_e32 v36, v50, v36, vcc_lo
	v_cndmask_b32_e64 v4, v4, 0xffffff92, vcc_lo
	v_lshl_add_u32 v50, 0x200000, v37, -1
	v_lshrrev_b32_e32 v51, v37, v36
	v_lshlrev_b32_e64 v97, v37, 0x100000
	v_add_nc_u32_e32 v37, v37, v4
	v_and_b32_e32 v36, v50, v36
	v_bfe_u32 v96, v51, 21, 1
	v_cmp_eq_u32_e64 s17, v36, v97
	v_add_nc_u32_e32 v50, -1, v96
	v_cndmask_b32_e64 v36, 0, v50, s17
	v_lshrrev_b32_e32 v50, 23, v51
	s_mov_b32 s17, exec_lo
	v_add_nc_u32_e32 v36, v36, v51
	v_xor_b32_e32 v50, 1, v50
	v_and_b32_e32 v4, 0x1fffff, v36
	v_add_nc_u32_e32 v36, v4, v51
                                        ; implicit-def: $vgpr4
	v_cmpx_ne_u32_e64 v37, v50
	s_xor_b32 s17, exec_lo, s17
; %bb.6549:                             ;   in Loop: Header=BB4_6082 Depth=3
	v_cmp_lt_u32_e32 vcc_lo, 0xffffff, v36
	v_sub_nc_u32_e32 v4, v37, v50
	v_cndmask_b32_e64 v37, 0, 1, vcc_lo
	v_add_co_ci_u32_e64 v4, null, 0, v4, vcc_lo
	v_lshrrev_b32_e32 v36, v37, v36
; %bb.6550:                             ;   in Loop: Header=BB4_6082 Depth=3
	s_andn2_saveexec_b32 s17, s17
; %bb.6551:                             ;   in Loop: Header=BB4_6082 Depth=3
	v_bfe_u32 v4, v36, 23, 1
; %bb.6552:                             ;   in Loop: Header=BB4_6082 Depth=3
	s_or_b32 exec_lo, exec_lo, s17
	v_lshrrev_b32_e32 v36, 21, v36
	v_min_i32_e32 v37, 31, v4
	v_cmp_gt_i32_e32 vcc_lo, 32, v4
	v_and_b32_sdwa v10, v10, v101 dst_sel:DWORD dst_unused:UNUSED_PAD src0_sel:BYTE_3 src1_sel:DWORD
	v_lshlrev_b32_e32 v37, 2, v37
	v_cndmask_b32_e32 v36, 3, v36, vcc_lo
	v_and_b32_e32 v37, 0xfc, v37
	v_and_b32_e32 v50, 3, v36
	v_or_b32_e32 v4, v4, v36
	v_or3_b32 v10, v10, v37, v50
	v_cmp_ne_u32_e32 vcc_lo, 0, v4
	v_lshlrev_b32_e32 v10, 8, v10
	v_cndmask_b32_e32 v4, 0, v10, vcc_lo
.LBB4_6553:                             ;   in Loop: Header=BB4_6082 Depth=3
	s_or_b32 exec_lo, exec_lo, s22
.LBB4_6554:                             ;   in Loop: Header=BB4_6082 Depth=3
	s_or_b32 exec_lo, exec_lo, s18
	v_or_b32_e32 v10, v5, v18
	s_mov_b32 s17, 0
	v_cmp_gt_i16_sdwa s18, v10, v100 src0_sel:BYTE_0 src1_sel:DWORD
	s_and_saveexec_b32 s22, s18
	s_xor_b32 s18, exec_lo, s22
	s_cbranch_execz .LBB4_6717
; %bb.6555:                             ;   in Loop: Header=BB4_6082 Depth=3
	v_cmp_eq_u16_sdwa s23, v10, v101 src0_sel:BYTE_0 src1_sel:DWORD
	s_mov_b32 s17, -1
	s_and_saveexec_b32 s22, s23
; %bb.6556:                             ;   in Loop: Header=BB4_6082 Depth=3
	s_xor_b32 s17, exec_lo, -1
; %bb.6557:                             ;   in Loop: Header=BB4_6082 Depth=3
	s_or_b32 exec_lo, exec_lo, s22
	s_and_b32 s17, s17, exec_lo
	s_or_saveexec_b32 s18, s18
	v_mov_b32_e32 v5, 0x7f800001
	s_xor_b32 exec_lo, exec_lo, s18
	s_cbranch_execnz .LBB4_6718
.LBB4_6558:                             ;   in Loop: Header=BB4_6082 Depth=3
	s_or_b32 exec_lo, exec_lo, s18
	s_and_saveexec_b32 s18, s17
	s_cbranch_execz .LBB4_6560
.LBB4_6559:                             ;   in Loop: Header=BB4_6082 Depth=3
	v_and_b32_e32 v5, 3, v10
	v_bfe_u32 v37, v10, 2, 5
	v_lshlrev_b32_e32 v50, 24, v10
	v_ffbh_u32_e32 v18, v5
	v_cmp_eq_u32_e32 vcc_lo, 0, v37
	v_min_u32_e32 v18, 32, v18
	v_subrev_nc_u32_e32 v36, 29, v18
	v_sub_nc_u32_e32 v18, 30, v18
	v_lshlrev_b32_e32 v36, v36, v10
	v_cndmask_b32_e32 v18, v37, v18, vcc_lo
	v_and_b32_e32 v36, 3, v36
	v_lshl_add_u32 v18, v18, 23, 0x37800000
	v_cndmask_b32_e32 v5, v5, v36, vcc_lo
	v_and_b32_e32 v36, 0x80000000, v50
	v_lshlrev_b32_e32 v5, 21, v5
	v_or3_b32 v5, v36, v18, v5
.LBB4_6560:                             ;   in Loop: Header=BB4_6082 Depth=3
	s_or_b32 exec_lo, exec_lo, s18
	v_cmp_gt_i16_sdwa s18, v11, v100 src0_sel:BYTE_0 src1_sel:DWORD
	s_mov_b32 s17, 0
	s_and_saveexec_b32 s22, s18
	s_xor_b32 s18, exec_lo, s22
	s_cbranch_execz .LBB4_6719
; %bb.6561:                             ;   in Loop: Header=BB4_6082 Depth=3
	v_cmp_eq_u16_sdwa s23, v11, v101 src0_sel:BYTE_0 src1_sel:DWORD
	s_mov_b32 s17, -1
	s_and_saveexec_b32 s22, s23
; %bb.6562:                             ;   in Loop: Header=BB4_6082 Depth=3
	s_xor_b32 s17, exec_lo, -1
; %bb.6563:                             ;   in Loop: Header=BB4_6082 Depth=3
	s_or_b32 exec_lo, exec_lo, s22
	s_and_b32 s17, s17, exec_lo
	s_or_saveexec_b32 s18, s18
	v_mov_b32_e32 v18, 0x7f800001
	s_xor_b32 exec_lo, exec_lo, s18
	s_cbranch_execnz .LBB4_6720
.LBB4_6564:                             ;   in Loop: Header=BB4_6082 Depth=3
	s_or_b32 exec_lo, exec_lo, s18
	s_and_saveexec_b32 s18, s17
	s_cbranch_execz .LBB4_6566
.LBB4_6565:                             ;   in Loop: Header=BB4_6082 Depth=3
	v_and_b32_e32 v18, 3, v11
	v_bfe_u32 v50, v11, 2, 5
	v_lshlrev_b32_e32 v51, 24, v11
	v_ffbh_u32_e32 v36, v18
	v_cmp_eq_u32_e32 vcc_lo, 0, v50
	v_min_u32_e32 v36, 32, v36
	v_subrev_nc_u32_e32 v37, 29, v36
	v_sub_nc_u32_e32 v36, 30, v36
	v_lshlrev_b32_e32 v37, v37, v11
	v_cndmask_b32_e32 v36, v50, v36, vcc_lo
	v_and_b32_e32 v37, 3, v37
	v_lshl_add_u32 v36, v36, 23, 0x37800000
	v_cndmask_b32_e32 v18, v18, v37, vcc_lo
	v_and_b32_e32 v37, 0x80000000, v51
	v_lshlrev_b32_e32 v18, 21, v18
	v_or3_b32 v18, v37, v36, v18
.LBB4_6566:                             ;   in Loop: Header=BB4_6082 Depth=3
	s_or_b32 exec_lo, exec_lo, s18
	v_add_f32_e32 v18, v5, v18
	v_and_b32_e32 v5, 0x7f800000, v18
	v_cmp_ne_u32_e32 vcc_lo, 0x7f800000, v5
	v_mov_b32_e32 v5, 0x80
	s_and_saveexec_b32 s18, vcc_lo
	s_cbranch_execz .LBB4_6574
; %bb.6567:                             ;   in Loop: Header=BB4_6082 Depth=3
	v_mov_b32_e32 v5, 0
	s_mov_b32 s22, exec_lo
	v_cmpx_ne_u32_e32 0, v18
	s_cbranch_execz .LBB4_6573
; %bb.6568:                             ;   in Loop: Header=BB4_6082 Depth=3
	v_bfe_u32 v5, v18, 23, 8
	v_and_b32_e32 v36, 0x7fffff, v18
	v_sub_nc_u32_e32 v37, 0x70, v5
	v_cmp_gt_u32_e32 vcc_lo, 0x71, v5
	v_or_b32_e32 v50, 0x800000, v36
	v_cndmask_b32_e32 v37, 0, v37, vcc_lo
	v_cmp_eq_u32_e32 vcc_lo, 0, v5
	v_add_nc_u32_e32 v5, 0xffffff91, v5
	v_cndmask_b32_e64 v37, v37, 0x6f, vcc_lo
	v_cndmask_b32_e32 v36, v50, v36, vcc_lo
	v_cndmask_b32_e64 v5, v5, 0xffffff92, vcc_lo
	v_lshl_add_u32 v50, 0x200000, v37, -1
	v_lshrrev_b32_e32 v51, v37, v36
	v_lshlrev_b32_e64 v97, v37, 0x100000
	v_add_nc_u32_e32 v37, v37, v5
	v_and_b32_e32 v36, v50, v36
	v_bfe_u32 v96, v51, 21, 1
	v_cmp_eq_u32_e64 s17, v36, v97
	v_add_nc_u32_e32 v50, -1, v96
	v_cndmask_b32_e64 v36, 0, v50, s17
	v_lshrrev_b32_e32 v50, 23, v51
	s_mov_b32 s17, exec_lo
	v_add_nc_u32_e32 v36, v36, v51
	v_xor_b32_e32 v50, 1, v50
	v_and_b32_e32 v5, 0x1fffff, v36
	v_add_nc_u32_e32 v36, v5, v51
                                        ; implicit-def: $vgpr5
	v_cmpx_ne_u32_e64 v37, v50
	s_xor_b32 s17, exec_lo, s17
; %bb.6569:                             ;   in Loop: Header=BB4_6082 Depth=3
	v_cmp_lt_u32_e32 vcc_lo, 0xffffff, v36
	v_sub_nc_u32_e32 v5, v37, v50
	v_cndmask_b32_e64 v37, 0, 1, vcc_lo
	v_add_co_ci_u32_e64 v5, null, 0, v5, vcc_lo
	v_lshrrev_b32_e32 v36, v37, v36
; %bb.6570:                             ;   in Loop: Header=BB4_6082 Depth=3
	s_andn2_saveexec_b32 s17, s17
; %bb.6571:                             ;   in Loop: Header=BB4_6082 Depth=3
	v_bfe_u32 v5, v36, 23, 1
; %bb.6572:                             ;   in Loop: Header=BB4_6082 Depth=3
	s_or_b32 exec_lo, exec_lo, s17
	v_lshrrev_b32_e32 v36, 21, v36
	v_min_i32_e32 v37, 31, v5
	v_cmp_gt_i32_e32 vcc_lo, 32, v5
	v_and_b32_sdwa v18, v18, v101 dst_sel:DWORD dst_unused:UNUSED_PAD src0_sel:BYTE_3 src1_sel:DWORD
	v_lshlrev_b32_e32 v37, 2, v37
	v_cndmask_b32_e32 v36, 3, v36, vcc_lo
	v_and_b32_e32 v37, 0xfc, v37
	v_and_b32_e32 v50, 3, v36
	v_or_b32_e32 v5, v5, v36
	v_or3_b32 v18, v37, v18, v50
	v_cmp_ne_u32_e32 vcc_lo, 0, v5
	v_cndmask_b32_e32 v5, 0, v18, vcc_lo
.LBB4_6573:                             ;   in Loop: Header=BB4_6082 Depth=3
	s_or_b32 exec_lo, exec_lo, s22
.LBB4_6574:                             ;   in Loop: Header=BB4_6082 Depth=3
	s_or_b32 exec_lo, exec_lo, s18
	v_cmp_gt_i16_sdwa s18, v10, v100 src0_sel:BYTE_1 src1_sel:DWORD
	s_mov_b32 s17, 0
	s_and_saveexec_b32 s22, s18
	s_xor_b32 s18, exec_lo, s22
	s_cbranch_execz .LBB4_6721
; %bb.6575:                             ;   in Loop: Header=BB4_6082 Depth=3
	v_cmp_eq_u16_sdwa s23, v10, v101 src0_sel:BYTE_1 src1_sel:DWORD
	s_mov_b32 s17, -1
	s_and_saveexec_b32 s22, s23
; %bb.6576:                             ;   in Loop: Header=BB4_6082 Depth=3
	s_xor_b32 s17, exec_lo, -1
; %bb.6577:                             ;   in Loop: Header=BB4_6082 Depth=3
	s_or_b32 exec_lo, exec_lo, s22
	s_and_b32 s17, s17, exec_lo
	s_or_saveexec_b32 s18, s18
	v_mov_b32_e32 v18, 0x7f800001
	s_xor_b32 exec_lo, exec_lo, s18
	s_cbranch_execnz .LBB4_6722
.LBB4_6578:                             ;   in Loop: Header=BB4_6082 Depth=3
	s_or_b32 exec_lo, exec_lo, s18
	s_and_saveexec_b32 s18, s17
	s_cbranch_execz .LBB4_6580
.LBB4_6579:                             ;   in Loop: Header=BB4_6082 Depth=3
	v_and_b32_sdwa v18, v102, v10 dst_sel:DWORD dst_unused:UNUSED_PAD src0_sel:DWORD src1_sel:BYTE_1
	v_and_b32_e32 v36, 3, v18
	v_bfe_u32 v51, v18, 2, 5
	v_ffbh_u32_e32 v37, v36
	v_cmp_eq_u32_e32 vcc_lo, 0, v51
	v_min_u32_e32 v37, 32, v37
	v_subrev_nc_u32_e32 v50, 29, v37
	v_sub_nc_u32_e32 v37, 30, v37
	v_lshlrev_b32_e32 v18, v50, v18
	v_lshlrev_b32_sdwa v50, v103, v10 dst_sel:DWORD dst_unused:UNUSED_PAD src0_sel:DWORD src1_sel:BYTE_1
	v_cndmask_b32_e32 v37, v51, v37, vcc_lo
	v_and_b32_e32 v18, 3, v18
	v_lshl_add_u32 v37, v37, 23, 0x37800000
	v_cndmask_b32_e32 v18, v36, v18, vcc_lo
	v_and_b32_e32 v36, 0x80000000, v50
	v_lshlrev_b32_e32 v18, 21, v18
	v_or3_b32 v18, v36, v37, v18
.LBB4_6580:                             ;   in Loop: Header=BB4_6082 Depth=3
	s_or_b32 exec_lo, exec_lo, s18
	v_cmp_gt_i16_sdwa s18, v11, v100 src0_sel:BYTE_1 src1_sel:DWORD
	s_mov_b32 s17, 0
	s_and_saveexec_b32 s22, s18
	s_xor_b32 s18, exec_lo, s22
	s_cbranch_execz .LBB4_6723
; %bb.6581:                             ;   in Loop: Header=BB4_6082 Depth=3
	v_cmp_eq_u16_sdwa s23, v11, v101 src0_sel:BYTE_1 src1_sel:DWORD
	s_mov_b32 s17, -1
	s_and_saveexec_b32 s22, s23
; %bb.6582:                             ;   in Loop: Header=BB4_6082 Depth=3
	s_xor_b32 s17, exec_lo, -1
; %bb.6583:                             ;   in Loop: Header=BB4_6082 Depth=3
	s_or_b32 exec_lo, exec_lo, s22
	s_and_b32 s17, s17, exec_lo
	s_or_saveexec_b32 s18, s18
	v_mov_b32_e32 v36, 0x7f800001
	s_xor_b32 exec_lo, exec_lo, s18
	s_cbranch_execnz .LBB4_6724
.LBB4_6584:                             ;   in Loop: Header=BB4_6082 Depth=3
	s_or_b32 exec_lo, exec_lo, s18
	s_and_saveexec_b32 s18, s17
	s_cbranch_execz .LBB4_6586
.LBB4_6585:                             ;   in Loop: Header=BB4_6082 Depth=3
	v_and_b32_sdwa v36, v102, v11 dst_sel:DWORD dst_unused:UNUSED_PAD src0_sel:DWORD src1_sel:BYTE_1
	v_and_b32_e32 v37, 3, v36
	v_bfe_u32 v96, v36, 2, 5
	v_ffbh_u32_e32 v50, v37
	v_cmp_eq_u32_e32 vcc_lo, 0, v96
	v_min_u32_e32 v50, 32, v50
	v_subrev_nc_u32_e32 v51, 29, v50
	v_sub_nc_u32_e32 v50, 30, v50
	v_lshlrev_b32_e32 v36, v51, v36
	v_lshlrev_b32_sdwa v51, v103, v11 dst_sel:DWORD dst_unused:UNUSED_PAD src0_sel:DWORD src1_sel:BYTE_1
	v_cndmask_b32_e32 v50, v96, v50, vcc_lo
	v_and_b32_e32 v36, 3, v36
	v_lshl_add_u32 v50, v50, 23, 0x37800000
	v_cndmask_b32_e32 v36, v37, v36, vcc_lo
	v_and_b32_e32 v37, 0x80000000, v51
	v_lshlrev_b32_e32 v36, 21, v36
	v_or3_b32 v36, v37, v50, v36
.LBB4_6586:                             ;   in Loop: Header=BB4_6082 Depth=3
	s_or_b32 exec_lo, exec_lo, s18
	v_add_f32_e32 v36, v18, v36
	v_and_b32_e32 v18, 0x7f800000, v36
	v_cmp_ne_u32_e32 vcc_lo, 0x7f800000, v18
	v_mov_b32_e32 v18, 0x8000
	s_and_saveexec_b32 s18, vcc_lo
	s_cbranch_execz .LBB4_6594
; %bb.6587:                             ;   in Loop: Header=BB4_6082 Depth=3
	v_mov_b32_e32 v18, 0
	s_mov_b32 s22, exec_lo
	v_cmpx_ne_u32_e32 0, v36
	s_cbranch_execz .LBB4_6593
; %bb.6588:                             ;   in Loop: Header=BB4_6082 Depth=3
	v_bfe_u32 v18, v36, 23, 8
	v_and_b32_e32 v37, 0x7fffff, v36
	v_sub_nc_u32_e32 v50, 0x70, v18
	v_cmp_gt_u32_e32 vcc_lo, 0x71, v18
	v_or_b32_e32 v51, 0x800000, v37
	v_cndmask_b32_e32 v50, 0, v50, vcc_lo
	v_cmp_eq_u32_e32 vcc_lo, 0, v18
	v_add_nc_u32_e32 v18, 0xffffff91, v18
	v_cndmask_b32_e64 v50, v50, 0x6f, vcc_lo
	v_cndmask_b32_e32 v37, v51, v37, vcc_lo
	v_cndmask_b32_e64 v18, v18, 0xffffff92, vcc_lo
	v_lshl_add_u32 v51, 0x200000, v50, -1
	v_lshrrev_b32_e32 v96, v50, v37
	v_lshlrev_b32_e64 v115, v50, 0x100000
	v_add_nc_u32_e32 v50, v50, v18
	v_and_b32_e32 v37, v51, v37
	v_bfe_u32 v97, v96, 21, 1
	v_cmp_eq_u32_e64 s17, v37, v115
	v_add_nc_u32_e32 v51, -1, v97
	v_cndmask_b32_e64 v37, 0, v51, s17
	v_lshrrev_b32_e32 v51, 23, v96
	s_mov_b32 s17, exec_lo
	v_add_nc_u32_e32 v37, v37, v96
	v_xor_b32_e32 v51, 1, v51
	v_and_b32_e32 v18, 0x1fffff, v37
	v_add_nc_u32_e32 v37, v18, v96
                                        ; implicit-def: $vgpr18
	v_cmpx_ne_u32_e64 v50, v51
	s_xor_b32 s17, exec_lo, s17
; %bb.6589:                             ;   in Loop: Header=BB4_6082 Depth=3
	v_cmp_lt_u32_e32 vcc_lo, 0xffffff, v37
	v_sub_nc_u32_e32 v18, v50, v51
	v_cndmask_b32_e64 v50, 0, 1, vcc_lo
	v_add_co_ci_u32_e64 v18, null, 0, v18, vcc_lo
	v_lshrrev_b32_e32 v37, v50, v37
; %bb.6590:                             ;   in Loop: Header=BB4_6082 Depth=3
	s_andn2_saveexec_b32 s17, s17
; %bb.6591:                             ;   in Loop: Header=BB4_6082 Depth=3
	v_bfe_u32 v18, v37, 23, 1
; %bb.6592:                             ;   in Loop: Header=BB4_6082 Depth=3
	s_or_b32 exec_lo, exec_lo, s17
	v_lshrrev_b32_e32 v37, 21, v37
	v_min_i32_e32 v50, 31, v18
	v_cmp_gt_i32_e32 vcc_lo, 32, v18
	v_and_b32_sdwa v36, v36, v101 dst_sel:DWORD dst_unused:UNUSED_PAD src0_sel:BYTE_3 src1_sel:DWORD
	v_lshlrev_b32_e32 v50, 2, v50
	v_cndmask_b32_e32 v37, 3, v37, vcc_lo
	v_and_b32_e32 v50, 0xfc, v50
	v_and_b32_e32 v51, 3, v37
	v_or_b32_e32 v18, v18, v37
	v_or3_b32 v36, v36, v50, v51
	v_cmp_ne_u32_e32 vcc_lo, 0, v18
	v_lshlrev_b32_e32 v36, 8, v36
	v_cndmask_b32_e32 v18, 0, v36, vcc_lo
.LBB4_6593:                             ;   in Loop: Header=BB4_6082 Depth=3
	s_or_b32 exec_lo, exec_lo, s22
.LBB4_6594:                             ;   in Loop: Header=BB4_6082 Depth=3
	s_or_b32 exec_lo, exec_lo, s18
	v_or_b32_e32 v17, v20, v17
	s_mov_b32 s17, 0
	v_cmp_gt_i16_sdwa s18, v17, v100 src0_sel:BYTE_0 src1_sel:DWORD
	s_and_saveexec_b32 s22, s18
	s_xor_b32 s18, exec_lo, s22
	s_cbranch_execz .LBB4_6725
; %bb.6595:                             ;   in Loop: Header=BB4_6082 Depth=3
	v_cmp_eq_u16_sdwa s23, v17, v101 src0_sel:BYTE_0 src1_sel:DWORD
	s_mov_b32 s17, -1
	s_and_saveexec_b32 s22, s23
; %bb.6596:                             ;   in Loop: Header=BB4_6082 Depth=3
	s_xor_b32 s17, exec_lo, -1
; %bb.6597:                             ;   in Loop: Header=BB4_6082 Depth=3
	s_or_b32 exec_lo, exec_lo, s22
	s_and_b32 s17, s17, exec_lo
	s_or_saveexec_b32 s18, s18
	v_mov_b32_e32 v20, 0x7f800001
	s_xor_b32 exec_lo, exec_lo, s18
	s_cbranch_execnz .LBB4_6726
.LBB4_6598:                             ;   in Loop: Header=BB4_6082 Depth=3
	s_or_b32 exec_lo, exec_lo, s18
	v_lshl_or_b32 v17, v17, 16, v10
	s_and_saveexec_b32 s18, s17
	s_cbranch_execz .LBB4_6600
.LBB4_6599:                             ;   in Loop: Header=BB4_6082 Depth=3
	v_bfe_u32 v10, v17, 16, 2
	v_bfe_u32 v37, v17, 18, 5
	v_lshlrev_b32_e32 v50, 8, v17
	v_ffbh_u32_e32 v20, v10
	v_cmp_eq_u32_e32 vcc_lo, 0, v37
	v_min_u32_e32 v20, 32, v20
	v_subrev_nc_u32_e32 v36, 29, v20
	v_sub_nc_u32_e32 v20, 30, v20
	v_lshlrev_b32_sdwa v36, v36, v17 dst_sel:DWORD dst_unused:UNUSED_PAD src0_sel:DWORD src1_sel:WORD_1
	v_cndmask_b32_e32 v20, v37, v20, vcc_lo
	v_and_b32_e32 v36, 3, v36
	v_lshl_add_u32 v20, v20, 23, 0x37800000
	v_cndmask_b32_e32 v10, v10, v36, vcc_lo
	v_and_b32_e32 v36, 0x80000000, v50
	v_lshlrev_b32_e32 v10, 21, v10
	v_or3_b32 v20, v36, v20, v10
.LBB4_6600:                             ;   in Loop: Header=BB4_6082 Depth=3
	s_or_b32 exec_lo, exec_lo, s18
	v_and_b32_sdwa v36, v11, v112 dst_sel:DWORD dst_unused:UNUSED_PAD src0_sel:WORD_1 src1_sel:DWORD
	s_mov_b32 s17, 0
	s_mov_b32 s18, exec_lo
	v_cmpx_lt_i16_e32 0x7f, v36
	s_xor_b32 s18, exec_lo, s18
	s_cbranch_execz .LBB4_6727
; %bb.6601:                             ;   in Loop: Header=BB4_6082 Depth=3
	s_mov_b32 s17, -1
	s_mov_b32 s22, exec_lo
	v_cmpx_eq_u16_e32 0x80, v36
; %bb.6602:                             ;   in Loop: Header=BB4_6082 Depth=3
	s_xor_b32 s17, exec_lo, -1
; %bb.6603:                             ;   in Loop: Header=BB4_6082 Depth=3
	s_or_b32 exec_lo, exec_lo, s22
	s_and_b32 s17, s17, exec_lo
                                        ; implicit-def: $vgpr36
	s_or_saveexec_b32 s18, s18
	v_mov_b32_e32 v10, 0x7f800001
	s_xor_b32 exec_lo, exec_lo, s18
	s_cbranch_execnz .LBB4_6728
.LBB4_6604:                             ;   in Loop: Header=BB4_6082 Depth=3
	s_or_b32 exec_lo, exec_lo, s18
	s_and_saveexec_b32 s18, s17
	s_cbranch_execz .LBB4_6606
.LBB4_6605:                             ;   in Loop: Header=BB4_6082 Depth=3
	v_and_b32_sdwa v10, v11, v114 dst_sel:DWORD dst_unused:UNUSED_PAD src0_sel:WORD_1 src1_sel:DWORD
	v_bfe_u32 v50, v11, 18, 5
	v_lshlrev_b32_sdwa v51, v103, v11 dst_sel:DWORD dst_unused:UNUSED_PAD src0_sel:DWORD src1_sel:WORD_1
	v_ffbh_u32_e32 v36, v10
	v_cmp_eq_u32_e32 vcc_lo, 0, v50
	v_min_u32_e32 v36, 32, v36
	v_subrev_nc_u32_e32 v37, 29, v36
	v_sub_nc_u32_e32 v36, 30, v36
	v_lshlrev_b32_sdwa v37, v37, v11 dst_sel:DWORD dst_unused:UNUSED_PAD src0_sel:DWORD src1_sel:WORD_1
	v_cndmask_b32_e32 v36, v50, v36, vcc_lo
	v_and_b32_e32 v37, 3, v37
	v_lshl_add_u32 v36, v36, 23, 0x37800000
	v_cndmask_b32_e32 v10, v10, v37, vcc_lo
	v_and_b32_e32 v37, 0x80000000, v51
	v_lshlrev_b32_e32 v10, 21, v10
	v_or3_b32 v10, v37, v36, v10
.LBB4_6606:                             ;   in Loop: Header=BB4_6082 Depth=3
	s_or_b32 exec_lo, exec_lo, s18
	v_add_f32_e32 v20, v20, v10
	v_and_b32_e32 v10, 0x7f800000, v20
	v_cmp_ne_u32_e32 vcc_lo, 0x7f800000, v10
	v_mov_b32_e32 v10, 0x80
	s_and_saveexec_b32 s18, vcc_lo
	s_cbranch_execz .LBB4_6614
; %bb.6607:                             ;   in Loop: Header=BB4_6082 Depth=3
	v_mov_b32_e32 v10, 0
	s_mov_b32 s22, exec_lo
	v_cmpx_ne_u32_e32 0, v20
	s_cbranch_execz .LBB4_6613
; %bb.6608:                             ;   in Loop: Header=BB4_6082 Depth=3
	v_bfe_u32 v10, v20, 23, 8
	v_and_b32_e32 v36, 0x7fffff, v20
	v_sub_nc_u32_e32 v37, 0x70, v10
	v_cmp_gt_u32_e32 vcc_lo, 0x71, v10
	v_or_b32_e32 v50, 0x800000, v36
	v_cndmask_b32_e32 v37, 0, v37, vcc_lo
	v_cmp_eq_u32_e32 vcc_lo, 0, v10
	v_add_nc_u32_e32 v10, 0xffffff91, v10
	v_cndmask_b32_e64 v37, v37, 0x6f, vcc_lo
	v_cndmask_b32_e32 v36, v50, v36, vcc_lo
	v_cndmask_b32_e64 v10, v10, 0xffffff92, vcc_lo
	v_lshl_add_u32 v50, 0x200000, v37, -1
	v_lshrrev_b32_e32 v51, v37, v36
	v_lshlrev_b32_e64 v97, v37, 0x100000
	v_add_nc_u32_e32 v37, v37, v10
	v_and_b32_e32 v36, v50, v36
	v_bfe_u32 v96, v51, 21, 1
	v_cmp_eq_u32_e64 s17, v36, v97
	v_add_nc_u32_e32 v50, -1, v96
	v_cndmask_b32_e64 v36, 0, v50, s17
	v_lshrrev_b32_e32 v50, 23, v51
	s_mov_b32 s17, exec_lo
	v_add_nc_u32_e32 v36, v36, v51
	v_xor_b32_e32 v50, 1, v50
	v_and_b32_e32 v10, 0x1fffff, v36
	v_add_nc_u32_e32 v36, v10, v51
                                        ; implicit-def: $vgpr10
	v_cmpx_ne_u32_e64 v37, v50
	s_xor_b32 s17, exec_lo, s17
; %bb.6609:                             ;   in Loop: Header=BB4_6082 Depth=3
	v_cmp_lt_u32_e32 vcc_lo, 0xffffff, v36
	v_sub_nc_u32_e32 v10, v37, v50
	v_cndmask_b32_e64 v37, 0, 1, vcc_lo
	v_add_co_ci_u32_e64 v10, null, 0, v10, vcc_lo
	v_lshrrev_b32_e32 v36, v37, v36
; %bb.6610:                             ;   in Loop: Header=BB4_6082 Depth=3
	s_andn2_saveexec_b32 s17, s17
; %bb.6611:                             ;   in Loop: Header=BB4_6082 Depth=3
	v_bfe_u32 v10, v36, 23, 1
; %bb.6612:                             ;   in Loop: Header=BB4_6082 Depth=3
	s_or_b32 exec_lo, exec_lo, s17
	v_lshrrev_b32_e32 v36, 21, v36
	v_min_i32_e32 v37, 31, v10
	v_cmp_gt_i32_e32 vcc_lo, 32, v10
	v_and_b32_sdwa v20, v20, v101 dst_sel:DWORD dst_unused:UNUSED_PAD src0_sel:BYTE_3 src1_sel:DWORD
	v_lshlrev_b32_e32 v37, 2, v37
	v_cndmask_b32_e32 v36, 3, v36, vcc_lo
	v_and_b32_e32 v37, 0xfc, v37
	v_and_b32_e32 v50, 3, v36
	v_or_b32_e32 v10, v10, v36
	v_or3_b32 v20, v37, v20, v50
	v_cmp_ne_u32_e32 vcc_lo, 0, v10
	v_cndmask_b32_e32 v10, 0, v20, vcc_lo
.LBB4_6613:                             ;   in Loop: Header=BB4_6082 Depth=3
	s_or_b32 exec_lo, exec_lo, s22
.LBB4_6614:                             ;   in Loop: Header=BB4_6082 Depth=3
	s_or_b32 exec_lo, exec_lo, s18
	v_cmp_gt_i16_sdwa s18, v17, v100 src0_sel:BYTE_3 src1_sel:DWORD
	s_mov_b32 s17, 0
	s_and_saveexec_b32 s22, s18
	s_xor_b32 s18, exec_lo, s22
	s_cbranch_execz .LBB4_6729
; %bb.6615:                             ;   in Loop: Header=BB4_6082 Depth=3
	v_cmp_eq_u16_sdwa s23, v17, v101 src0_sel:BYTE_3 src1_sel:DWORD
	s_mov_b32 s17, -1
	s_and_saveexec_b32 s22, s23
; %bb.6616:                             ;   in Loop: Header=BB4_6082 Depth=3
	s_xor_b32 s17, exec_lo, -1
; %bb.6617:                             ;   in Loop: Header=BB4_6082 Depth=3
	s_or_b32 exec_lo, exec_lo, s22
	s_and_b32 s17, s17, exec_lo
	s_or_saveexec_b32 s18, s18
	v_mov_b32_e32 v20, 0x7f800001
	s_xor_b32 exec_lo, exec_lo, s18
	s_cbranch_execnz .LBB4_6730
.LBB4_6618:                             ;   in Loop: Header=BB4_6082 Depth=3
	s_or_b32 exec_lo, exec_lo, s18
	s_and_saveexec_b32 s18, s17
	s_cbranch_execz .LBB4_6620
.LBB4_6619:                             ;   in Loop: Header=BB4_6082 Depth=3
	v_bfe_u32 v20, v17, 24, 2
	v_bfe_u32 v50, v17, 26, 5
	v_ffbh_u32_e32 v36, v20
	v_cmp_eq_u32_e32 vcc_lo, 0, v50
	v_min_u32_e32 v36, 32, v36
	v_subrev_nc_u32_e32 v37, 29, v36
	v_sub_nc_u32_e32 v36, 30, v36
	v_lshlrev_b32_sdwa v37, v37, v17 dst_sel:DWORD dst_unused:UNUSED_PAD src0_sel:DWORD src1_sel:BYTE_3
	v_cndmask_b32_e32 v36, v50, v36, vcc_lo
	v_and_b32_e32 v17, 0x80000000, v17
	v_and_b32_e32 v37, 3, v37
	v_lshl_add_u32 v36, v36, 23, 0x37800000
	v_cndmask_b32_e32 v20, v20, v37, vcc_lo
	v_lshlrev_b32_e32 v20, 21, v20
	v_or3_b32 v20, v17, v36, v20
.LBB4_6620:                             ;   in Loop: Header=BB4_6082 Depth=3
	s_or_b32 exec_lo, exec_lo, s18
	v_cmp_gt_i16_sdwa s18, v11, v100 src0_sel:BYTE_3 src1_sel:DWORD
	s_mov_b32 s17, 0
	s_and_saveexec_b32 s22, s18
	s_xor_b32 s18, exec_lo, s22
	s_cbranch_execz .LBB4_6731
; %bb.6621:                             ;   in Loop: Header=BB4_6082 Depth=3
	v_cmp_eq_u16_sdwa s23, v11, v101 src0_sel:BYTE_3 src1_sel:DWORD
	s_mov_b32 s17, -1
	s_and_saveexec_b32 s22, s23
; %bb.6622:                             ;   in Loop: Header=BB4_6082 Depth=3
	s_xor_b32 s17, exec_lo, -1
; %bb.6623:                             ;   in Loop: Header=BB4_6082 Depth=3
	s_or_b32 exec_lo, exec_lo, s22
	s_and_b32 s17, s17, exec_lo
	s_or_saveexec_b32 s18, s18
	v_mov_b32_e32 v17, 0x7f800001
	s_xor_b32 exec_lo, exec_lo, s18
	s_cbranch_execnz .LBB4_6732
.LBB4_6624:                             ;   in Loop: Header=BB4_6082 Depth=3
	s_or_b32 exec_lo, exec_lo, s18
	s_and_saveexec_b32 s18, s17
	s_cbranch_execz .LBB4_6626
.LBB4_6625:                             ;   in Loop: Header=BB4_6082 Depth=3
	v_and_b32_sdwa v17, v11, v114 dst_sel:DWORD dst_unused:UNUSED_PAD src0_sel:BYTE_3 src1_sel:DWORD
	v_bfe_u32 v50, v11, 26, 5
	v_ffbh_u32_e32 v36, v17
	v_cmp_eq_u32_e32 vcc_lo, 0, v50
	v_min_u32_e32 v36, 32, v36
	v_subrev_nc_u32_e32 v37, 29, v36
	v_sub_nc_u32_e32 v36, 30, v36
	v_lshlrev_b32_sdwa v37, v37, v11 dst_sel:DWORD dst_unused:UNUSED_PAD src0_sel:DWORD src1_sel:BYTE_3
	v_cndmask_b32_e32 v36, v50, v36, vcc_lo
	v_and_b32_e32 v11, 0x80000000, v11
	v_and_b32_e32 v37, 3, v37
	v_lshl_add_u32 v36, v36, 23, 0x37800000
	v_cndmask_b32_e32 v17, v17, v37, vcc_lo
	v_lshlrev_b32_e32 v17, 21, v17
	v_or3_b32 v17, v11, v36, v17
.LBB4_6626:                             ;   in Loop: Header=BB4_6082 Depth=3
	s_or_b32 exec_lo, exec_lo, s18
	v_add_f32_e32 v11, v20, v17
	v_and_b32_e32 v17, 0x7f800000, v11
	v_cmp_ne_u32_e32 vcc_lo, 0x7f800000, v17
	v_mov_b32_e32 v17, 0x8000
	s_and_saveexec_b32 s18, vcc_lo
	s_cbranch_execz .LBB4_6634
; %bb.6627:                             ;   in Loop: Header=BB4_6082 Depth=3
	v_mov_b32_e32 v17, 0
	s_mov_b32 s22, exec_lo
	v_cmpx_ne_u32_e32 0, v11
	s_cbranch_execz .LBB4_6633
; %bb.6628:                             ;   in Loop: Header=BB4_6082 Depth=3
	v_bfe_u32 v17, v11, 23, 8
	v_and_b32_e32 v20, 0x7fffff, v11
	v_sub_nc_u32_e32 v36, 0x70, v17
	v_cmp_gt_u32_e32 vcc_lo, 0x71, v17
	v_or_b32_e32 v37, 0x800000, v20
	v_cndmask_b32_e32 v36, 0, v36, vcc_lo
	v_cmp_eq_u32_e32 vcc_lo, 0, v17
	v_add_nc_u32_e32 v17, 0xffffff91, v17
	v_cndmask_b32_e64 v36, v36, 0x6f, vcc_lo
	v_cndmask_b32_e32 v20, v37, v20, vcc_lo
	v_cndmask_b32_e64 v17, v17, 0xffffff92, vcc_lo
	v_lshl_add_u32 v37, 0x200000, v36, -1
	v_lshrrev_b32_e32 v50, v36, v20
	v_lshlrev_b32_e64 v96, v36, 0x100000
	v_add_nc_u32_e32 v36, v36, v17
	v_and_b32_e32 v20, v37, v20
	v_bfe_u32 v51, v50, 21, 1
	v_cmp_eq_u32_e64 s17, v20, v96
	v_add_nc_u32_e32 v37, -1, v51
	v_cndmask_b32_e64 v20, 0, v37, s17
	v_lshrrev_b32_e32 v37, 23, v50
	s_mov_b32 s17, exec_lo
	v_add_nc_u32_e32 v20, v20, v50
	v_xor_b32_e32 v37, 1, v37
	v_and_b32_e32 v17, 0x1fffff, v20
	v_add_nc_u32_e32 v20, v17, v50
                                        ; implicit-def: $vgpr17
	v_cmpx_ne_u32_e64 v36, v37
	s_xor_b32 s17, exec_lo, s17
; %bb.6629:                             ;   in Loop: Header=BB4_6082 Depth=3
	v_cmp_lt_u32_e32 vcc_lo, 0xffffff, v20
	v_sub_nc_u32_e32 v17, v36, v37
	v_cndmask_b32_e64 v36, 0, 1, vcc_lo
	v_add_co_ci_u32_e64 v17, null, 0, v17, vcc_lo
	v_lshrrev_b32_e32 v20, v36, v20
; %bb.6630:                             ;   in Loop: Header=BB4_6082 Depth=3
	s_andn2_saveexec_b32 s17, s17
; %bb.6631:                             ;   in Loop: Header=BB4_6082 Depth=3
	v_bfe_u32 v17, v20, 23, 1
; %bb.6632:                             ;   in Loop: Header=BB4_6082 Depth=3
	s_or_b32 exec_lo, exec_lo, s17
	v_lshrrev_b32_e32 v20, 21, v20
	v_min_i32_e32 v36, 31, v17
	v_cmp_gt_i32_e32 vcc_lo, 32, v17
	v_and_b32_sdwa v11, v11, v101 dst_sel:DWORD dst_unused:UNUSED_PAD src0_sel:BYTE_3 src1_sel:DWORD
	v_lshlrev_b32_e32 v36, 2, v36
	v_cndmask_b32_e32 v20, 3, v20, vcc_lo
	v_and_b32_e32 v36, 0xfc, v36
	v_and_b32_e32 v37, 3, v20
	v_or_b32_e32 v17, v17, v20
	v_or3_b32 v11, v11, v36, v37
	v_cmp_ne_u32_e32 vcc_lo, 0, v17
	v_lshlrev_b32_e32 v11, 8, v11
	v_cndmask_b32_e32 v17, 0, v11, vcc_lo
.LBB4_6633:                             ;   in Loop: Header=BB4_6082 Depth=3
	s_or_b32 exec_lo, exec_lo, s22
.LBB4_6634:                             ;   in Loop: Header=BB4_6082 Depth=3
	s_or_b32 exec_lo, exec_lo, s18
	v_or_b32_sdwa v9, v9, v35 dst_sel:WORD_1 dst_unused:UNUSED_PAD src0_sel:DWORD src1_sel:DWORD
	v_or_b32_sdwa v8, v8, v30 dst_sel:WORD_1 dst_unused:UNUSED_PAD src0_sel:DWORD src1_sel:DWORD
	v_or_b32_sdwa v1, v4, v1 dst_sel:WORD_1 dst_unused:UNUSED_PAD src0_sel:DWORD src1_sel:DWORD
	v_or_b32_sdwa v4, v17, v10 dst_sel:WORD_1 dst_unused:UNUSED_PAD src0_sel:DWORD src1_sel:DWORD
	s_mov_b64 s[22:23], 0
	v_or3_b32 v9, v34, v73, v9
	v_or3_b32 v8, v19, v16, v8
	;; [unrolled: 1-line block ×4, first 2 shown]
	s_mov_b32 s76, -1
	.p2align	6
.LBB4_6635:                             ;   Parent Loop BB4_47 Depth=1
                                        ;     Parent Loop BB4_4707 Depth=2
                                        ;       Parent Loop BB4_6082 Depth=3
                                        ; =>      This Inner Loop Header: Depth=4
	s_cmp_eq_u32 s22, 1
	s_cselect_b32 vcc_lo, -1, 0
	s_cmp_eq_u32 s22, 0
	v_cndmask_b32_e32 v4, v82, v62, vcc_lo
	v_cndmask_b32_e32 v5, v83, v63, vcc_lo
	s_mov_b64 s[22:23], 1
	v_add_co_u32 v1, s17, 0x200, v4
	v_add_co_ci_u32_e64 v16, null, 0, v5, s17
	s_cselect_b32 s17, -1, 0
	v_cndmask_b32_e32 v62, v62, v1, vcc_lo
	v_cndmask_b32_e64 v82, v82, v1, s17
	v_cndmask_b32_e32 v63, v63, v16, vcc_lo
	v_cndmask_b32_e64 v83, v83, v16, s17
	s_and_b32 s18, exec_lo, s76
	s_mov_b32 s76, 0
	s_mov_b32 vcc_lo, s18
	global_store_dwordx4 v[4:5], v[8:11], off glc slc
	s_cbranch_vccnz .LBB4_6635
; %bb.6636:                             ;   in Loop: Header=BB4_6082 Depth=3
	v_add_co_u32 v12, vcc_lo, v12, v47
	v_sub_nc_u32_e32 v81, v81, v117
	v_add_co_ci_u32_e64 v13, null, v13, v56, vcc_lo
	v_add_co_u32 v14, vcc_lo, v14, v47
	v_add_co_ci_u32_e64 v15, null, v15, v56, vcc_lo
	v_add_co_u32 v82, vcc_lo, v82, v41
	v_add_co_ci_u32_e64 v83, null, v83, v44, vcc_lo
	v_cmp_gt_i32_e32 vcc_lo, 16, v81
	v_add_co_u32 v62, s17, v62, v41
	v_add_co_ci_u32_e64 v63, null, v63, v44, s17
	v_sub_nc_u32_e32 v80, v80, v87
	s_or_b32 s73, vcc_lo, s73
	s_andn2_b32 exec_lo, exec_lo, s73
	s_cbranch_execnz .LBB4_6082
	s_branch .LBB4_6733
.LBB4_6637:                             ;   in Loop: Header=BB4_6082 Depth=3
	s_or_saveexec_b32 s22, s22
	v_mov_b32_e32 v1, 0x7f800001
	s_xor_b32 exec_lo, exec_lo, s22
	s_cbranch_execz .LBB4_6094
.LBB4_6638:                             ;   in Loop: Header=BB4_6082 Depth=3
	v_cmp_ne_u16_sdwa s23, v8, v2 src0_sel:BYTE_0 src1_sel:DWORD
	v_mov_b32_e32 v1, 0
	s_andn2_b32 s17, s17, exec_lo
	s_and_b32 s23, s23, exec_lo
	s_or_b32 s17, s17, s23
	s_or_b32 exec_lo, exec_lo, s22
	s_and_saveexec_b32 s22, s17
	s_cbranch_execnz .LBB4_6095
	s_branch .LBB4_6096
.LBB4_6639:                             ;   in Loop: Header=BB4_6082 Depth=3
	s_or_saveexec_b32 s22, s22
	v_mov_b32_e32 v1, 0x7f800001
	s_xor_b32 exec_lo, exec_lo, s22
	s_cbranch_execz .LBB4_6108
.LBB4_6640:                             ;   in Loop: Header=BB4_6082 Depth=3
	v_cmp_ne_u16_sdwa s23, v8, v2 src0_sel:BYTE_1 src1_sel:DWORD
	v_mov_b32_e32 v1, 0
	s_andn2_b32 s17, s17, exec_lo
	s_and_b32 s23, s23, exec_lo
	s_or_b32 s17, s17, s23
	s_or_b32 exec_lo, exec_lo, s22
	s_and_saveexec_b32 s22, s17
	s_cbranch_execnz .LBB4_6109
	s_branch .LBB4_6110
.LBB4_6641:                             ;   in Loop: Header=BB4_6082 Depth=3
	s_or_saveexec_b32 s22, s22
	v_mov_b32_e32 v1, 0x7f800001
	s_xor_b32 exec_lo, exec_lo, s22
	s_cbranch_execz .LBB4_6122
.LBB4_6642:                             ;   in Loop: Header=BB4_6082 Depth=3
	v_cmp_ne_u16_e32 vcc_lo, 0, v4
	v_mov_b32_e32 v1, 0
	s_andn2_b32 s17, s17, exec_lo
	s_and_b32 s23, vcc_lo, exec_lo
	s_or_b32 s17, s17, s23
	s_or_b32 exec_lo, exec_lo, s22
	s_and_saveexec_b32 s22, s17
	s_cbranch_execnz .LBB4_6123
	s_branch .LBB4_6124
.LBB4_6643:                             ;   in Loop: Header=BB4_6082 Depth=3
	s_or_saveexec_b32 s22, s22
	v_mov_b32_e32 v1, 0x7f800001
	s_xor_b32 exec_lo, exec_lo, s22
	s_cbranch_execz .LBB4_6136
.LBB4_6644:                             ;   in Loop: Header=BB4_6082 Depth=3
	v_cmp_ne_u16_sdwa s23, v8, v2 src0_sel:BYTE_3 src1_sel:DWORD
	v_mov_b32_e32 v1, 0
	s_andn2_b32 s17, s17, exec_lo
	s_and_b32 s23, s23, exec_lo
	s_or_b32 s17, s17, s23
	s_or_b32 exec_lo, exec_lo, s22
	s_and_saveexec_b32 s22, s17
	s_cbranch_execnz .LBB4_6137
	s_branch .LBB4_6138
.LBB4_6645:                             ;   in Loop: Header=BB4_6082 Depth=3
	s_or_saveexec_b32 s22, s22
	v_mov_b32_e32 v1, 0x7f800001
	s_xor_b32 exec_lo, exec_lo, s22
	s_cbranch_execz .LBB4_6150
.LBB4_6646:                             ;   in Loop: Header=BB4_6082 Depth=3
	v_cmp_ne_u16_sdwa s23, v9, v2 src0_sel:BYTE_0 src1_sel:DWORD
	v_mov_b32_e32 v1, 0
	s_andn2_b32 s17, s17, exec_lo
	s_and_b32 s23, s23, exec_lo
	s_or_b32 s17, s17, s23
	s_or_b32 exec_lo, exec_lo, s22
	s_and_saveexec_b32 s22, s17
	s_cbranch_execnz .LBB4_6151
	s_branch .LBB4_6152
.LBB4_6647:                             ;   in Loop: Header=BB4_6082 Depth=3
	s_or_saveexec_b32 s22, s22
	v_mov_b32_e32 v1, 0x7f800001
	s_xor_b32 exec_lo, exec_lo, s22
	s_cbranch_execz .LBB4_6164
.LBB4_6648:                             ;   in Loop: Header=BB4_6082 Depth=3
	v_cmp_ne_u16_sdwa s23, v9, v2 src0_sel:BYTE_1 src1_sel:DWORD
	v_mov_b32_e32 v1, 0
	s_andn2_b32 s17, s17, exec_lo
	s_and_b32 s23, s23, exec_lo
	s_or_b32 s17, s17, s23
	s_or_b32 exec_lo, exec_lo, s22
	s_and_saveexec_b32 s22, s17
	s_cbranch_execnz .LBB4_6165
	s_branch .LBB4_6166
.LBB4_6649:                             ;   in Loop: Header=BB4_6082 Depth=3
	s_or_saveexec_b32 s22, s22
	v_mov_b32_e32 v1, 0x7f800001
	s_xor_b32 exec_lo, exec_lo, s22
	s_cbranch_execz .LBB4_6178
.LBB4_6650:                             ;   in Loop: Header=BB4_6082 Depth=3
	v_cmp_ne_u16_e32 vcc_lo, 0, v4
	v_mov_b32_e32 v1, 0
	s_andn2_b32 s17, s17, exec_lo
	s_and_b32 s23, vcc_lo, exec_lo
	s_or_b32 s17, s17, s23
	s_or_b32 exec_lo, exec_lo, s22
	s_and_saveexec_b32 s22, s17
	s_cbranch_execnz .LBB4_6179
	s_branch .LBB4_6180
.LBB4_6651:                             ;   in Loop: Header=BB4_6082 Depth=3
	s_or_saveexec_b32 s22, s22
	v_mov_b32_e32 v1, 0x7f800001
	s_xor_b32 exec_lo, exec_lo, s22
	s_cbranch_execz .LBB4_6192
.LBB4_6652:                             ;   in Loop: Header=BB4_6082 Depth=3
	v_cmp_ne_u16_sdwa s23, v9, v2 src0_sel:BYTE_3 src1_sel:DWORD
	v_mov_b32_e32 v1, 0
	s_andn2_b32 s17, s17, exec_lo
	s_and_b32 s23, s23, exec_lo
	s_or_b32 s17, s17, s23
	s_or_b32 exec_lo, exec_lo, s22
	s_and_saveexec_b32 s22, s17
	s_cbranch_execnz .LBB4_6193
	s_branch .LBB4_6194
.LBB4_6653:                             ;   in Loop: Header=BB4_6082 Depth=3
	s_or_saveexec_b32 s22, s22
	v_mov_b32_e32 v1, 0x7f800001
	s_xor_b32 exec_lo, exec_lo, s22
	s_cbranch_execz .LBB4_6206
.LBB4_6654:                             ;   in Loop: Header=BB4_6082 Depth=3
	v_cmp_ne_u16_sdwa s23, v10, v2 src0_sel:BYTE_0 src1_sel:DWORD
	v_mov_b32_e32 v1, 0
	s_andn2_b32 s17, s17, exec_lo
	s_and_b32 s23, s23, exec_lo
	s_or_b32 s17, s17, s23
	s_or_b32 exec_lo, exec_lo, s22
	s_and_saveexec_b32 s22, s17
	s_cbranch_execnz .LBB4_6207
	s_branch .LBB4_6208
.LBB4_6655:                             ;   in Loop: Header=BB4_6082 Depth=3
	s_or_saveexec_b32 s22, s22
	v_mov_b32_e32 v1, 0x7f800001
	s_xor_b32 exec_lo, exec_lo, s22
	s_cbranch_execz .LBB4_6220
.LBB4_6656:                             ;   in Loop: Header=BB4_6082 Depth=3
	v_cmp_ne_u16_sdwa s23, v10, v2 src0_sel:BYTE_1 src1_sel:DWORD
	v_mov_b32_e32 v1, 0
	s_andn2_b32 s17, s17, exec_lo
	s_and_b32 s23, s23, exec_lo
	s_or_b32 s17, s17, s23
	s_or_b32 exec_lo, exec_lo, s22
	s_and_saveexec_b32 s22, s17
	s_cbranch_execnz .LBB4_6221
	s_branch .LBB4_6222
.LBB4_6657:                             ;   in Loop: Header=BB4_6082 Depth=3
	s_or_saveexec_b32 s22, s22
	v_mov_b32_e32 v1, 0x7f800001
	s_xor_b32 exec_lo, exec_lo, s22
	s_cbranch_execz .LBB4_6234
.LBB4_6658:                             ;   in Loop: Header=BB4_6082 Depth=3
	v_cmp_ne_u16_e32 vcc_lo, 0, v4
	v_mov_b32_e32 v1, 0
	s_andn2_b32 s17, s17, exec_lo
	s_and_b32 s23, vcc_lo, exec_lo
	s_or_b32 s17, s17, s23
	s_or_b32 exec_lo, exec_lo, s22
	s_and_saveexec_b32 s22, s17
	s_cbranch_execnz .LBB4_6235
	s_branch .LBB4_6236
.LBB4_6659:                             ;   in Loop: Header=BB4_6082 Depth=3
	s_or_saveexec_b32 s22, s22
	v_mov_b32_e32 v1, 0x7f800001
	s_xor_b32 exec_lo, exec_lo, s22
	s_cbranch_execz .LBB4_6248
.LBB4_6660:                             ;   in Loop: Header=BB4_6082 Depth=3
	v_cmp_ne_u16_sdwa s23, v10, v2 src0_sel:BYTE_3 src1_sel:DWORD
	v_mov_b32_e32 v1, 0
	s_andn2_b32 s17, s17, exec_lo
	s_and_b32 s23, s23, exec_lo
	s_or_b32 s17, s17, s23
	s_or_b32 exec_lo, exec_lo, s22
	s_and_saveexec_b32 s22, s17
	s_cbranch_execnz .LBB4_6249
	s_branch .LBB4_6250
.LBB4_6661:                             ;   in Loop: Header=BB4_6082 Depth=3
	s_or_saveexec_b32 s22, s22
	v_mov_b32_e32 v1, 0x7f800001
	s_xor_b32 exec_lo, exec_lo, s22
	s_cbranch_execz .LBB4_6262
.LBB4_6662:                             ;   in Loop: Header=BB4_6082 Depth=3
	v_cmp_ne_u16_sdwa s23, v11, v2 src0_sel:BYTE_0 src1_sel:DWORD
	v_mov_b32_e32 v1, 0
	s_andn2_b32 s17, s17, exec_lo
	s_and_b32 s23, s23, exec_lo
	s_or_b32 s17, s17, s23
	s_or_b32 exec_lo, exec_lo, s22
	s_and_saveexec_b32 s22, s17
	s_cbranch_execnz .LBB4_6263
	s_branch .LBB4_6264
.LBB4_6663:                             ;   in Loop: Header=BB4_6082 Depth=3
	s_or_saveexec_b32 s22, s22
	v_mov_b32_e32 v1, 0x7f800001
	s_xor_b32 exec_lo, exec_lo, s22
	s_cbranch_execz .LBB4_6276
.LBB4_6664:                             ;   in Loop: Header=BB4_6082 Depth=3
	v_cmp_ne_u16_sdwa s23, v11, v2 src0_sel:BYTE_1 src1_sel:DWORD
	v_mov_b32_e32 v1, 0
	s_andn2_b32 s17, s17, exec_lo
	s_and_b32 s23, s23, exec_lo
	s_or_b32 s17, s17, s23
	s_or_b32 exec_lo, exec_lo, s22
	s_and_saveexec_b32 s22, s17
	s_cbranch_execnz .LBB4_6277
	s_branch .LBB4_6278
.LBB4_6665:                             ;   in Loop: Header=BB4_6082 Depth=3
	s_or_saveexec_b32 s22, s22
	v_mov_b32_e32 v1, 0x7f800001
	s_xor_b32 exec_lo, exec_lo, s22
	s_cbranch_execz .LBB4_6290
.LBB4_6666:                             ;   in Loop: Header=BB4_6082 Depth=3
	v_cmp_ne_u16_e32 vcc_lo, 0, v8
	v_mov_b32_e32 v1, 0
	s_andn2_b32 s17, s17, exec_lo
	s_and_b32 s23, vcc_lo, exec_lo
	s_or_b32 s17, s17, s23
	s_or_b32 exec_lo, exec_lo, s22
	s_and_saveexec_b32 s22, s17
	s_cbranch_execnz .LBB4_6291
	s_branch .LBB4_6292
.LBB4_6667:                             ;   in Loop: Header=BB4_6082 Depth=3
	s_or_saveexec_b32 s22, s22
	v_mov_b32_e32 v1, 0x7f800001
	s_xor_b32 exec_lo, exec_lo, s22
	s_cbranch_execz .LBB4_6304
.LBB4_6668:                             ;   in Loop: Header=BB4_6082 Depth=3
	v_cmp_ne_u16_sdwa s23, v11, v2 src0_sel:BYTE_3 src1_sel:DWORD
	v_mov_b32_e32 v1, 0
	s_andn2_b32 s17, s17, exec_lo
	s_and_b32 s23, s23, exec_lo
	s_or_b32 s17, s17, s23
	s_or_b32 exec_lo, exec_lo, s22
	s_and_saveexec_b32 s22, s17
	s_cbranch_execnz .LBB4_6305
	s_branch .LBB4_6306
.LBB4_6669:                             ;   in Loop: Header=BB4_6082 Depth=3
	s_or_saveexec_b32 s18, s18
	v_mov_b32_e32 v16, 0x7f800001
	s_xor_b32 exec_lo, exec_lo, s18
	s_cbranch_execz .LBB4_6318
.LBB4_6670:                             ;   in Loop: Header=BB4_6082 Depth=3
	v_cmp_ne_u16_sdwa s22, v1, v2 src0_sel:BYTE_0 src1_sel:DWORD
	v_mov_b32_e32 v16, 0
	s_andn2_b32 s17, s17, exec_lo
	s_and_b32 s22, s22, exec_lo
	s_or_b32 s17, s17, s22
	s_or_b32 exec_lo, exec_lo, s18
	s_and_saveexec_b32 s18, s17
	s_cbranch_execnz .LBB4_6319
	s_branch .LBB4_6320
.LBB4_6671:                             ;   in Loop: Header=BB4_6082 Depth=3
	s_or_saveexec_b32 s18, s18
	v_mov_b32_e32 v19, 0x7f800001
	s_xor_b32 exec_lo, exec_lo, s18
	s_cbranch_execz .LBB4_6324
.LBB4_6672:                             ;   in Loop: Header=BB4_6082 Depth=3
	v_cmp_ne_u16_sdwa s22, v8, v2 src0_sel:BYTE_0 src1_sel:DWORD
	v_mov_b32_e32 v19, 0
	s_andn2_b32 s17, s17, exec_lo
	s_and_b32 s22, s22, exec_lo
	s_or_b32 s17, s17, s22
	s_or_b32 exec_lo, exec_lo, s18
	s_and_saveexec_b32 s18, s17
	s_cbranch_execnz .LBB4_6325
	s_branch .LBB4_6326
.LBB4_6673:                             ;   in Loop: Header=BB4_6082 Depth=3
	s_or_saveexec_b32 s18, s18
	v_mov_b32_e32 v19, 0x7f800001
	s_xor_b32 exec_lo, exec_lo, s18
	s_cbranch_execz .LBB4_6338
.LBB4_6674:                             ;   in Loop: Header=BB4_6082 Depth=3
	v_cmp_ne_u16_sdwa s22, v1, v2 src0_sel:BYTE_1 src1_sel:DWORD
	v_mov_b32_e32 v19, 0
	s_andn2_b32 s17, s17, exec_lo
	s_and_b32 s22, s22, exec_lo
	s_or_b32 s17, s17, s22
	s_or_b32 exec_lo, exec_lo, s18
	s_and_saveexec_b32 s18, s17
	s_cbranch_execnz .LBB4_6339
	s_branch .LBB4_6340
.LBB4_6675:                             ;   in Loop: Header=BB4_6082 Depth=3
	s_or_saveexec_b32 s18, s18
	v_mov_b32_e32 v31, 0x7f800001
	s_xor_b32 exec_lo, exec_lo, s18
	s_cbranch_execz .LBB4_6344
.LBB4_6676:                             ;   in Loop: Header=BB4_6082 Depth=3
	v_cmp_ne_u16_sdwa s22, v8, v2 src0_sel:BYTE_1 src1_sel:DWORD
	v_mov_b32_e32 v31, 0
	s_andn2_b32 s17, s17, exec_lo
	s_and_b32 s22, s22, exec_lo
	s_or_b32 s17, s17, s22
	s_or_b32 exec_lo, exec_lo, s18
	s_and_saveexec_b32 s18, s17
	s_cbranch_execnz .LBB4_6345
	s_branch .LBB4_6346
.LBB4_6677:                             ;   in Loop: Header=BB4_6082 Depth=3
	s_or_saveexec_b32 s18, s18
	v_mov_b32_e32 v30, 0x7f800001
	s_xor_b32 exec_lo, exec_lo, s18
	s_cbranch_execz .LBB4_6358
.LBB4_6678:                             ;   in Loop: Header=BB4_6082 Depth=3
	v_cmp_ne_u16_sdwa s22, v31, v2 src0_sel:BYTE_0 src1_sel:DWORD
	v_mov_b32_e32 v30, 0
	s_andn2_b32 s17, s17, exec_lo
	s_and_b32 s22, s22, exec_lo
	s_or_b32 s17, s17, s22
	s_or_b32 exec_lo, exec_lo, s18
	v_lshl_or_b32 v1, v31, 16, v1
	s_and_saveexec_b32 s18, s17
	s_cbranch_execnz .LBB4_6359
	s_branch .LBB4_6360
.LBB4_6679:                             ;   in Loop: Header=BB4_6082 Depth=3
	s_or_saveexec_b32 s18, s18
	v_mov_b32_e32 v31, 0x7f800001
	s_xor_b32 exec_lo, exec_lo, s18
	s_cbranch_execz .LBB4_6364
.LBB4_6680:                             ;   in Loop: Header=BB4_6082 Depth=3
	v_cmp_ne_u16_e32 vcc_lo, 0, v34
	v_mov_b32_e32 v31, 0
	s_andn2_b32 s17, s17, exec_lo
	s_and_b32 s22, vcc_lo, exec_lo
	s_or_b32 s17, s17, s22
	s_or_b32 exec_lo, exec_lo, s18
	s_and_saveexec_b32 s18, s17
	s_cbranch_execnz .LBB4_6365
	s_branch .LBB4_6366
.LBB4_6681:                             ;   in Loop: Header=BB4_6082 Depth=3
	s_or_saveexec_b32 s18, s18
	v_mov_b32_e32 v31, 0x7f800001
	s_xor_b32 exec_lo, exec_lo, s18
	s_cbranch_execz .LBB4_6378
.LBB4_6682:                             ;   in Loop: Header=BB4_6082 Depth=3
	v_cmp_ne_u16_sdwa s22, v1, v2 src0_sel:BYTE_3 src1_sel:DWORD
	v_mov_b32_e32 v31, 0
	s_andn2_b32 s17, s17, exec_lo
	s_and_b32 s22, s22, exec_lo
	s_or_b32 s17, s17, s22
	s_or_b32 exec_lo, exec_lo, s18
	s_and_saveexec_b32 s18, s17
	s_cbranch_execnz .LBB4_6379
	s_branch .LBB4_6380
.LBB4_6683:                             ;   in Loop: Header=BB4_6082 Depth=3
	s_or_saveexec_b32 s18, s18
	v_mov_b32_e32 v1, 0x7f800001
	s_xor_b32 exec_lo, exec_lo, s18
	s_cbranch_execz .LBB4_6384
.LBB4_6684:                             ;   in Loop: Header=BB4_6082 Depth=3
	v_cmp_ne_u16_sdwa s22, v8, v2 src0_sel:BYTE_3 src1_sel:DWORD
	v_mov_b32_e32 v1, 0
	s_andn2_b32 s17, s17, exec_lo
	s_and_b32 s22, s22, exec_lo
	s_or_b32 s17, s17, s22
	s_or_b32 exec_lo, exec_lo, s18
	s_and_saveexec_b32 s18, s17
	s_cbranch_execnz .LBB4_6385
	s_branch .LBB4_6386
.LBB4_6685:                             ;   in Loop: Header=BB4_6082 Depth=3
	s_or_saveexec_b32 s18, s18
	v_mov_b32_e32 v31, 0x7f800001
	s_xor_b32 exec_lo, exec_lo, s18
	s_cbranch_execz .LBB4_6398
.LBB4_6686:                             ;   in Loop: Header=BB4_6082 Depth=3
	v_cmp_ne_u16_sdwa s22, v1, v2 src0_sel:BYTE_0 src1_sel:DWORD
	v_mov_b32_e32 v31, 0
	s_andn2_b32 s17, s17, exec_lo
	s_and_b32 s22, s22, exec_lo
	s_or_b32 s17, s17, s22
	s_or_b32 exec_lo, exec_lo, s18
	s_and_saveexec_b32 s18, s17
	s_cbranch_execnz .LBB4_6399
	s_branch .LBB4_6400
.LBB4_6687:                             ;   in Loop: Header=BB4_6082 Depth=3
	s_or_saveexec_b32 s18, s18
	v_mov_b32_e32 v34, 0x7f800001
	s_xor_b32 exec_lo, exec_lo, s18
	s_cbranch_execz .LBB4_6404
.LBB4_6688:                             ;   in Loop: Header=BB4_6082 Depth=3
	v_cmp_ne_u16_sdwa s22, v9, v2 src0_sel:BYTE_0 src1_sel:DWORD
	v_mov_b32_e32 v34, 0
	s_andn2_b32 s17, s17, exec_lo
	s_and_b32 s22, s22, exec_lo
	s_or_b32 s17, s17, s22
	s_or_b32 exec_lo, exec_lo, s18
	s_and_saveexec_b32 s18, s17
	s_cbranch_execnz .LBB4_6405
	s_branch .LBB4_6406
.LBB4_6689:                             ;   in Loop: Header=BB4_6082 Depth=3
	s_or_saveexec_b32 s18, s18
	v_mov_b32_e32 v31, 0x7f800001
	s_xor_b32 exec_lo, exec_lo, s18
	s_cbranch_execz .LBB4_6418
.LBB4_6690:                             ;   in Loop: Header=BB4_6082 Depth=3
	v_cmp_ne_u16_sdwa s22, v1, v2 src0_sel:BYTE_1 src1_sel:DWORD
	v_mov_b32_e32 v31, 0
	s_andn2_b32 s17, s17, exec_lo
	s_and_b32 s22, s22, exec_lo
	s_or_b32 s17, s17, s22
	s_or_b32 exec_lo, exec_lo, s18
	s_and_saveexec_b32 s18, s17
	s_cbranch_execnz .LBB4_6419
	s_branch .LBB4_6420
.LBB4_6691:                             ;   in Loop: Header=BB4_6082 Depth=3
	s_or_saveexec_b32 s18, s18
	v_mov_b32_e32 v34, 0x7f800001
	s_xor_b32 exec_lo, exec_lo, s18
	s_cbranch_execz .LBB4_6424
.LBB4_6692:                             ;   in Loop: Header=BB4_6082 Depth=3
	v_cmp_ne_u16_sdwa s22, v9, v2 src0_sel:BYTE_1 src1_sel:DWORD
	v_mov_b32_e32 v34, 0
	s_andn2_b32 s17, s17, exec_lo
	s_and_b32 s22, s22, exec_lo
	s_or_b32 s17, s17, s22
	s_or_b32 exec_lo, exec_lo, s18
	s_and_saveexec_b32 s18, s17
	s_cbranch_execnz .LBB4_6425
	s_branch .LBB4_6426
.LBB4_6693:                             ;   in Loop: Header=BB4_6082 Depth=3
	s_or_saveexec_b32 s18, s18
	v_mov_b32_e32 v31, 0x7f800001
	s_xor_b32 exec_lo, exec_lo, s18
	s_cbranch_execz .LBB4_6438
.LBB4_6694:                             ;   in Loop: Header=BB4_6082 Depth=3
	v_cmp_ne_u16_sdwa s22, v35, v2 src0_sel:BYTE_0 src1_sel:DWORD
	v_mov_b32_e32 v31, 0
	s_andn2_b32 s17, s17, exec_lo
	s_and_b32 s22, s22, exec_lo
	s_or_b32 s17, s17, s22
	s_or_b32 exec_lo, exec_lo, s18
	v_lshl_or_b32 v1, v35, 16, v1
	s_and_saveexec_b32 s18, s17
	s_cbranch_execnz .LBB4_6439
	s_branch .LBB4_6440
.LBB4_6695:                             ;   in Loop: Header=BB4_6082 Depth=3
	s_or_saveexec_b32 s18, s18
	v_mov_b32_e32 v35, 0x7f800001
	s_xor_b32 exec_lo, exec_lo, s18
	s_cbranch_execz .LBB4_6444
.LBB4_6696:                             ;   in Loop: Header=BB4_6082 Depth=3
	v_cmp_ne_u16_e32 vcc_lo, 0, v37
	v_mov_b32_e32 v35, 0
	s_andn2_b32 s17, s17, exec_lo
	s_and_b32 s22, vcc_lo, exec_lo
	s_or_b32 s17, s17, s22
	s_or_b32 exec_lo, exec_lo, s18
	s_and_saveexec_b32 s18, s17
	s_cbranch_execnz .LBB4_6445
	s_branch .LBB4_6446
.LBB4_6697:                             ;   in Loop: Header=BB4_6082 Depth=3
	s_or_saveexec_b32 s18, s18
	v_mov_b32_e32 v31, 0x7f800001
	s_xor_b32 exec_lo, exec_lo, s18
	s_cbranch_execz .LBB4_6458
.LBB4_6698:                             ;   in Loop: Header=BB4_6082 Depth=3
	v_cmp_ne_u16_sdwa s22, v1, v2 src0_sel:BYTE_3 src1_sel:DWORD
	v_mov_b32_e32 v31, 0
	s_andn2_b32 s17, s17, exec_lo
	s_and_b32 s22, s22, exec_lo
	s_or_b32 s17, s17, s22
	s_or_b32 exec_lo, exec_lo, s18
	s_and_saveexec_b32 s18, s17
	s_cbranch_execnz .LBB4_6459
	s_branch .LBB4_6460
.LBB4_6699:                             ;   in Loop: Header=BB4_6082 Depth=3
	s_or_saveexec_b32 s18, s18
	v_mov_b32_e32 v1, 0x7f800001
	s_xor_b32 exec_lo, exec_lo, s18
	s_cbranch_execz .LBB4_6464
.LBB4_6700:                             ;   in Loop: Header=BB4_6082 Depth=3
	v_cmp_ne_u16_sdwa s22, v9, v2 src0_sel:BYTE_3 src1_sel:DWORD
	v_mov_b32_e32 v1, 0
	s_andn2_b32 s17, s17, exec_lo
	s_and_b32 s22, s22, exec_lo
	s_or_b32 s17, s17, s22
	s_or_b32 exec_lo, exec_lo, s18
	s_and_saveexec_b32 s18, s17
	s_cbranch_execnz .LBB4_6465
	s_branch .LBB4_6466
.LBB4_6701:                             ;   in Loop: Header=BB4_6082 Depth=3
	s_or_saveexec_b32 s18, s18
	v_mov_b32_e32 v21, 0x7f800001
	s_xor_b32 exec_lo, exec_lo, s18
	s_cbranch_execz .LBB4_6478
.LBB4_6702:                             ;   in Loop: Header=BB4_6082 Depth=3
	v_cmp_ne_u16_sdwa s22, v1, v2 src0_sel:BYTE_0 src1_sel:DWORD
	v_mov_b32_e32 v21, 0
	s_andn2_b32 s17, s17, exec_lo
	s_and_b32 s22, s22, exec_lo
	s_or_b32 s17, s17, s22
	s_or_b32 exec_lo, exec_lo, s18
	s_and_saveexec_b32 s18, s17
	s_cbranch_execnz .LBB4_6479
	s_branch .LBB4_6480
.LBB4_6703:                             ;   in Loop: Header=BB4_6082 Depth=3
	s_or_saveexec_b32 s18, s18
	v_mov_b32_e32 v31, 0x7f800001
	s_xor_b32 exec_lo, exec_lo, s18
	s_cbranch_execz .LBB4_6484
.LBB4_6704:                             ;   in Loop: Header=BB4_6082 Depth=3
	v_cmp_ne_u16_sdwa s22, v10, v2 src0_sel:BYTE_0 src1_sel:DWORD
	v_mov_b32_e32 v31, 0
	s_andn2_b32 s17, s17, exec_lo
	s_and_b32 s22, s22, exec_lo
	s_or_b32 s17, s17, s22
	s_or_b32 exec_lo, exec_lo, s18
	s_and_saveexec_b32 s18, s17
	s_cbranch_execnz .LBB4_6485
	s_branch .LBB4_6486
.LBB4_6705:                             ;   in Loop: Header=BB4_6082 Depth=3
	s_or_saveexec_b32 s18, s18
	v_mov_b32_e32 v31, 0x7f800001
	s_xor_b32 exec_lo, exec_lo, s18
	s_cbranch_execz .LBB4_6498
.LBB4_6706:                             ;   in Loop: Header=BB4_6082 Depth=3
	v_cmp_ne_u16_sdwa s22, v1, v2 src0_sel:BYTE_1 src1_sel:DWORD
	v_mov_b32_e32 v31, 0
	s_andn2_b32 s17, s17, exec_lo
	s_and_b32 s22, s22, exec_lo
	s_or_b32 s17, s17, s22
	s_or_b32 exec_lo, exec_lo, s18
	s_and_saveexec_b32 s18, s17
	s_cbranch_execnz .LBB4_6499
	s_branch .LBB4_6500
.LBB4_6707:                             ;   in Loop: Header=BB4_6082 Depth=3
	s_or_saveexec_b32 s18, s18
	v_mov_b32_e32 v37, 0x7f800001
	s_xor_b32 exec_lo, exec_lo, s18
	s_cbranch_execz .LBB4_6504
.LBB4_6708:                             ;   in Loop: Header=BB4_6082 Depth=3
	v_cmp_ne_u16_sdwa s22, v10, v2 src0_sel:BYTE_1 src1_sel:DWORD
	v_mov_b32_e32 v37, 0
	s_andn2_b32 s17, s17, exec_lo
	s_and_b32 s22, s22, exec_lo
	s_or_b32 s17, s17, s22
	s_or_b32 exec_lo, exec_lo, s18
	s_and_saveexec_b32 s18, s17
	s_cbranch_execnz .LBB4_6505
	s_branch .LBB4_6506
.LBB4_6709:                             ;   in Loop: Header=BB4_6082 Depth=3
	s_or_saveexec_b32 s18, s18
	v_mov_b32_e32 v36, 0x7f800001
	s_xor_b32 exec_lo, exec_lo, s18
	s_cbranch_execz .LBB4_6518
.LBB4_6710:                             ;   in Loop: Header=BB4_6082 Depth=3
	v_cmp_ne_u16_sdwa s22, v4, v2 src0_sel:BYTE_0 src1_sel:DWORD
	v_mov_b32_e32 v36, 0
	s_andn2_b32 s17, s17, exec_lo
	s_and_b32 s22, s22, exec_lo
	s_or_b32 s17, s17, s22
	s_or_b32 exec_lo, exec_lo, s18
	v_lshl_or_b32 v4, v4, 16, v1
	s_and_saveexec_b32 s18, s17
	s_cbranch_execnz .LBB4_6519
	s_branch .LBB4_6520
.LBB4_6711:                             ;   in Loop: Header=BB4_6082 Depth=3
	s_or_saveexec_b32 s18, s18
	v_mov_b32_e32 v1, 0x7f800001
	s_xor_b32 exec_lo, exec_lo, s18
	s_cbranch_execz .LBB4_6524
.LBB4_6712:                             ;   in Loop: Header=BB4_6082 Depth=3
	v_cmp_ne_u16_e32 vcc_lo, 0, v37
	v_mov_b32_e32 v1, 0
	s_andn2_b32 s17, s17, exec_lo
	s_and_b32 s22, vcc_lo, exec_lo
	s_or_b32 s17, s17, s22
	s_or_b32 exec_lo, exec_lo, s18
	s_and_saveexec_b32 s18, s17
	s_cbranch_execnz .LBB4_6525
	s_branch .LBB4_6526
.LBB4_6713:                             ;   in Loop: Header=BB4_6082 Depth=3
	s_or_saveexec_b32 s18, s18
	v_mov_b32_e32 v36, 0x7f800001
	s_xor_b32 exec_lo, exec_lo, s18
	s_cbranch_execz .LBB4_6538
.LBB4_6714:                             ;   in Loop: Header=BB4_6082 Depth=3
	v_cmp_ne_u16_sdwa s22, v4, v2 src0_sel:BYTE_3 src1_sel:DWORD
	v_mov_b32_e32 v36, 0
	s_andn2_b32 s17, s17, exec_lo
	s_and_b32 s22, s22, exec_lo
	s_or_b32 s17, s17, s22
	s_or_b32 exec_lo, exec_lo, s18
	s_and_saveexec_b32 s18, s17
	s_cbranch_execnz .LBB4_6539
	s_branch .LBB4_6540
.LBB4_6715:                             ;   in Loop: Header=BB4_6082 Depth=3
	s_or_saveexec_b32 s18, s18
	v_mov_b32_e32 v4, 0x7f800001
	s_xor_b32 exec_lo, exec_lo, s18
	s_cbranch_execz .LBB4_6544
.LBB4_6716:                             ;   in Loop: Header=BB4_6082 Depth=3
	v_cmp_ne_u16_sdwa s22, v10, v2 src0_sel:BYTE_3 src1_sel:DWORD
	v_mov_b32_e32 v4, 0
	s_andn2_b32 s17, s17, exec_lo
	s_and_b32 s22, s22, exec_lo
	s_or_b32 s17, s17, s22
	s_or_b32 exec_lo, exec_lo, s18
	s_and_saveexec_b32 s18, s17
	s_cbranch_execnz .LBB4_6545
	s_branch .LBB4_6546
.LBB4_6717:                             ;   in Loop: Header=BB4_6082 Depth=3
	s_or_saveexec_b32 s18, s18
	v_mov_b32_e32 v5, 0x7f800001
	s_xor_b32 exec_lo, exec_lo, s18
	s_cbranch_execz .LBB4_6558
.LBB4_6718:                             ;   in Loop: Header=BB4_6082 Depth=3
	v_cmp_ne_u16_sdwa s22, v10, v2 src0_sel:BYTE_0 src1_sel:DWORD
	v_mov_b32_e32 v5, 0
	s_andn2_b32 s17, s17, exec_lo
	s_and_b32 s22, s22, exec_lo
	s_or_b32 s17, s17, s22
	s_or_b32 exec_lo, exec_lo, s18
	s_and_saveexec_b32 s18, s17
	s_cbranch_execnz .LBB4_6559
	s_branch .LBB4_6560
.LBB4_6719:                             ;   in Loop: Header=BB4_6082 Depth=3
	s_or_saveexec_b32 s18, s18
	v_mov_b32_e32 v18, 0x7f800001
	s_xor_b32 exec_lo, exec_lo, s18
	s_cbranch_execz .LBB4_6564
.LBB4_6720:                             ;   in Loop: Header=BB4_6082 Depth=3
	v_cmp_ne_u16_sdwa s22, v11, v2 src0_sel:BYTE_0 src1_sel:DWORD
	v_mov_b32_e32 v18, 0
	s_andn2_b32 s17, s17, exec_lo
	s_and_b32 s22, s22, exec_lo
	s_or_b32 s17, s17, s22
	s_or_b32 exec_lo, exec_lo, s18
	s_and_saveexec_b32 s18, s17
	s_cbranch_execnz .LBB4_6565
	s_branch .LBB4_6566
.LBB4_6721:                             ;   in Loop: Header=BB4_6082 Depth=3
	s_or_saveexec_b32 s18, s18
	v_mov_b32_e32 v18, 0x7f800001
	s_xor_b32 exec_lo, exec_lo, s18
	s_cbranch_execz .LBB4_6578
.LBB4_6722:                             ;   in Loop: Header=BB4_6082 Depth=3
	v_cmp_ne_u16_sdwa s22, v10, v2 src0_sel:BYTE_1 src1_sel:DWORD
	v_mov_b32_e32 v18, 0
	s_andn2_b32 s17, s17, exec_lo
	s_and_b32 s22, s22, exec_lo
	s_or_b32 s17, s17, s22
	s_or_b32 exec_lo, exec_lo, s18
	s_and_saveexec_b32 s18, s17
	s_cbranch_execnz .LBB4_6579
	s_branch .LBB4_6580
.LBB4_6723:                             ;   in Loop: Header=BB4_6082 Depth=3
	s_or_saveexec_b32 s18, s18
	v_mov_b32_e32 v36, 0x7f800001
	s_xor_b32 exec_lo, exec_lo, s18
	s_cbranch_execz .LBB4_6584
.LBB4_6724:                             ;   in Loop: Header=BB4_6082 Depth=3
	v_cmp_ne_u16_sdwa s22, v11, v2 src0_sel:BYTE_1 src1_sel:DWORD
	v_mov_b32_e32 v36, 0
	s_andn2_b32 s17, s17, exec_lo
	s_and_b32 s22, s22, exec_lo
	s_or_b32 s17, s17, s22
	s_or_b32 exec_lo, exec_lo, s18
	s_and_saveexec_b32 s18, s17
	s_cbranch_execnz .LBB4_6585
	s_branch .LBB4_6586
.LBB4_6725:                             ;   in Loop: Header=BB4_6082 Depth=3
	s_or_saveexec_b32 s18, s18
	v_mov_b32_e32 v20, 0x7f800001
	s_xor_b32 exec_lo, exec_lo, s18
	s_cbranch_execz .LBB4_6598
.LBB4_6726:                             ;   in Loop: Header=BB4_6082 Depth=3
	v_cmp_ne_u16_sdwa s22, v17, v2 src0_sel:BYTE_0 src1_sel:DWORD
	v_mov_b32_e32 v20, 0
	s_andn2_b32 s17, s17, exec_lo
	s_and_b32 s22, s22, exec_lo
	s_or_b32 s17, s17, s22
	s_or_b32 exec_lo, exec_lo, s18
	v_lshl_or_b32 v17, v17, 16, v10
	s_and_saveexec_b32 s18, s17
	s_cbranch_execnz .LBB4_6599
	s_branch .LBB4_6600
.LBB4_6727:                             ;   in Loop: Header=BB4_6082 Depth=3
	s_or_saveexec_b32 s18, s18
	v_mov_b32_e32 v10, 0x7f800001
	s_xor_b32 exec_lo, exec_lo, s18
	s_cbranch_execz .LBB4_6604
.LBB4_6728:                             ;   in Loop: Header=BB4_6082 Depth=3
	v_cmp_ne_u16_e32 vcc_lo, 0, v36
	v_mov_b32_e32 v10, 0
	s_andn2_b32 s17, s17, exec_lo
	s_and_b32 s22, vcc_lo, exec_lo
	s_or_b32 s17, s17, s22
	s_or_b32 exec_lo, exec_lo, s18
	s_and_saveexec_b32 s18, s17
	s_cbranch_execnz .LBB4_6605
	s_branch .LBB4_6606
.LBB4_6729:                             ;   in Loop: Header=BB4_6082 Depth=3
	s_or_saveexec_b32 s18, s18
	v_mov_b32_e32 v20, 0x7f800001
	s_xor_b32 exec_lo, exec_lo, s18
	s_cbranch_execz .LBB4_6618
.LBB4_6730:                             ;   in Loop: Header=BB4_6082 Depth=3
	v_cmp_ne_u16_sdwa s22, v17, v2 src0_sel:BYTE_3 src1_sel:DWORD
	v_mov_b32_e32 v20, 0
	s_andn2_b32 s17, s17, exec_lo
	s_and_b32 s22, s22, exec_lo
	s_or_b32 s17, s17, s22
	s_or_b32 exec_lo, exec_lo, s18
	s_and_saveexec_b32 s18, s17
	s_cbranch_execnz .LBB4_6619
	s_branch .LBB4_6620
.LBB4_6731:                             ;   in Loop: Header=BB4_6082 Depth=3
	s_or_saveexec_b32 s18, s18
	v_mov_b32_e32 v17, 0x7f800001
	s_xor_b32 exec_lo, exec_lo, s18
	s_cbranch_execz .LBB4_6624
.LBB4_6732:                             ;   in Loop: Header=BB4_6082 Depth=3
	v_cmp_ne_u16_sdwa s22, v11, v2 src0_sel:BYTE_3 src1_sel:DWORD
	v_mov_b32_e32 v17, 0
	s_andn2_b32 s17, s17, exec_lo
	s_and_b32 s22, s22, exec_lo
	s_or_b32 s17, s17, s22
	s_or_b32 exec_lo, exec_lo, s18
	s_and_saveexec_b32 s18, s17
	s_cbranch_execnz .LBB4_6625
	s_branch .LBB4_6626
.LBB4_6733:                             ;   in Loop: Header=BB4_4707 Depth=2
	s_or_b32 exec_lo, exec_lo, s73
.LBB4_6734:                             ;   in Loop: Header=BB4_4707 Depth=2
	s_or_b32 exec_lo, exec_lo, s72
	v_and_b32_e32 v1, 15, v61
	v_cmp_lt_i32_e32 vcc_lo, 0, v80
	v_sub_nc_u32_e32 v4, v69, v1
	v_cndmask_b32_e32 v5, 0, v87, vcc_lo
	v_cndmask_b32_e64 v69, v69, v1, s16
	v_cndmask_b32_e64 v1, 0, v4, s16
	v_sub_nc_u32_e32 v4, v5, v80
	v_cmp_ne_u32_e32 vcc_lo, 0, v69
	v_add3_u32 v68, v68, v71, v1
	v_lshl_add_u32 v70, v4, 5, v70
	s_and_b32 s16, vcc_lo, exec_lo
.LBB4_6735:                             ;   in Loop: Header=BB4_4707 Depth=2
	s_or_b32 exec_lo, exec_lo, s19
	s_and_saveexec_b32 s22, s16
	s_cbranch_execz .LBB4_7442
.LBB4_6736:                             ;   in Loop: Header=BB4_4707 Depth=2
	v_ashrrev_i32_e32 v1, 31, v70
	v_ashrrev_i32_e32 v4, 31, v69
	s_mov_b32 s17, exec_lo
	v_lshrrev_b32_e32 v1, 27, v1
	v_lshrrev_b32_e32 v4, 23, v4
	v_add_nc_u32_e32 v1, v70, v1
	v_add_nc_u32_e32 v4, v69, v4
	v_ashrrev_i32_e32 v71, 5, v1
	v_ashrrev_i32_e32 v81, 9, v4
	v_sub_nc_u32_e32 v80, v81, v71
	v_cmpx_lt_i32_e32 0, v80
	s_cbranch_execz .LBB4_7388
; %bb.6737:                             ;   in Loop: Header=BB4_4707 Depth=2
	v_and_b32_e32 v1, 0xffffffe0, v1
	s_trap 2
	ds_read_b64 v[4:5], v0
	v_lshlrev_b32_e32 v8, 9, v71
	s_mov_b32 s18, 0
	v_sub_nc_u32_e32 v1, v70, v1
	v_add3_u32 v1, v68, v1, v8
	v_ashrrev_i32_e32 v15, 31, v1
	v_add_co_u32 v8, vcc_lo, v1, v64
	v_add_co_ci_u32_e64 v9, null, v15, v65, vcc_lo
	v_add_co_u32 v10, vcc_lo, v1, v66
	v_add_co_ci_u32_e64 v11, null, v15, v67, vcc_lo
	;; [unrolled: 2-line block ×3, first 2 shown]
	s_waitcnt lgkmcnt(0)
	v_add_co_u32 v14, vcc_lo, v4, v1
	v_add_co_ci_u32_e64 v15, null, v5, v15, vcc_lo
	s_branch .LBB4_6741
.LBB4_6738:                             ;   in Loop: Header=BB4_6741 Depth=3
	s_or_b32 exec_lo, exec_lo, s16
	v_lshrrev_b32_e32 v21, 21, v21
	v_cmp_gt_i32_e32 vcc_lo, 32, v17
	v_min_i32_e32 v36, 31, v17
	v_and_b32_sdwa v16, v16, v101 dst_sel:DWORD dst_unused:UNUSED_PAD src0_sel:BYTE_3 src1_sel:DWORD
	v_cndmask_b32_e32 v21, 3, v21, vcc_lo
	v_lshlrev_b32_e32 v36, 2, v36
	v_and_b32_e32 v37, 3, v21
	v_or_b32_e32 v17, v17, v21
	v_or3_b32 v16, v36, v16, v37
	v_cmp_ne_u32_e32 vcc_lo, 0, v17
	v_cndmask_b32_e32 v17, 0, v16, vcc_lo
.LBB4_6739:                             ;   in Loop: Header=BB4_6741 Depth=3
	s_or_b32 exec_lo, exec_lo, s23
.LBB4_6740:                             ;   in Loop: Header=BB4_6741 Depth=3
	s_or_b32 exec_lo, exec_lo, s19
	v_add_co_u32 v12, vcc_lo, v12, v117
	v_sub_nc_u32_e32 v80, v80, v87
	v_add_co_ci_u32_e64 v13, null, 0, v13, vcc_lo
	v_add_co_u32 v14, vcc_lo, v14, v117
	flat_store_byte v[8:9], v19 glc slc
	flat_store_byte v[8:9], v66 offset:32 glc slc
	flat_store_byte v[8:9], v83 offset:64 glc slc
	;; [unrolled: 1-line block ×15, first 2 shown]
	flat_store_byte v[10:11], v19 glc slc
	flat_store_byte v[10:11], v66 offset:32 glc slc
	flat_store_byte v[10:11], v83 offset:64 glc slc
	;; [unrolled: 1-line block ×15, first 2 shown]
	v_add_co_ci_u32_e64 v15, null, 0, v15, vcc_lo
	v_add_co_u32 v8, vcc_lo, v8, v117
	v_add_co_ci_u32_e64 v9, null, 0, v9, vcc_lo
	v_cmp_gt_i32_e32 vcc_lo, 1, v80
	v_add_co_u32 v10, s16, v10, v117
	v_add_co_ci_u32_e64 v11, null, 0, v11, s16
	s_or_b32 s18, vcc_lo, s18
	s_andn2_b32 exec_lo, exec_lo, s18
	s_cbranch_execz .LBB4_7387
.LBB4_6741:                             ;   Parent Loop BB4_47 Depth=1
                                        ;     Parent Loop BB4_4707 Depth=2
                                        ; =>    This Inner Loop Header: Depth=3
	s_trap 2
	ds_read_b64 v[66:67], v0
	s_waitcnt lgkmcnt(0)
	v_readfirstlane_b32 s16, v66
	s_and_b32 s19, s16, 0xff
	s_cmpk_lt_i32 s19, 0x80
	s_cbranch_scc1 .LBB4_6745
; %bb.6742:                             ;   in Loop: Header=BB4_6741 Depth=3
	s_and_b32 s23, 0xffff, s19
	s_cmpk_eq_i32 s23, 0x80
	s_mov_b32 s23, -1
	s_cbranch_scc0 .LBB4_6744
; %bb.6743:                             ;   in Loop: Header=BB4_6741 Depth=3
	s_mov_b32 s23, 0
.LBB4_6744:                             ;   in Loop: Header=BB4_6741 Depth=3
	s_mov_b32 s72, 0x7f800001
	s_branch .LBB4_6747
.LBB4_6745:                             ;   in Loop: Header=BB4_6741 Depth=3
	s_mov_b32 s23, 0
	s_mov_b32 s72, 0x7f800001
	s_cbranch_execz .LBB4_6747
; %bb.6746:                             ;   in Loop: Header=BB4_6741 Depth=3
	s_and_b32 s19, 0xffff, s19
	s_mov_b32 s72, 0
	s_cmp_lg_u32 s19, 0
	s_cselect_b32 s23, -1, 0
.LBB4_6747:                             ;   in Loop: Header=BB4_6741 Depth=3
	v_mov_b32_e32 v16, s72
	s_andn2_b32 vcc_lo, exec_lo, s23
	s_cbranch_vccnz .LBB4_6749
; %bb.6748:                             ;   in Loop: Header=BB4_6741 Depth=3
	s_and_b32 s19, s16, 3
	s_bfe_u32 s72, s16, 0x50002
	s_flbit_i32_b32 s23, s19
	v_lshlrev_b32_e32 v1, 24, v66
	s_min_u32 s23, s23, 32
	s_sub_i32 s73, s23, 29
	s_sub_i32 s23, 30, s23
	s_lshl_b32 s16, s16, s73
	v_and_b32_e32 v1, 0x80000000, v1
	s_and_b32 s16, s16, 3
	s_cmp_eq_u32 s72, 0
	s_cselect_b32 s23, s23, s72
	s_cselect_b32 s16, s16, s19
	s_lshl_b32 s19, s23, 23
	s_lshl_b32 s16, s16, 21
	s_add_i32 s19, s19, 0x37800000
	v_or_b32_e32 v1, s19, v1
	v_or_b32_e32 v16, s16, v1
.LBB4_6749:                             ;   in Loop: Header=BB4_6741 Depth=3
	flat_load_ubyte v1, v[12:13] slc
	s_mov_b32 s16, 0
	s_mov_b32 s19, exec_lo
	s_waitcnt vmcnt(0) lgkmcnt(0)
	v_cmpx_lt_i16_e32 0x7f, v1
	s_xor_b32 s19, exec_lo, s19
	s_cbranch_execz .LBB4_7291
; %bb.6750:                             ;   in Loop: Header=BB4_6741 Depth=3
	s_mov_b32 s16, -1
	s_mov_b32 s23, exec_lo
	v_cmpx_eq_u16_e32 0x80, v1
; %bb.6751:                             ;   in Loop: Header=BB4_6741 Depth=3
	s_xor_b32 s16, exec_lo, -1
; %bb.6752:                             ;   in Loop: Header=BB4_6741 Depth=3
	s_or_b32 exec_lo, exec_lo, s23
	s_and_b32 s16, s16, exec_lo
	s_or_saveexec_b32 s19, s19
	v_mov_b32_e32 v4, 0x7f800001
	s_xor_b32 exec_lo, exec_lo, s19
	s_cbranch_execnz .LBB4_7292
.LBB4_6753:                             ;   in Loop: Header=BB4_6741 Depth=3
	s_or_b32 exec_lo, exec_lo, s19
	s_and_saveexec_b32 s19, s16
	s_cbranch_execz .LBB4_6755
.LBB4_6754:                             ;   in Loop: Header=BB4_6741 Depth=3
	v_and_b32_e32 v4, 0xffff, v1
	v_lshlrev_b32_e32 v1, 24, v1
	v_and_b32_e32 v5, 3, v4
	v_bfe_u32 v19, v4, 2, 5
	v_and_b32_e32 v1, 0x80000000, v1
	v_ffbh_u32_e32 v17, v5
	v_cmp_eq_u32_e32 vcc_lo, 0, v19
	v_min_u32_e32 v17, 32, v17
	v_subrev_nc_u32_e32 v18, 29, v17
	v_sub_nc_u32_e32 v17, 30, v17
	v_lshlrev_b32_e32 v4, v18, v4
	v_cndmask_b32_e32 v17, v19, v17, vcc_lo
	v_and_b32_e32 v4, 3, v4
	v_cndmask_b32_e32 v4, v5, v4, vcc_lo
	v_lshl_add_u32 v5, v17, 23, 0x37800000
	v_lshlrev_b32_e32 v4, 21, v4
	v_or3_b32 v4, v1, v5, v4
.LBB4_6755:                             ;   in Loop: Header=BB4_6741 Depth=3
	s_or_b32 exec_lo, exec_lo, s19
	v_mul_f32_e32 v1, v16, v4
	v_mov_b32_e32 v19, 0x80
	s_mov_b32 s19, exec_lo
	v_and_b32_e32 v4, 0x7f800000, v1
	v_cmpx_ne_u32_e32 0x7f800000, v4
	s_cbranch_execz .LBB4_6763
; %bb.6756:                             ;   in Loop: Header=BB4_6741 Depth=3
	v_mov_b32_e32 v19, 0
	s_mov_b32 s23, exec_lo
	v_cmpx_ne_u32_e32 0, v1
	s_cbranch_execz .LBB4_6762
; %bb.6757:                             ;   in Loop: Header=BB4_6741 Depth=3
	v_bfe_u32 v4, v1, 23, 8
	v_and_b32_e32 v5, 0x7fffff, v1
	v_sub_nc_u32_e32 v17, 0x70, v4
	v_cmp_gt_u32_e32 vcc_lo, 0x71, v4
	v_or_b32_e32 v18, 0x800000, v5
	v_cndmask_b32_e32 v17, 0, v17, vcc_lo
	v_cmp_eq_u32_e32 vcc_lo, 0, v4
	v_add_nc_u32_e32 v4, 0xffffff91, v4
	v_cndmask_b32_e64 v17, v17, 0x6f, vcc_lo
	v_cndmask_b32_e32 v5, v18, v5, vcc_lo
	v_cndmask_b32_e64 v4, v4, 0xffffff92, vcc_lo
	v_lshl_add_u32 v18, 0x200000, v17, -1
	v_lshrrev_b32_e32 v19, v17, v5
	v_lshlrev_b32_e64 v21, v17, 0x100000
	v_add_nc_u32_e32 v17, v17, v4
	v_and_b32_e32 v5, v18, v5
	v_bfe_u32 v20, v19, 21, 1
	v_cmp_eq_u32_e64 s16, v5, v21
	v_add_nc_u32_e32 v18, -1, v20
	v_cndmask_b32_e64 v5, 0, v18, s16
	v_lshrrev_b32_e32 v18, 23, v19
	s_mov_b32 s16, exec_lo
	v_add_nc_u32_e32 v5, v5, v19
	v_xor_b32_e32 v18, 1, v18
	v_and_b32_e32 v4, 0x1fffff, v5
	v_add_nc_u32_e32 v5, v4, v19
                                        ; implicit-def: $vgpr4
	v_cmpx_ne_u32_e64 v17, v18
	s_xor_b32 s16, exec_lo, s16
; %bb.6758:                             ;   in Loop: Header=BB4_6741 Depth=3
	v_cmp_lt_u32_e32 vcc_lo, 0xffffff, v5
	v_sub_nc_u32_e32 v4, v17, v18
	v_cndmask_b32_e64 v17, 0, 1, vcc_lo
	v_add_co_ci_u32_e64 v4, null, 0, v4, vcc_lo
	v_lshrrev_b32_e32 v5, v17, v5
; %bb.6759:                             ;   in Loop: Header=BB4_6741 Depth=3
	s_andn2_saveexec_b32 s16, s16
; %bb.6760:                             ;   in Loop: Header=BB4_6741 Depth=3
	v_bfe_u32 v4, v5, 23, 1
; %bb.6761:                             ;   in Loop: Header=BB4_6741 Depth=3
	s_or_b32 exec_lo, exec_lo, s16
	v_lshrrev_b32_e32 v5, 21, v5
	v_cmp_gt_i32_e32 vcc_lo, 32, v4
	v_min_i32_e32 v17, 31, v4
	v_and_b32_sdwa v1, v1, v101 dst_sel:DWORD dst_unused:UNUSED_PAD src0_sel:BYTE_3 src1_sel:DWORD
	v_cndmask_b32_e32 v5, 3, v5, vcc_lo
	v_lshlrev_b32_e32 v17, 2, v17
	v_and_b32_e32 v18, 3, v5
	v_or_b32_e32 v4, v4, v5
	v_or3_b32 v1, v17, v1, v18
	v_cmp_ne_u32_e32 vcc_lo, 0, v4
	v_cndmask_b32_e32 v19, 0, v1, vcc_lo
.LBB4_6762:                             ;   in Loop: Header=BB4_6741 Depth=3
	s_or_b32 exec_lo, exec_lo, s23
.LBB4_6763:                             ;   in Loop: Header=BB4_6741 Depth=3
	s_or_b32 exec_lo, exec_lo, s19
	flat_load_ubyte v1, v[12:13] offset:32 slc
	s_mov_b32 s16, 0
	s_mov_b32 s19, exec_lo
	s_waitcnt vmcnt(0) lgkmcnt(0)
	v_cmpx_lt_i16_e32 0x7f, v1
	s_xor_b32 s19, exec_lo, s19
	s_cbranch_execz .LBB4_7293
; %bb.6764:                             ;   in Loop: Header=BB4_6741 Depth=3
	s_mov_b32 s16, -1
	s_mov_b32 s23, exec_lo
	v_cmpx_eq_u16_e32 0x80, v1
; %bb.6765:                             ;   in Loop: Header=BB4_6741 Depth=3
	s_xor_b32 s16, exec_lo, -1
; %bb.6766:                             ;   in Loop: Header=BB4_6741 Depth=3
	s_or_b32 exec_lo, exec_lo, s23
	s_and_b32 s16, s16, exec_lo
	s_or_saveexec_b32 s19, s19
	v_mov_b32_e32 v4, 0x7f800001
	s_xor_b32 exec_lo, exec_lo, s19
	s_cbranch_execnz .LBB4_7294
.LBB4_6767:                             ;   in Loop: Header=BB4_6741 Depth=3
	s_or_b32 exec_lo, exec_lo, s19
	s_and_saveexec_b32 s19, s16
	s_cbranch_execz .LBB4_6769
.LBB4_6768:                             ;   in Loop: Header=BB4_6741 Depth=3
	v_and_b32_e32 v4, 0xffff, v1
	v_lshlrev_b32_e32 v1, 24, v1
	v_and_b32_e32 v5, 3, v4
	v_bfe_u32 v20, v4, 2, 5
	v_and_b32_e32 v1, 0x80000000, v1
	v_ffbh_u32_e32 v17, v5
	v_cmp_eq_u32_e32 vcc_lo, 0, v20
	v_min_u32_e32 v17, 32, v17
	v_subrev_nc_u32_e32 v18, 29, v17
	v_sub_nc_u32_e32 v17, 30, v17
	v_lshlrev_b32_e32 v4, v18, v4
	v_cndmask_b32_e32 v17, v20, v17, vcc_lo
	v_and_b32_e32 v4, 3, v4
	v_cndmask_b32_e32 v4, v5, v4, vcc_lo
	v_lshl_add_u32 v5, v17, 23, 0x37800000
	v_lshlrev_b32_e32 v4, 21, v4
	v_or3_b32 v4, v1, v5, v4
.LBB4_6769:                             ;   in Loop: Header=BB4_6741 Depth=3
	s_or_b32 exec_lo, exec_lo, s19
	v_mul_f32_e32 v1, v16, v4
	v_mov_b32_e32 v66, 0x80
	s_mov_b32 s19, exec_lo
	v_and_b32_e32 v4, 0x7f800000, v1
	v_cmpx_ne_u32_e32 0x7f800000, v4
	s_cbranch_execz .LBB4_6777
; %bb.6770:                             ;   in Loop: Header=BB4_6741 Depth=3
	v_mov_b32_e32 v66, 0
	s_mov_b32 s23, exec_lo
	v_cmpx_ne_u32_e32 0, v1
	s_cbranch_execz .LBB4_6776
; %bb.6771:                             ;   in Loop: Header=BB4_6741 Depth=3
	v_bfe_u32 v4, v1, 23, 8
	v_and_b32_e32 v5, 0x7fffff, v1
	v_sub_nc_u32_e32 v17, 0x70, v4
	v_cmp_gt_u32_e32 vcc_lo, 0x71, v4
	v_or_b32_e32 v18, 0x800000, v5
	v_cndmask_b32_e32 v17, 0, v17, vcc_lo
	v_cmp_eq_u32_e32 vcc_lo, 0, v4
	v_add_nc_u32_e32 v4, 0xffffff91, v4
	v_cndmask_b32_e64 v17, v17, 0x6f, vcc_lo
	v_cndmask_b32_e32 v5, v18, v5, vcc_lo
	v_cndmask_b32_e64 v4, v4, 0xffffff92, vcc_lo
	v_lshl_add_u32 v18, 0x200000, v17, -1
	v_lshrrev_b32_e32 v20, v17, v5
	v_lshlrev_b32_e64 v30, v17, 0x100000
	v_add_nc_u32_e32 v17, v17, v4
	v_and_b32_e32 v5, v18, v5
	v_bfe_u32 v21, v20, 21, 1
	v_cmp_eq_u32_e64 s16, v5, v30
	v_add_nc_u32_e32 v18, -1, v21
	v_cndmask_b32_e64 v5, 0, v18, s16
	v_lshrrev_b32_e32 v18, 23, v20
	s_mov_b32 s16, exec_lo
	v_add_nc_u32_e32 v5, v5, v20
	v_xor_b32_e32 v18, 1, v18
	v_and_b32_e32 v4, 0x1fffff, v5
	v_add_nc_u32_e32 v5, v4, v20
                                        ; implicit-def: $vgpr4
	v_cmpx_ne_u32_e64 v17, v18
	s_xor_b32 s16, exec_lo, s16
; %bb.6772:                             ;   in Loop: Header=BB4_6741 Depth=3
	v_cmp_lt_u32_e32 vcc_lo, 0xffffff, v5
	v_sub_nc_u32_e32 v4, v17, v18
	v_cndmask_b32_e64 v17, 0, 1, vcc_lo
	v_add_co_ci_u32_e64 v4, null, 0, v4, vcc_lo
	v_lshrrev_b32_e32 v5, v17, v5
; %bb.6773:                             ;   in Loop: Header=BB4_6741 Depth=3
	s_andn2_saveexec_b32 s16, s16
; %bb.6774:                             ;   in Loop: Header=BB4_6741 Depth=3
	v_bfe_u32 v4, v5, 23, 1
; %bb.6775:                             ;   in Loop: Header=BB4_6741 Depth=3
	s_or_b32 exec_lo, exec_lo, s16
	v_lshrrev_b32_e32 v5, 21, v5
	v_cmp_gt_i32_e32 vcc_lo, 32, v4
	v_min_i32_e32 v17, 31, v4
	v_and_b32_sdwa v1, v1, v101 dst_sel:DWORD dst_unused:UNUSED_PAD src0_sel:BYTE_3 src1_sel:DWORD
	v_cndmask_b32_e32 v5, 3, v5, vcc_lo
	v_lshlrev_b32_e32 v17, 2, v17
	v_and_b32_e32 v18, 3, v5
	v_or_b32_e32 v4, v4, v5
	v_or3_b32 v1, v17, v1, v18
	v_cmp_ne_u32_e32 vcc_lo, 0, v4
	v_cndmask_b32_e32 v66, 0, v1, vcc_lo
.LBB4_6776:                             ;   in Loop: Header=BB4_6741 Depth=3
	s_or_b32 exec_lo, exec_lo, s23
.LBB4_6777:                             ;   in Loop: Header=BB4_6741 Depth=3
	s_or_b32 exec_lo, exec_lo, s19
	flat_load_ubyte v1, v[12:13] offset:64 slc
	s_mov_b32 s16, 0
	s_mov_b32 s19, exec_lo
	s_waitcnt vmcnt(0) lgkmcnt(0)
	v_cmpx_lt_i16_e32 0x7f, v1
	s_xor_b32 s19, exec_lo, s19
	s_cbranch_execz .LBB4_7295
; %bb.6778:                             ;   in Loop: Header=BB4_6741 Depth=3
	s_mov_b32 s16, -1
	s_mov_b32 s23, exec_lo
	v_cmpx_eq_u16_e32 0x80, v1
; %bb.6779:                             ;   in Loop: Header=BB4_6741 Depth=3
	s_xor_b32 s16, exec_lo, -1
; %bb.6780:                             ;   in Loop: Header=BB4_6741 Depth=3
	s_or_b32 exec_lo, exec_lo, s23
	s_and_b32 s16, s16, exec_lo
	s_or_saveexec_b32 s19, s19
	v_mov_b32_e32 v4, 0x7f800001
	s_xor_b32 exec_lo, exec_lo, s19
	s_cbranch_execnz .LBB4_7296
.LBB4_6781:                             ;   in Loop: Header=BB4_6741 Depth=3
	s_or_b32 exec_lo, exec_lo, s19
	s_and_saveexec_b32 s19, s16
	s_cbranch_execz .LBB4_6783
.LBB4_6782:                             ;   in Loop: Header=BB4_6741 Depth=3
	v_and_b32_e32 v4, 0xffff, v1
	v_lshlrev_b32_e32 v1, 24, v1
	v_and_b32_e32 v5, 3, v4
	v_bfe_u32 v20, v4, 2, 5
	v_and_b32_e32 v1, 0x80000000, v1
	v_ffbh_u32_e32 v17, v5
	v_cmp_eq_u32_e32 vcc_lo, 0, v20
	v_min_u32_e32 v17, 32, v17
	v_subrev_nc_u32_e32 v18, 29, v17
	v_sub_nc_u32_e32 v17, 30, v17
	v_lshlrev_b32_e32 v4, v18, v4
	v_cndmask_b32_e32 v17, v20, v17, vcc_lo
	v_and_b32_e32 v4, 3, v4
	v_cndmask_b32_e32 v4, v5, v4, vcc_lo
	v_lshl_add_u32 v5, v17, 23, 0x37800000
	v_lshlrev_b32_e32 v4, 21, v4
	v_or3_b32 v4, v1, v5, v4
.LBB4_6783:                             ;   in Loop: Header=BB4_6741 Depth=3
	s_or_b32 exec_lo, exec_lo, s19
	v_mul_f32_e32 v1, v16, v4
	v_mov_b32_e32 v83, 0x80
	s_mov_b32 s19, exec_lo
	v_and_b32_e32 v4, 0x7f800000, v1
	v_cmpx_ne_u32_e32 0x7f800000, v4
	s_cbranch_execz .LBB4_6791
; %bb.6784:                             ;   in Loop: Header=BB4_6741 Depth=3
	v_mov_b32_e32 v83, 0
	s_mov_b32 s23, exec_lo
	v_cmpx_ne_u32_e32 0, v1
	s_cbranch_execz .LBB4_6790
; %bb.6785:                             ;   in Loop: Header=BB4_6741 Depth=3
	v_bfe_u32 v4, v1, 23, 8
	v_and_b32_e32 v5, 0x7fffff, v1
	v_sub_nc_u32_e32 v17, 0x70, v4
	v_cmp_gt_u32_e32 vcc_lo, 0x71, v4
	v_or_b32_e32 v18, 0x800000, v5
	v_cndmask_b32_e32 v17, 0, v17, vcc_lo
	v_cmp_eq_u32_e32 vcc_lo, 0, v4
	v_add_nc_u32_e32 v4, 0xffffff91, v4
	v_cndmask_b32_e64 v17, v17, 0x6f, vcc_lo
	v_cndmask_b32_e32 v5, v18, v5, vcc_lo
	v_cndmask_b32_e64 v4, v4, 0xffffff92, vcc_lo
	v_lshl_add_u32 v18, 0x200000, v17, -1
	v_lshrrev_b32_e32 v20, v17, v5
	v_lshlrev_b32_e64 v30, v17, 0x100000
	v_add_nc_u32_e32 v17, v17, v4
	v_and_b32_e32 v5, v18, v5
	v_bfe_u32 v21, v20, 21, 1
	v_cmp_eq_u32_e64 s16, v5, v30
	v_add_nc_u32_e32 v18, -1, v21
	v_cndmask_b32_e64 v5, 0, v18, s16
	v_lshrrev_b32_e32 v18, 23, v20
	s_mov_b32 s16, exec_lo
	v_add_nc_u32_e32 v5, v5, v20
	v_xor_b32_e32 v18, 1, v18
	v_and_b32_e32 v4, 0x1fffff, v5
	v_add_nc_u32_e32 v5, v4, v20
                                        ; implicit-def: $vgpr4
	v_cmpx_ne_u32_e64 v17, v18
	s_xor_b32 s16, exec_lo, s16
; %bb.6786:                             ;   in Loop: Header=BB4_6741 Depth=3
	v_cmp_lt_u32_e32 vcc_lo, 0xffffff, v5
	v_sub_nc_u32_e32 v4, v17, v18
	v_cndmask_b32_e64 v17, 0, 1, vcc_lo
	v_add_co_ci_u32_e64 v4, null, 0, v4, vcc_lo
	v_lshrrev_b32_e32 v5, v17, v5
; %bb.6787:                             ;   in Loop: Header=BB4_6741 Depth=3
	s_andn2_saveexec_b32 s16, s16
; %bb.6788:                             ;   in Loop: Header=BB4_6741 Depth=3
	v_bfe_u32 v4, v5, 23, 1
; %bb.6789:                             ;   in Loop: Header=BB4_6741 Depth=3
	s_or_b32 exec_lo, exec_lo, s16
	v_lshrrev_b32_e32 v5, 21, v5
	v_cmp_gt_i32_e32 vcc_lo, 32, v4
	v_min_i32_e32 v17, 31, v4
	v_and_b32_sdwa v1, v1, v101 dst_sel:DWORD dst_unused:UNUSED_PAD src0_sel:BYTE_3 src1_sel:DWORD
	v_cndmask_b32_e32 v5, 3, v5, vcc_lo
	v_lshlrev_b32_e32 v17, 2, v17
	v_and_b32_e32 v18, 3, v5
	v_or_b32_e32 v4, v4, v5
	v_or3_b32 v1, v17, v1, v18
	v_cmp_ne_u32_e32 vcc_lo, 0, v4
	v_cndmask_b32_e32 v83, 0, v1, vcc_lo
.LBB4_6790:                             ;   in Loop: Header=BB4_6741 Depth=3
	s_or_b32 exec_lo, exec_lo, s23
.LBB4_6791:                             ;   in Loop: Header=BB4_6741 Depth=3
	s_or_b32 exec_lo, exec_lo, s19
	flat_load_ubyte v1, v[12:13] offset:96 slc
	s_mov_b32 s16, 0
	s_mov_b32 s19, exec_lo
	s_waitcnt vmcnt(0) lgkmcnt(0)
	v_cmpx_lt_i16_e32 0x7f, v1
	s_xor_b32 s19, exec_lo, s19
	s_cbranch_execz .LBB4_7297
; %bb.6792:                             ;   in Loop: Header=BB4_6741 Depth=3
	s_mov_b32 s16, -1
	s_mov_b32 s23, exec_lo
	v_cmpx_eq_u16_e32 0x80, v1
; %bb.6793:                             ;   in Loop: Header=BB4_6741 Depth=3
	s_xor_b32 s16, exec_lo, -1
; %bb.6794:                             ;   in Loop: Header=BB4_6741 Depth=3
	s_or_b32 exec_lo, exec_lo, s23
	s_and_b32 s16, s16, exec_lo
	s_or_saveexec_b32 s19, s19
	v_mov_b32_e32 v4, 0x7f800001
	s_xor_b32 exec_lo, exec_lo, s19
	s_cbranch_execnz .LBB4_7298
.LBB4_6795:                             ;   in Loop: Header=BB4_6741 Depth=3
	s_or_b32 exec_lo, exec_lo, s19
	s_and_saveexec_b32 s19, s16
	s_cbranch_execz .LBB4_6797
.LBB4_6796:                             ;   in Loop: Header=BB4_6741 Depth=3
	v_and_b32_e32 v4, 0xffff, v1
	v_lshlrev_b32_e32 v1, 24, v1
	v_and_b32_e32 v5, 3, v4
	v_bfe_u32 v20, v4, 2, 5
	v_and_b32_e32 v1, 0x80000000, v1
	v_ffbh_u32_e32 v17, v5
	v_cmp_eq_u32_e32 vcc_lo, 0, v20
	v_min_u32_e32 v17, 32, v17
	v_subrev_nc_u32_e32 v18, 29, v17
	v_sub_nc_u32_e32 v17, 30, v17
	v_lshlrev_b32_e32 v4, v18, v4
	v_cndmask_b32_e32 v17, v20, v17, vcc_lo
	v_and_b32_e32 v4, 3, v4
	v_cndmask_b32_e32 v4, v5, v4, vcc_lo
	v_lshl_add_u32 v5, v17, 23, 0x37800000
	v_lshlrev_b32_e32 v4, 21, v4
	v_or3_b32 v4, v1, v5, v4
.LBB4_6797:                             ;   in Loop: Header=BB4_6741 Depth=3
	s_or_b32 exec_lo, exec_lo, s19
	v_mul_f32_e32 v1, v16, v4
	v_mov_b32_e32 v74, 0x80
	s_mov_b32 s19, exec_lo
	v_and_b32_e32 v4, 0x7f800000, v1
	v_cmpx_ne_u32_e32 0x7f800000, v4
	s_cbranch_execz .LBB4_6805
; %bb.6798:                             ;   in Loop: Header=BB4_6741 Depth=3
	v_mov_b32_e32 v74, 0
	s_mov_b32 s23, exec_lo
	v_cmpx_ne_u32_e32 0, v1
	s_cbranch_execz .LBB4_6804
; %bb.6799:                             ;   in Loop: Header=BB4_6741 Depth=3
	v_bfe_u32 v4, v1, 23, 8
	v_and_b32_e32 v5, 0x7fffff, v1
	v_sub_nc_u32_e32 v17, 0x70, v4
	v_cmp_gt_u32_e32 vcc_lo, 0x71, v4
	v_or_b32_e32 v18, 0x800000, v5
	v_cndmask_b32_e32 v17, 0, v17, vcc_lo
	v_cmp_eq_u32_e32 vcc_lo, 0, v4
	v_add_nc_u32_e32 v4, 0xffffff91, v4
	v_cndmask_b32_e64 v17, v17, 0x6f, vcc_lo
	v_cndmask_b32_e32 v5, v18, v5, vcc_lo
	v_cndmask_b32_e64 v4, v4, 0xffffff92, vcc_lo
	v_lshl_add_u32 v18, 0x200000, v17, -1
	v_lshrrev_b32_e32 v20, v17, v5
	v_lshlrev_b32_e64 v30, v17, 0x100000
	v_add_nc_u32_e32 v17, v17, v4
	v_and_b32_e32 v5, v18, v5
	v_bfe_u32 v21, v20, 21, 1
	v_cmp_eq_u32_e64 s16, v5, v30
	v_add_nc_u32_e32 v18, -1, v21
	v_cndmask_b32_e64 v5, 0, v18, s16
	v_lshrrev_b32_e32 v18, 23, v20
	s_mov_b32 s16, exec_lo
	v_add_nc_u32_e32 v5, v5, v20
	v_xor_b32_e32 v18, 1, v18
	v_and_b32_e32 v4, 0x1fffff, v5
	v_add_nc_u32_e32 v5, v4, v20
                                        ; implicit-def: $vgpr4
	v_cmpx_ne_u32_e64 v17, v18
	s_xor_b32 s16, exec_lo, s16
; %bb.6800:                             ;   in Loop: Header=BB4_6741 Depth=3
	v_cmp_lt_u32_e32 vcc_lo, 0xffffff, v5
	v_sub_nc_u32_e32 v4, v17, v18
	v_cndmask_b32_e64 v17, 0, 1, vcc_lo
	v_add_co_ci_u32_e64 v4, null, 0, v4, vcc_lo
	v_lshrrev_b32_e32 v5, v17, v5
; %bb.6801:                             ;   in Loop: Header=BB4_6741 Depth=3
	s_andn2_saveexec_b32 s16, s16
; %bb.6802:                             ;   in Loop: Header=BB4_6741 Depth=3
	v_bfe_u32 v4, v5, 23, 1
; %bb.6803:                             ;   in Loop: Header=BB4_6741 Depth=3
	s_or_b32 exec_lo, exec_lo, s16
	v_lshrrev_b32_e32 v5, 21, v5
	v_cmp_gt_i32_e32 vcc_lo, 32, v4
	v_min_i32_e32 v17, 31, v4
	v_and_b32_sdwa v1, v1, v101 dst_sel:DWORD dst_unused:UNUSED_PAD src0_sel:BYTE_3 src1_sel:DWORD
	v_cndmask_b32_e32 v5, 3, v5, vcc_lo
	v_lshlrev_b32_e32 v17, 2, v17
	v_and_b32_e32 v18, 3, v5
	v_or_b32_e32 v4, v4, v5
	v_or3_b32 v1, v17, v1, v18
	v_cmp_ne_u32_e32 vcc_lo, 0, v4
	v_cndmask_b32_e32 v74, 0, v1, vcc_lo
.LBB4_6804:                             ;   in Loop: Header=BB4_6741 Depth=3
	s_or_b32 exec_lo, exec_lo, s23
.LBB4_6805:                             ;   in Loop: Header=BB4_6741 Depth=3
	s_or_b32 exec_lo, exec_lo, s19
	flat_load_ubyte v1, v[12:13] offset:128 slc
	s_mov_b32 s16, 0
	s_mov_b32 s19, exec_lo
	s_waitcnt vmcnt(0) lgkmcnt(0)
	v_cmpx_lt_i16_e32 0x7f, v1
	s_xor_b32 s19, exec_lo, s19
	s_cbranch_execz .LBB4_7299
; %bb.6806:                             ;   in Loop: Header=BB4_6741 Depth=3
	s_mov_b32 s16, -1
	s_mov_b32 s23, exec_lo
	v_cmpx_eq_u16_e32 0x80, v1
; %bb.6807:                             ;   in Loop: Header=BB4_6741 Depth=3
	s_xor_b32 s16, exec_lo, -1
; %bb.6808:                             ;   in Loop: Header=BB4_6741 Depth=3
	s_or_b32 exec_lo, exec_lo, s23
	s_and_b32 s16, s16, exec_lo
	s_or_saveexec_b32 s19, s19
	v_mov_b32_e32 v4, 0x7f800001
	s_xor_b32 exec_lo, exec_lo, s19
	s_cbranch_execnz .LBB4_7300
.LBB4_6809:                             ;   in Loop: Header=BB4_6741 Depth=3
	s_or_b32 exec_lo, exec_lo, s19
	s_and_saveexec_b32 s19, s16
	s_cbranch_execz .LBB4_6811
.LBB4_6810:                             ;   in Loop: Header=BB4_6741 Depth=3
	v_and_b32_e32 v4, 0xffff, v1
	v_lshlrev_b32_e32 v1, 24, v1
	v_and_b32_e32 v5, 3, v4
	v_bfe_u32 v20, v4, 2, 5
	v_and_b32_e32 v1, 0x80000000, v1
	v_ffbh_u32_e32 v17, v5
	v_cmp_eq_u32_e32 vcc_lo, 0, v20
	v_min_u32_e32 v17, 32, v17
	v_subrev_nc_u32_e32 v18, 29, v17
	v_sub_nc_u32_e32 v17, 30, v17
	v_lshlrev_b32_e32 v4, v18, v4
	v_cndmask_b32_e32 v17, v20, v17, vcc_lo
	v_and_b32_e32 v4, 3, v4
	v_cndmask_b32_e32 v4, v5, v4, vcc_lo
	v_lshl_add_u32 v5, v17, 23, 0x37800000
	v_lshlrev_b32_e32 v4, 21, v4
	v_or3_b32 v4, v1, v5, v4
.LBB4_6811:                             ;   in Loop: Header=BB4_6741 Depth=3
	s_or_b32 exec_lo, exec_lo, s19
	v_mul_f32_e32 v1, v16, v4
	v_mov_b32_e32 v73, 0x80
	s_mov_b32 s19, exec_lo
	v_and_b32_e32 v4, 0x7f800000, v1
	v_cmpx_ne_u32_e32 0x7f800000, v4
	s_cbranch_execz .LBB4_6819
; %bb.6812:                             ;   in Loop: Header=BB4_6741 Depth=3
	v_mov_b32_e32 v73, 0
	s_mov_b32 s23, exec_lo
	v_cmpx_ne_u32_e32 0, v1
	s_cbranch_execz .LBB4_6818
; %bb.6813:                             ;   in Loop: Header=BB4_6741 Depth=3
	v_bfe_u32 v4, v1, 23, 8
	v_and_b32_e32 v5, 0x7fffff, v1
	v_sub_nc_u32_e32 v17, 0x70, v4
	v_cmp_gt_u32_e32 vcc_lo, 0x71, v4
	v_or_b32_e32 v18, 0x800000, v5
	v_cndmask_b32_e32 v17, 0, v17, vcc_lo
	v_cmp_eq_u32_e32 vcc_lo, 0, v4
	v_add_nc_u32_e32 v4, 0xffffff91, v4
	v_cndmask_b32_e64 v17, v17, 0x6f, vcc_lo
	v_cndmask_b32_e32 v5, v18, v5, vcc_lo
	v_cndmask_b32_e64 v4, v4, 0xffffff92, vcc_lo
	v_lshl_add_u32 v18, 0x200000, v17, -1
	v_lshrrev_b32_e32 v20, v17, v5
	v_lshlrev_b32_e64 v30, v17, 0x100000
	v_add_nc_u32_e32 v17, v17, v4
	v_and_b32_e32 v5, v18, v5
	v_bfe_u32 v21, v20, 21, 1
	v_cmp_eq_u32_e64 s16, v5, v30
	v_add_nc_u32_e32 v18, -1, v21
	v_cndmask_b32_e64 v5, 0, v18, s16
	v_lshrrev_b32_e32 v18, 23, v20
	s_mov_b32 s16, exec_lo
	v_add_nc_u32_e32 v5, v5, v20
	v_xor_b32_e32 v18, 1, v18
	v_and_b32_e32 v4, 0x1fffff, v5
	v_add_nc_u32_e32 v5, v4, v20
                                        ; implicit-def: $vgpr4
	v_cmpx_ne_u32_e64 v17, v18
	s_xor_b32 s16, exec_lo, s16
; %bb.6814:                             ;   in Loop: Header=BB4_6741 Depth=3
	v_cmp_lt_u32_e32 vcc_lo, 0xffffff, v5
	v_sub_nc_u32_e32 v4, v17, v18
	v_cndmask_b32_e64 v17, 0, 1, vcc_lo
	v_add_co_ci_u32_e64 v4, null, 0, v4, vcc_lo
	v_lshrrev_b32_e32 v5, v17, v5
; %bb.6815:                             ;   in Loop: Header=BB4_6741 Depth=3
	s_andn2_saveexec_b32 s16, s16
; %bb.6816:                             ;   in Loop: Header=BB4_6741 Depth=3
	v_bfe_u32 v4, v5, 23, 1
; %bb.6817:                             ;   in Loop: Header=BB4_6741 Depth=3
	s_or_b32 exec_lo, exec_lo, s16
	v_lshrrev_b32_e32 v5, 21, v5
	v_cmp_gt_i32_e32 vcc_lo, 32, v4
	v_min_i32_e32 v17, 31, v4
	v_and_b32_sdwa v1, v1, v101 dst_sel:DWORD dst_unused:UNUSED_PAD src0_sel:BYTE_3 src1_sel:DWORD
	v_cndmask_b32_e32 v5, 3, v5, vcc_lo
	v_lshlrev_b32_e32 v17, 2, v17
	v_and_b32_e32 v18, 3, v5
	v_or_b32_e32 v4, v4, v5
	v_or3_b32 v1, v17, v1, v18
	v_cmp_ne_u32_e32 vcc_lo, 0, v4
	v_cndmask_b32_e32 v73, 0, v1, vcc_lo
.LBB4_6818:                             ;   in Loop: Header=BB4_6741 Depth=3
	s_or_b32 exec_lo, exec_lo, s23
.LBB4_6819:                             ;   in Loop: Header=BB4_6741 Depth=3
	s_or_b32 exec_lo, exec_lo, s19
	flat_load_ubyte v1, v[12:13] offset:160 slc
	s_mov_b32 s16, 0
	s_mov_b32 s19, exec_lo
	s_waitcnt vmcnt(0) lgkmcnt(0)
	v_cmpx_lt_i16_e32 0x7f, v1
	s_xor_b32 s19, exec_lo, s19
	s_cbranch_execz .LBB4_7301
; %bb.6820:                             ;   in Loop: Header=BB4_6741 Depth=3
	s_mov_b32 s16, -1
	s_mov_b32 s23, exec_lo
	v_cmpx_eq_u16_e32 0x80, v1
; %bb.6821:                             ;   in Loop: Header=BB4_6741 Depth=3
	s_xor_b32 s16, exec_lo, -1
; %bb.6822:                             ;   in Loop: Header=BB4_6741 Depth=3
	s_or_b32 exec_lo, exec_lo, s23
	s_and_b32 s16, s16, exec_lo
	s_or_saveexec_b32 s19, s19
	v_mov_b32_e32 v4, 0x7f800001
	s_xor_b32 exec_lo, exec_lo, s19
	s_cbranch_execnz .LBB4_7302
.LBB4_6823:                             ;   in Loop: Header=BB4_6741 Depth=3
	s_or_b32 exec_lo, exec_lo, s19
	s_and_saveexec_b32 s19, s16
	s_cbranch_execz .LBB4_6825
.LBB4_6824:                             ;   in Loop: Header=BB4_6741 Depth=3
	v_and_b32_e32 v4, 0xffff, v1
	v_lshlrev_b32_e32 v1, 24, v1
	v_and_b32_e32 v5, 3, v4
	v_bfe_u32 v20, v4, 2, 5
	v_and_b32_e32 v1, 0x80000000, v1
	v_ffbh_u32_e32 v17, v5
	v_cmp_eq_u32_e32 vcc_lo, 0, v20
	v_min_u32_e32 v17, 32, v17
	v_subrev_nc_u32_e32 v18, 29, v17
	v_sub_nc_u32_e32 v17, 30, v17
	v_lshlrev_b32_e32 v4, v18, v4
	v_cndmask_b32_e32 v17, v20, v17, vcc_lo
	v_and_b32_e32 v4, 3, v4
	v_cndmask_b32_e32 v4, v5, v4, vcc_lo
	v_lshl_add_u32 v5, v17, 23, 0x37800000
	v_lshlrev_b32_e32 v4, 21, v4
	v_or3_b32 v4, v1, v5, v4
.LBB4_6825:                             ;   in Loop: Header=BB4_6741 Depth=3
	s_or_b32 exec_lo, exec_lo, s19
	v_mul_f32_e32 v1, v16, v4
	v_mov_b32_e32 v72, 0x80
	s_mov_b32 s19, exec_lo
	v_and_b32_e32 v4, 0x7f800000, v1
	v_cmpx_ne_u32_e32 0x7f800000, v4
	s_cbranch_execz .LBB4_6833
; %bb.6826:                             ;   in Loop: Header=BB4_6741 Depth=3
	v_mov_b32_e32 v72, 0
	s_mov_b32 s23, exec_lo
	v_cmpx_ne_u32_e32 0, v1
	s_cbranch_execz .LBB4_6832
; %bb.6827:                             ;   in Loop: Header=BB4_6741 Depth=3
	v_bfe_u32 v4, v1, 23, 8
	v_and_b32_e32 v5, 0x7fffff, v1
	v_sub_nc_u32_e32 v17, 0x70, v4
	v_cmp_gt_u32_e32 vcc_lo, 0x71, v4
	v_or_b32_e32 v18, 0x800000, v5
	v_cndmask_b32_e32 v17, 0, v17, vcc_lo
	v_cmp_eq_u32_e32 vcc_lo, 0, v4
	v_add_nc_u32_e32 v4, 0xffffff91, v4
	v_cndmask_b32_e64 v17, v17, 0x6f, vcc_lo
	v_cndmask_b32_e32 v5, v18, v5, vcc_lo
	v_cndmask_b32_e64 v4, v4, 0xffffff92, vcc_lo
	v_lshl_add_u32 v18, 0x200000, v17, -1
	v_lshrrev_b32_e32 v20, v17, v5
	v_lshlrev_b32_e64 v30, v17, 0x100000
	v_add_nc_u32_e32 v17, v17, v4
	v_and_b32_e32 v5, v18, v5
	v_bfe_u32 v21, v20, 21, 1
	v_cmp_eq_u32_e64 s16, v5, v30
	v_add_nc_u32_e32 v18, -1, v21
	v_cndmask_b32_e64 v5, 0, v18, s16
	v_lshrrev_b32_e32 v18, 23, v20
	s_mov_b32 s16, exec_lo
	v_add_nc_u32_e32 v5, v5, v20
	v_xor_b32_e32 v18, 1, v18
	v_and_b32_e32 v4, 0x1fffff, v5
	v_add_nc_u32_e32 v5, v4, v20
                                        ; implicit-def: $vgpr4
	v_cmpx_ne_u32_e64 v17, v18
	s_xor_b32 s16, exec_lo, s16
; %bb.6828:                             ;   in Loop: Header=BB4_6741 Depth=3
	v_cmp_lt_u32_e32 vcc_lo, 0xffffff, v5
	v_sub_nc_u32_e32 v4, v17, v18
	v_cndmask_b32_e64 v17, 0, 1, vcc_lo
	v_add_co_ci_u32_e64 v4, null, 0, v4, vcc_lo
	v_lshrrev_b32_e32 v5, v17, v5
; %bb.6829:                             ;   in Loop: Header=BB4_6741 Depth=3
	s_andn2_saveexec_b32 s16, s16
; %bb.6830:                             ;   in Loop: Header=BB4_6741 Depth=3
	v_bfe_u32 v4, v5, 23, 1
; %bb.6831:                             ;   in Loop: Header=BB4_6741 Depth=3
	s_or_b32 exec_lo, exec_lo, s16
	v_lshrrev_b32_e32 v5, 21, v5
	v_cmp_gt_i32_e32 vcc_lo, 32, v4
	v_min_i32_e32 v17, 31, v4
	v_and_b32_sdwa v1, v1, v101 dst_sel:DWORD dst_unused:UNUSED_PAD src0_sel:BYTE_3 src1_sel:DWORD
	v_cndmask_b32_e32 v5, 3, v5, vcc_lo
	v_lshlrev_b32_e32 v17, 2, v17
	v_and_b32_e32 v18, 3, v5
	v_or_b32_e32 v4, v4, v5
	v_or3_b32 v1, v17, v1, v18
	v_cmp_ne_u32_e32 vcc_lo, 0, v4
	v_cndmask_b32_e32 v72, 0, v1, vcc_lo
.LBB4_6832:                             ;   in Loop: Header=BB4_6741 Depth=3
	s_or_b32 exec_lo, exec_lo, s23
.LBB4_6833:                             ;   in Loop: Header=BB4_6741 Depth=3
	s_or_b32 exec_lo, exec_lo, s19
	flat_load_ubyte v1, v[12:13] offset:192 slc
	s_mov_b32 s16, 0
	s_mov_b32 s19, exec_lo
	s_waitcnt vmcnt(0) lgkmcnt(0)
	v_cmpx_lt_i16_e32 0x7f, v1
	s_xor_b32 s19, exec_lo, s19
	s_cbranch_execz .LBB4_7303
; %bb.6834:                             ;   in Loop: Header=BB4_6741 Depth=3
	s_mov_b32 s16, -1
	s_mov_b32 s23, exec_lo
	v_cmpx_eq_u16_e32 0x80, v1
; %bb.6835:                             ;   in Loop: Header=BB4_6741 Depth=3
	s_xor_b32 s16, exec_lo, -1
; %bb.6836:                             ;   in Loop: Header=BB4_6741 Depth=3
	s_or_b32 exec_lo, exec_lo, s23
	s_and_b32 s16, s16, exec_lo
	s_or_saveexec_b32 s19, s19
	v_mov_b32_e32 v4, 0x7f800001
	s_xor_b32 exec_lo, exec_lo, s19
	s_cbranch_execnz .LBB4_7304
.LBB4_6837:                             ;   in Loop: Header=BB4_6741 Depth=3
	s_or_b32 exec_lo, exec_lo, s19
	s_and_saveexec_b32 s19, s16
	s_cbranch_execz .LBB4_6839
.LBB4_6838:                             ;   in Loop: Header=BB4_6741 Depth=3
	v_and_b32_e32 v4, 0xffff, v1
	v_lshlrev_b32_e32 v1, 24, v1
	v_and_b32_e32 v5, 3, v4
	v_bfe_u32 v20, v4, 2, 5
	v_and_b32_e32 v1, 0x80000000, v1
	v_ffbh_u32_e32 v17, v5
	v_cmp_eq_u32_e32 vcc_lo, 0, v20
	v_min_u32_e32 v17, 32, v17
	v_subrev_nc_u32_e32 v18, 29, v17
	v_sub_nc_u32_e32 v17, 30, v17
	v_lshlrev_b32_e32 v4, v18, v4
	v_cndmask_b32_e32 v17, v20, v17, vcc_lo
	v_and_b32_e32 v4, 3, v4
	v_cndmask_b32_e32 v4, v5, v4, vcc_lo
	v_lshl_add_u32 v5, v17, 23, 0x37800000
	v_lshlrev_b32_e32 v4, 21, v4
	v_or3_b32 v4, v1, v5, v4
.LBB4_6839:                             ;   in Loop: Header=BB4_6741 Depth=3
	s_or_b32 exec_lo, exec_lo, s19
	v_mul_f32_e32 v1, v16, v4
	v_mov_b32_e32 v62, 0x80
	s_mov_b32 s19, exec_lo
	v_and_b32_e32 v4, 0x7f800000, v1
	v_cmpx_ne_u32_e32 0x7f800000, v4
	s_cbranch_execz .LBB4_6847
; %bb.6840:                             ;   in Loop: Header=BB4_6741 Depth=3
	v_mov_b32_e32 v62, 0
	s_mov_b32 s23, exec_lo
	v_cmpx_ne_u32_e32 0, v1
	s_cbranch_execz .LBB4_6846
; %bb.6841:                             ;   in Loop: Header=BB4_6741 Depth=3
	v_bfe_u32 v4, v1, 23, 8
	v_and_b32_e32 v5, 0x7fffff, v1
	v_sub_nc_u32_e32 v17, 0x70, v4
	v_cmp_gt_u32_e32 vcc_lo, 0x71, v4
	v_or_b32_e32 v18, 0x800000, v5
	v_cndmask_b32_e32 v17, 0, v17, vcc_lo
	v_cmp_eq_u32_e32 vcc_lo, 0, v4
	v_add_nc_u32_e32 v4, 0xffffff91, v4
	v_cndmask_b32_e64 v17, v17, 0x6f, vcc_lo
	v_cndmask_b32_e32 v5, v18, v5, vcc_lo
	v_cndmask_b32_e64 v4, v4, 0xffffff92, vcc_lo
	v_lshl_add_u32 v18, 0x200000, v17, -1
	v_lshrrev_b32_e32 v20, v17, v5
	v_lshlrev_b32_e64 v30, v17, 0x100000
	v_add_nc_u32_e32 v17, v17, v4
	v_and_b32_e32 v5, v18, v5
	v_bfe_u32 v21, v20, 21, 1
	v_cmp_eq_u32_e64 s16, v5, v30
	v_add_nc_u32_e32 v18, -1, v21
	v_cndmask_b32_e64 v5, 0, v18, s16
	v_lshrrev_b32_e32 v18, 23, v20
	s_mov_b32 s16, exec_lo
	v_add_nc_u32_e32 v5, v5, v20
	v_xor_b32_e32 v18, 1, v18
	v_and_b32_e32 v4, 0x1fffff, v5
	v_add_nc_u32_e32 v5, v4, v20
                                        ; implicit-def: $vgpr4
	v_cmpx_ne_u32_e64 v17, v18
	s_xor_b32 s16, exec_lo, s16
; %bb.6842:                             ;   in Loop: Header=BB4_6741 Depth=3
	v_cmp_lt_u32_e32 vcc_lo, 0xffffff, v5
	v_sub_nc_u32_e32 v4, v17, v18
	v_cndmask_b32_e64 v17, 0, 1, vcc_lo
	v_add_co_ci_u32_e64 v4, null, 0, v4, vcc_lo
	v_lshrrev_b32_e32 v5, v17, v5
; %bb.6843:                             ;   in Loop: Header=BB4_6741 Depth=3
	s_andn2_saveexec_b32 s16, s16
; %bb.6844:                             ;   in Loop: Header=BB4_6741 Depth=3
	v_bfe_u32 v4, v5, 23, 1
; %bb.6845:                             ;   in Loop: Header=BB4_6741 Depth=3
	s_or_b32 exec_lo, exec_lo, s16
	v_lshrrev_b32_e32 v5, 21, v5
	v_cmp_gt_i32_e32 vcc_lo, 32, v4
	v_min_i32_e32 v17, 31, v4
	v_and_b32_sdwa v1, v1, v101 dst_sel:DWORD dst_unused:UNUSED_PAD src0_sel:BYTE_3 src1_sel:DWORD
	v_cndmask_b32_e32 v5, 3, v5, vcc_lo
	v_lshlrev_b32_e32 v17, 2, v17
	v_and_b32_e32 v18, 3, v5
	v_or_b32_e32 v4, v4, v5
	v_or3_b32 v1, v17, v1, v18
	v_cmp_ne_u32_e32 vcc_lo, 0, v4
	v_cndmask_b32_e32 v62, 0, v1, vcc_lo
.LBB4_6846:                             ;   in Loop: Header=BB4_6741 Depth=3
	s_or_b32 exec_lo, exec_lo, s23
.LBB4_6847:                             ;   in Loop: Header=BB4_6741 Depth=3
	s_or_b32 exec_lo, exec_lo, s19
	flat_load_ubyte v1, v[12:13] offset:224 slc
	s_mov_b32 s16, 0
	s_mov_b32 s19, exec_lo
	s_waitcnt vmcnt(0) lgkmcnt(0)
	v_cmpx_lt_i16_e32 0x7f, v1
	s_xor_b32 s19, exec_lo, s19
	s_cbranch_execz .LBB4_7305
; %bb.6848:                             ;   in Loop: Header=BB4_6741 Depth=3
	s_mov_b32 s16, -1
	s_mov_b32 s23, exec_lo
	v_cmpx_eq_u16_e32 0x80, v1
; %bb.6849:                             ;   in Loop: Header=BB4_6741 Depth=3
	s_xor_b32 s16, exec_lo, -1
; %bb.6850:                             ;   in Loop: Header=BB4_6741 Depth=3
	s_or_b32 exec_lo, exec_lo, s23
	s_and_b32 s16, s16, exec_lo
	s_or_saveexec_b32 s19, s19
	v_mov_b32_e32 v4, 0x7f800001
	s_xor_b32 exec_lo, exec_lo, s19
	s_cbranch_execnz .LBB4_7306
.LBB4_6851:                             ;   in Loop: Header=BB4_6741 Depth=3
	s_or_b32 exec_lo, exec_lo, s19
	s_and_saveexec_b32 s19, s16
	s_cbranch_execz .LBB4_6853
.LBB4_6852:                             ;   in Loop: Header=BB4_6741 Depth=3
	v_and_b32_e32 v4, 0xffff, v1
	v_lshlrev_b32_e32 v1, 24, v1
	v_and_b32_e32 v5, 3, v4
	v_bfe_u32 v20, v4, 2, 5
	v_and_b32_e32 v1, 0x80000000, v1
	v_ffbh_u32_e32 v17, v5
	v_cmp_eq_u32_e32 vcc_lo, 0, v20
	v_min_u32_e32 v17, 32, v17
	v_subrev_nc_u32_e32 v18, 29, v17
	v_sub_nc_u32_e32 v17, 30, v17
	v_lshlrev_b32_e32 v4, v18, v4
	v_cndmask_b32_e32 v17, v20, v17, vcc_lo
	v_and_b32_e32 v4, 3, v4
	v_cndmask_b32_e32 v4, v5, v4, vcc_lo
	v_lshl_add_u32 v5, v17, 23, 0x37800000
	v_lshlrev_b32_e32 v4, 21, v4
	v_or3_b32 v4, v1, v5, v4
.LBB4_6853:                             ;   in Loop: Header=BB4_6741 Depth=3
	s_or_b32 exec_lo, exec_lo, s19
	v_mul_f32_e32 v1, v16, v4
	v_mov_b32_e32 v5, 0x80
	s_mov_b32 s19, exec_lo
	v_and_b32_e32 v4, 0x7f800000, v1
	v_cmpx_ne_u32_e32 0x7f800000, v4
	s_cbranch_execz .LBB4_6861
; %bb.6854:                             ;   in Loop: Header=BB4_6741 Depth=3
	v_mov_b32_e32 v5, 0
	s_mov_b32 s23, exec_lo
	v_cmpx_ne_u32_e32 0, v1
	s_cbranch_execz .LBB4_6860
; %bb.6855:                             ;   in Loop: Header=BB4_6741 Depth=3
	v_bfe_u32 v4, v1, 23, 8
	v_and_b32_e32 v5, 0x7fffff, v1
	v_sub_nc_u32_e32 v17, 0x70, v4
	v_cmp_gt_u32_e32 vcc_lo, 0x71, v4
	v_or_b32_e32 v18, 0x800000, v5
	v_cndmask_b32_e32 v17, 0, v17, vcc_lo
	v_cmp_eq_u32_e32 vcc_lo, 0, v4
	v_add_nc_u32_e32 v4, 0xffffff91, v4
	v_cndmask_b32_e64 v17, v17, 0x6f, vcc_lo
	v_cndmask_b32_e32 v5, v18, v5, vcc_lo
	v_cndmask_b32_e64 v4, v4, 0xffffff92, vcc_lo
	v_lshl_add_u32 v18, 0x200000, v17, -1
	v_lshrrev_b32_e32 v20, v17, v5
	v_lshlrev_b32_e64 v30, v17, 0x100000
	v_add_nc_u32_e32 v17, v17, v4
	v_and_b32_e32 v5, v18, v5
	v_bfe_u32 v21, v20, 21, 1
	v_cmp_eq_u32_e64 s16, v5, v30
	v_add_nc_u32_e32 v18, -1, v21
	v_cndmask_b32_e64 v5, 0, v18, s16
	v_lshrrev_b32_e32 v18, 23, v20
	s_mov_b32 s16, exec_lo
	v_add_nc_u32_e32 v5, v5, v20
	v_xor_b32_e32 v18, 1, v18
	v_and_b32_e32 v4, 0x1fffff, v5
	v_add_nc_u32_e32 v5, v4, v20
                                        ; implicit-def: $vgpr4
	v_cmpx_ne_u32_e64 v17, v18
	s_xor_b32 s16, exec_lo, s16
; %bb.6856:                             ;   in Loop: Header=BB4_6741 Depth=3
	v_cmp_lt_u32_e32 vcc_lo, 0xffffff, v5
	v_sub_nc_u32_e32 v4, v17, v18
	v_cndmask_b32_e64 v17, 0, 1, vcc_lo
	v_add_co_ci_u32_e64 v4, null, 0, v4, vcc_lo
	v_lshrrev_b32_e32 v5, v17, v5
; %bb.6857:                             ;   in Loop: Header=BB4_6741 Depth=3
	s_andn2_saveexec_b32 s16, s16
; %bb.6858:                             ;   in Loop: Header=BB4_6741 Depth=3
	v_bfe_u32 v4, v5, 23, 1
; %bb.6859:                             ;   in Loop: Header=BB4_6741 Depth=3
	s_or_b32 exec_lo, exec_lo, s16
	v_lshrrev_b32_e32 v5, 21, v5
	v_cmp_gt_i32_e32 vcc_lo, 32, v4
	v_min_i32_e32 v17, 31, v4
	v_and_b32_sdwa v1, v1, v101 dst_sel:DWORD dst_unused:UNUSED_PAD src0_sel:BYTE_3 src1_sel:DWORD
	v_cndmask_b32_e32 v5, 3, v5, vcc_lo
	v_lshlrev_b32_e32 v17, 2, v17
	v_and_b32_e32 v18, 3, v5
	v_or_b32_e32 v4, v4, v5
	v_or3_b32 v1, v17, v1, v18
	v_cmp_ne_u32_e32 vcc_lo, 0, v4
	v_cndmask_b32_e32 v5, 0, v1, vcc_lo
.LBB4_6860:                             ;   in Loop: Header=BB4_6741 Depth=3
	s_or_b32 exec_lo, exec_lo, s23
.LBB4_6861:                             ;   in Loop: Header=BB4_6741 Depth=3
	s_or_b32 exec_lo, exec_lo, s19
	flat_load_ubyte v1, v[12:13] offset:256 slc
	s_mov_b32 s16, 0
	s_mov_b32 s19, exec_lo
	s_waitcnt vmcnt(0) lgkmcnt(0)
	v_cmpx_lt_i16_e32 0x7f, v1
	s_xor_b32 s19, exec_lo, s19
	s_cbranch_execz .LBB4_7307
; %bb.6862:                             ;   in Loop: Header=BB4_6741 Depth=3
	s_mov_b32 s16, -1
	s_mov_b32 s23, exec_lo
	v_cmpx_eq_u16_e32 0x80, v1
; %bb.6863:                             ;   in Loop: Header=BB4_6741 Depth=3
	s_xor_b32 s16, exec_lo, -1
; %bb.6864:                             ;   in Loop: Header=BB4_6741 Depth=3
	s_or_b32 exec_lo, exec_lo, s23
	s_and_b32 s16, s16, exec_lo
	s_or_saveexec_b32 s19, s19
	v_mov_b32_e32 v4, 0x7f800001
	s_xor_b32 exec_lo, exec_lo, s19
	s_cbranch_execnz .LBB4_7308
.LBB4_6865:                             ;   in Loop: Header=BB4_6741 Depth=3
	s_or_b32 exec_lo, exec_lo, s19
	s_and_saveexec_b32 s19, s16
	s_cbranch_execz .LBB4_6867
.LBB4_6866:                             ;   in Loop: Header=BB4_6741 Depth=3
	v_and_b32_e32 v4, 0xffff, v1
	v_lshlrev_b32_e32 v1, 24, v1
	v_and_b32_e32 v17, 3, v4
	v_bfe_u32 v21, v4, 2, 5
	v_and_b32_e32 v1, 0x80000000, v1
	v_ffbh_u32_e32 v18, v17
	v_cmp_eq_u32_e32 vcc_lo, 0, v21
	v_min_u32_e32 v18, 32, v18
	v_subrev_nc_u32_e32 v20, 29, v18
	v_sub_nc_u32_e32 v18, 30, v18
	v_lshlrev_b32_e32 v4, v20, v4
	v_cndmask_b32_e32 v18, v21, v18, vcc_lo
	v_and_b32_e32 v4, 3, v4
	v_cndmask_b32_e32 v4, v17, v4, vcc_lo
	v_lshl_add_u32 v17, v18, 23, 0x37800000
	v_lshlrev_b32_e32 v4, 21, v4
	v_or3_b32 v4, v1, v17, v4
.LBB4_6867:                             ;   in Loop: Header=BB4_6741 Depth=3
	s_or_b32 exec_lo, exec_lo, s19
	v_mul_f32_e32 v1, v16, v4
	v_and_b32_e32 v4, 0x7f800000, v1
	v_cmp_ne_u32_e32 vcc_lo, 0x7f800000, v4
	v_mov_b32_e32 v4, 0x80
	s_and_saveexec_b32 s19, vcc_lo
	s_cbranch_execz .LBB4_6875
; %bb.6868:                             ;   in Loop: Header=BB4_6741 Depth=3
	v_mov_b32_e32 v4, 0
	s_mov_b32 s23, exec_lo
	v_cmpx_ne_u32_e32 0, v1
	s_cbranch_execz .LBB4_6874
; %bb.6869:                             ;   in Loop: Header=BB4_6741 Depth=3
	v_bfe_u32 v4, v1, 23, 8
	v_and_b32_e32 v17, 0x7fffff, v1
	v_sub_nc_u32_e32 v18, 0x70, v4
	v_cmp_gt_u32_e32 vcc_lo, 0x71, v4
	v_or_b32_e32 v20, 0x800000, v17
	v_cndmask_b32_e32 v18, 0, v18, vcc_lo
	v_cmp_eq_u32_e32 vcc_lo, 0, v4
	v_add_nc_u32_e32 v4, 0xffffff91, v4
	v_cndmask_b32_e64 v18, v18, 0x6f, vcc_lo
	v_cndmask_b32_e32 v17, v20, v17, vcc_lo
	v_cndmask_b32_e64 v4, v4, 0xffffff92, vcc_lo
	v_lshl_add_u32 v20, 0x200000, v18, -1
	v_lshrrev_b32_e32 v21, v18, v17
	v_lshlrev_b32_e64 v31, v18, 0x100000
	v_add_nc_u32_e32 v18, v18, v4
	v_and_b32_e32 v17, v20, v17
	v_bfe_u32 v30, v21, 21, 1
	v_cmp_eq_u32_e64 s16, v17, v31
	v_add_nc_u32_e32 v20, -1, v30
	v_cndmask_b32_e64 v17, 0, v20, s16
	v_lshrrev_b32_e32 v20, 23, v21
	s_mov_b32 s16, exec_lo
	v_add_nc_u32_e32 v17, v17, v21
	v_xor_b32_e32 v20, 1, v20
	v_and_b32_e32 v4, 0x1fffff, v17
	v_add_nc_u32_e32 v17, v4, v21
                                        ; implicit-def: $vgpr4
	v_cmpx_ne_u32_e64 v18, v20
	s_xor_b32 s16, exec_lo, s16
; %bb.6870:                             ;   in Loop: Header=BB4_6741 Depth=3
	v_cmp_lt_u32_e32 vcc_lo, 0xffffff, v17
	v_sub_nc_u32_e32 v4, v18, v20
	v_cndmask_b32_e64 v18, 0, 1, vcc_lo
	v_add_co_ci_u32_e64 v4, null, 0, v4, vcc_lo
	v_lshrrev_b32_e32 v17, v18, v17
; %bb.6871:                             ;   in Loop: Header=BB4_6741 Depth=3
	s_andn2_saveexec_b32 s16, s16
; %bb.6872:                             ;   in Loop: Header=BB4_6741 Depth=3
	v_bfe_u32 v4, v17, 23, 1
; %bb.6873:                             ;   in Loop: Header=BB4_6741 Depth=3
	s_or_b32 exec_lo, exec_lo, s16
	v_lshrrev_b32_e32 v17, 21, v17
	v_cmp_gt_i32_e32 vcc_lo, 32, v4
	v_min_i32_e32 v18, 31, v4
	v_and_b32_sdwa v1, v1, v101 dst_sel:DWORD dst_unused:UNUSED_PAD src0_sel:BYTE_3 src1_sel:DWORD
	v_cndmask_b32_e32 v17, 3, v17, vcc_lo
	v_lshlrev_b32_e32 v18, 2, v18
	v_and_b32_e32 v20, 3, v17
	v_or_b32_e32 v4, v4, v17
	v_or3_b32 v1, v18, v1, v20
	v_cmp_ne_u32_e32 vcc_lo, 0, v4
	v_cndmask_b32_e32 v4, 0, v1, vcc_lo
.LBB4_6874:                             ;   in Loop: Header=BB4_6741 Depth=3
	s_or_b32 exec_lo, exec_lo, s23
.LBB4_6875:                             ;   in Loop: Header=BB4_6741 Depth=3
	s_or_b32 exec_lo, exec_lo, s19
	flat_load_ubyte v1, v[12:13] offset:288 slc
	s_mov_b32 s16, 0
	s_mov_b32 s19, exec_lo
	s_waitcnt vmcnt(0) lgkmcnt(0)
	v_cmpx_lt_i16_e32 0x7f, v1
	s_xor_b32 s19, exec_lo, s19
	s_cbranch_execz .LBB4_7309
; %bb.6876:                             ;   in Loop: Header=BB4_6741 Depth=3
	s_mov_b32 s16, -1
	s_mov_b32 s23, exec_lo
	v_cmpx_eq_u16_e32 0x80, v1
; %bb.6877:                             ;   in Loop: Header=BB4_6741 Depth=3
	s_xor_b32 s16, exec_lo, -1
; %bb.6878:                             ;   in Loop: Header=BB4_6741 Depth=3
	s_or_b32 exec_lo, exec_lo, s23
	s_and_b32 s16, s16, exec_lo
	s_or_saveexec_b32 s19, s19
	v_mov_b32_e32 v17, 0x7f800001
	s_xor_b32 exec_lo, exec_lo, s19
	s_cbranch_execnz .LBB4_7310
.LBB4_6879:                             ;   in Loop: Header=BB4_6741 Depth=3
	s_or_b32 exec_lo, exec_lo, s19
	s_and_saveexec_b32 s19, s16
	s_cbranch_execz .LBB4_6881
.LBB4_6880:                             ;   in Loop: Header=BB4_6741 Depth=3
	v_and_b32_e32 v17, 0xffff, v1
	v_lshlrev_b32_e32 v1, 24, v1
	v_and_b32_e32 v18, 3, v17
	v_bfe_u32 v30, v17, 2, 5
	v_and_b32_e32 v1, 0x80000000, v1
	v_ffbh_u32_e32 v20, v18
	v_cmp_eq_u32_e32 vcc_lo, 0, v30
	v_min_u32_e32 v20, 32, v20
	v_subrev_nc_u32_e32 v21, 29, v20
	v_sub_nc_u32_e32 v20, 30, v20
	v_lshlrev_b32_e32 v17, v21, v17
	v_cndmask_b32_e32 v20, v30, v20, vcc_lo
	v_and_b32_e32 v17, 3, v17
	v_cndmask_b32_e32 v17, v18, v17, vcc_lo
	v_lshl_add_u32 v18, v20, 23, 0x37800000
	v_lshlrev_b32_e32 v17, 21, v17
	v_or3_b32 v17, v1, v18, v17
.LBB4_6881:                             ;   in Loop: Header=BB4_6741 Depth=3
	s_or_b32 exec_lo, exec_lo, s19
	v_mul_f32_e32 v1, v16, v17
	v_mov_b32_e32 v67, 0x80
	s_mov_b32 s19, exec_lo
	v_and_b32_e32 v17, 0x7f800000, v1
	v_cmpx_ne_u32_e32 0x7f800000, v17
	s_cbranch_execz .LBB4_6889
; %bb.6882:                             ;   in Loop: Header=BB4_6741 Depth=3
	v_mov_b32_e32 v67, 0
	s_mov_b32 s23, exec_lo
	v_cmpx_ne_u32_e32 0, v1
	s_cbranch_execz .LBB4_6888
; %bb.6883:                             ;   in Loop: Header=BB4_6741 Depth=3
	v_bfe_u32 v17, v1, 23, 8
	v_and_b32_e32 v18, 0x7fffff, v1
	v_sub_nc_u32_e32 v20, 0x70, v17
	v_cmp_gt_u32_e32 vcc_lo, 0x71, v17
	v_or_b32_e32 v21, 0x800000, v18
	v_cndmask_b32_e32 v20, 0, v20, vcc_lo
	v_cmp_eq_u32_e32 vcc_lo, 0, v17
	v_add_nc_u32_e32 v17, 0xffffff91, v17
	v_cndmask_b32_e64 v20, v20, 0x6f, vcc_lo
	v_cndmask_b32_e32 v18, v21, v18, vcc_lo
	v_cndmask_b32_e64 v17, v17, 0xffffff92, vcc_lo
	v_lshl_add_u32 v21, 0x200000, v20, -1
	v_lshrrev_b32_e32 v30, v20, v18
	v_lshlrev_b32_e64 v34, v20, 0x100000
	v_add_nc_u32_e32 v20, v20, v17
	v_and_b32_e32 v18, v21, v18
	v_bfe_u32 v31, v30, 21, 1
	v_cmp_eq_u32_e64 s16, v18, v34
	v_add_nc_u32_e32 v21, -1, v31
	v_cndmask_b32_e64 v18, 0, v21, s16
	v_lshrrev_b32_e32 v21, 23, v30
	s_mov_b32 s16, exec_lo
	v_add_nc_u32_e32 v18, v18, v30
	v_xor_b32_e32 v21, 1, v21
	v_and_b32_e32 v17, 0x1fffff, v18
	v_add_nc_u32_e32 v18, v17, v30
                                        ; implicit-def: $vgpr17
	v_cmpx_ne_u32_e64 v20, v21
	s_xor_b32 s16, exec_lo, s16
; %bb.6884:                             ;   in Loop: Header=BB4_6741 Depth=3
	v_cmp_lt_u32_e32 vcc_lo, 0xffffff, v18
	v_sub_nc_u32_e32 v17, v20, v21
	v_cndmask_b32_e64 v20, 0, 1, vcc_lo
	v_add_co_ci_u32_e64 v17, null, 0, v17, vcc_lo
	v_lshrrev_b32_e32 v18, v20, v18
; %bb.6885:                             ;   in Loop: Header=BB4_6741 Depth=3
	s_andn2_saveexec_b32 s16, s16
; %bb.6886:                             ;   in Loop: Header=BB4_6741 Depth=3
	v_bfe_u32 v17, v18, 23, 1
; %bb.6887:                             ;   in Loop: Header=BB4_6741 Depth=3
	s_or_b32 exec_lo, exec_lo, s16
	v_lshrrev_b32_e32 v18, 21, v18
	v_cmp_gt_i32_e32 vcc_lo, 32, v17
	v_min_i32_e32 v20, 31, v17
	v_and_b32_sdwa v1, v1, v101 dst_sel:DWORD dst_unused:UNUSED_PAD src0_sel:BYTE_3 src1_sel:DWORD
	v_cndmask_b32_e32 v18, 3, v18, vcc_lo
	v_lshlrev_b32_e32 v20, 2, v20
	v_and_b32_e32 v21, 3, v18
	v_or_b32_e32 v17, v17, v18
	v_or3_b32 v1, v20, v1, v21
	v_cmp_ne_u32_e32 vcc_lo, 0, v17
	v_cndmask_b32_e32 v67, 0, v1, vcc_lo
.LBB4_6888:                             ;   in Loop: Header=BB4_6741 Depth=3
	s_or_b32 exec_lo, exec_lo, s23
.LBB4_6889:                             ;   in Loop: Header=BB4_6741 Depth=3
	s_or_b32 exec_lo, exec_lo, s19
	flat_load_ubyte v1, v[12:13] offset:320 slc
	s_mov_b32 s16, 0
	s_mov_b32 s19, exec_lo
	s_waitcnt vmcnt(0) lgkmcnt(0)
	v_cmpx_lt_i16_e32 0x7f, v1
	s_xor_b32 s19, exec_lo, s19
	s_cbranch_execz .LBB4_7311
; %bb.6890:                             ;   in Loop: Header=BB4_6741 Depth=3
	s_mov_b32 s16, -1
	s_mov_b32 s23, exec_lo
	v_cmpx_eq_u16_e32 0x80, v1
; %bb.6891:                             ;   in Loop: Header=BB4_6741 Depth=3
	s_xor_b32 s16, exec_lo, -1
; %bb.6892:                             ;   in Loop: Header=BB4_6741 Depth=3
	s_or_b32 exec_lo, exec_lo, s23
	s_and_b32 s16, s16, exec_lo
	s_or_saveexec_b32 s19, s19
	v_mov_b32_e32 v17, 0x7f800001
	s_xor_b32 exec_lo, exec_lo, s19
	s_cbranch_execnz .LBB4_7312
.LBB4_6893:                             ;   in Loop: Header=BB4_6741 Depth=3
	s_or_b32 exec_lo, exec_lo, s19
	s_and_saveexec_b32 s19, s16
	s_cbranch_execz .LBB4_6895
.LBB4_6894:                             ;   in Loop: Header=BB4_6741 Depth=3
	v_and_b32_e32 v17, 0xffff, v1
	v_lshlrev_b32_e32 v1, 24, v1
	v_and_b32_e32 v18, 3, v17
	v_bfe_u32 v30, v17, 2, 5
	v_and_b32_e32 v1, 0x80000000, v1
	v_ffbh_u32_e32 v20, v18
	v_cmp_eq_u32_e32 vcc_lo, 0, v30
	v_min_u32_e32 v20, 32, v20
	v_subrev_nc_u32_e32 v21, 29, v20
	v_sub_nc_u32_e32 v20, 30, v20
	v_lshlrev_b32_e32 v17, v21, v17
	v_cndmask_b32_e32 v20, v30, v20, vcc_lo
	v_and_b32_e32 v17, 3, v17
	v_cndmask_b32_e32 v17, v18, v17, vcc_lo
	v_lshl_add_u32 v18, v20, 23, 0x37800000
	v_lshlrev_b32_e32 v17, 21, v17
	v_or3_b32 v17, v1, v18, v17
.LBB4_6895:                             ;   in Loop: Header=BB4_6741 Depth=3
	s_or_b32 exec_lo, exec_lo, s19
	v_mul_f32_e32 v1, v16, v17
	v_mov_b32_e32 v37, 0x80
	s_mov_b32 s19, exec_lo
	v_and_b32_e32 v17, 0x7f800000, v1
	v_cmpx_ne_u32_e32 0x7f800000, v17
	s_cbranch_execz .LBB4_6903
; %bb.6896:                             ;   in Loop: Header=BB4_6741 Depth=3
	v_mov_b32_e32 v37, 0
	s_mov_b32 s23, exec_lo
	v_cmpx_ne_u32_e32 0, v1
	s_cbranch_execz .LBB4_6902
; %bb.6897:                             ;   in Loop: Header=BB4_6741 Depth=3
	v_bfe_u32 v17, v1, 23, 8
	v_and_b32_e32 v18, 0x7fffff, v1
	v_sub_nc_u32_e32 v20, 0x70, v17
	v_cmp_gt_u32_e32 vcc_lo, 0x71, v17
	v_or_b32_e32 v21, 0x800000, v18
	v_cndmask_b32_e32 v20, 0, v20, vcc_lo
	v_cmp_eq_u32_e32 vcc_lo, 0, v17
	v_add_nc_u32_e32 v17, 0xffffff91, v17
	v_cndmask_b32_e64 v20, v20, 0x6f, vcc_lo
	v_cndmask_b32_e32 v18, v21, v18, vcc_lo
	v_cndmask_b32_e64 v17, v17, 0xffffff92, vcc_lo
	v_lshl_add_u32 v21, 0x200000, v20, -1
	v_lshrrev_b32_e32 v30, v20, v18
	v_lshlrev_b32_e64 v34, v20, 0x100000
	v_add_nc_u32_e32 v20, v20, v17
	v_and_b32_e32 v18, v21, v18
	v_bfe_u32 v31, v30, 21, 1
	v_cmp_eq_u32_e64 s16, v18, v34
	v_add_nc_u32_e32 v21, -1, v31
	v_cndmask_b32_e64 v18, 0, v21, s16
	v_lshrrev_b32_e32 v21, 23, v30
	s_mov_b32 s16, exec_lo
	v_add_nc_u32_e32 v18, v18, v30
	v_xor_b32_e32 v21, 1, v21
	v_and_b32_e32 v17, 0x1fffff, v18
	v_add_nc_u32_e32 v18, v17, v30
                                        ; implicit-def: $vgpr17
	v_cmpx_ne_u32_e64 v20, v21
	s_xor_b32 s16, exec_lo, s16
; %bb.6898:                             ;   in Loop: Header=BB4_6741 Depth=3
	v_cmp_lt_u32_e32 vcc_lo, 0xffffff, v18
	v_sub_nc_u32_e32 v17, v20, v21
	v_cndmask_b32_e64 v20, 0, 1, vcc_lo
	v_add_co_ci_u32_e64 v17, null, 0, v17, vcc_lo
	v_lshrrev_b32_e32 v18, v20, v18
; %bb.6899:                             ;   in Loop: Header=BB4_6741 Depth=3
	s_andn2_saveexec_b32 s16, s16
; %bb.6900:                             ;   in Loop: Header=BB4_6741 Depth=3
	v_bfe_u32 v17, v18, 23, 1
; %bb.6901:                             ;   in Loop: Header=BB4_6741 Depth=3
	s_or_b32 exec_lo, exec_lo, s16
	v_lshrrev_b32_e32 v18, 21, v18
	v_cmp_gt_i32_e32 vcc_lo, 32, v17
	v_min_i32_e32 v20, 31, v17
	v_and_b32_sdwa v1, v1, v101 dst_sel:DWORD dst_unused:UNUSED_PAD src0_sel:BYTE_3 src1_sel:DWORD
	v_cndmask_b32_e32 v18, 3, v18, vcc_lo
	v_lshlrev_b32_e32 v20, 2, v20
	v_and_b32_e32 v21, 3, v18
	v_or_b32_e32 v17, v17, v18
	v_or3_b32 v1, v20, v1, v21
	v_cmp_ne_u32_e32 vcc_lo, 0, v17
	v_cndmask_b32_e32 v37, 0, v1, vcc_lo
.LBB4_6902:                             ;   in Loop: Header=BB4_6741 Depth=3
	s_or_b32 exec_lo, exec_lo, s23
.LBB4_6903:                             ;   in Loop: Header=BB4_6741 Depth=3
	s_or_b32 exec_lo, exec_lo, s19
	flat_load_ubyte v1, v[12:13] offset:352 slc
	s_mov_b32 s16, 0
	s_mov_b32 s19, exec_lo
	s_waitcnt vmcnt(0) lgkmcnt(0)
	v_cmpx_lt_i16_e32 0x7f, v1
	s_xor_b32 s19, exec_lo, s19
	s_cbranch_execz .LBB4_7313
; %bb.6904:                             ;   in Loop: Header=BB4_6741 Depth=3
	s_mov_b32 s16, -1
	s_mov_b32 s23, exec_lo
	v_cmpx_eq_u16_e32 0x80, v1
; %bb.6905:                             ;   in Loop: Header=BB4_6741 Depth=3
	s_xor_b32 s16, exec_lo, -1
; %bb.6906:                             ;   in Loop: Header=BB4_6741 Depth=3
	s_or_b32 exec_lo, exec_lo, s23
	s_and_b32 s16, s16, exec_lo
	s_or_saveexec_b32 s19, s19
	v_mov_b32_e32 v17, 0x7f800001
	s_xor_b32 exec_lo, exec_lo, s19
	s_cbranch_execnz .LBB4_7314
.LBB4_6907:                             ;   in Loop: Header=BB4_6741 Depth=3
	s_or_b32 exec_lo, exec_lo, s19
	s_and_saveexec_b32 s19, s16
	s_cbranch_execz .LBB4_6909
.LBB4_6908:                             ;   in Loop: Header=BB4_6741 Depth=3
	v_and_b32_e32 v17, 0xffff, v1
	v_lshlrev_b32_e32 v1, 24, v1
	v_and_b32_e32 v18, 3, v17
	v_bfe_u32 v30, v17, 2, 5
	v_and_b32_e32 v1, 0x80000000, v1
	v_ffbh_u32_e32 v20, v18
	v_cmp_eq_u32_e32 vcc_lo, 0, v30
	v_min_u32_e32 v20, 32, v20
	v_subrev_nc_u32_e32 v21, 29, v20
	v_sub_nc_u32_e32 v20, 30, v20
	v_lshlrev_b32_e32 v17, v21, v17
	v_cndmask_b32_e32 v20, v30, v20, vcc_lo
	v_and_b32_e32 v17, 3, v17
	v_cndmask_b32_e32 v17, v18, v17, vcc_lo
	v_lshl_add_u32 v18, v20, 23, 0x37800000
	v_lshlrev_b32_e32 v17, 21, v17
	v_or3_b32 v17, v1, v18, v17
.LBB4_6909:                             ;   in Loop: Header=BB4_6741 Depth=3
	s_or_b32 exec_lo, exec_lo, s19
	v_mul_f32_e32 v1, v16, v17
	v_mov_b32_e32 v36, 0x80
	s_mov_b32 s19, exec_lo
	v_and_b32_e32 v17, 0x7f800000, v1
	v_cmpx_ne_u32_e32 0x7f800000, v17
	s_cbranch_execz .LBB4_6917
; %bb.6910:                             ;   in Loop: Header=BB4_6741 Depth=3
	v_mov_b32_e32 v36, 0
	s_mov_b32 s23, exec_lo
	v_cmpx_ne_u32_e32 0, v1
	s_cbranch_execz .LBB4_6916
; %bb.6911:                             ;   in Loop: Header=BB4_6741 Depth=3
	v_bfe_u32 v17, v1, 23, 8
	v_and_b32_e32 v18, 0x7fffff, v1
	v_sub_nc_u32_e32 v20, 0x70, v17
	v_cmp_gt_u32_e32 vcc_lo, 0x71, v17
	v_or_b32_e32 v21, 0x800000, v18
	v_cndmask_b32_e32 v20, 0, v20, vcc_lo
	v_cmp_eq_u32_e32 vcc_lo, 0, v17
	v_add_nc_u32_e32 v17, 0xffffff91, v17
	v_cndmask_b32_e64 v20, v20, 0x6f, vcc_lo
	v_cndmask_b32_e32 v18, v21, v18, vcc_lo
	v_cndmask_b32_e64 v17, v17, 0xffffff92, vcc_lo
	v_lshl_add_u32 v21, 0x200000, v20, -1
	v_lshrrev_b32_e32 v30, v20, v18
	v_lshlrev_b32_e64 v34, v20, 0x100000
	v_add_nc_u32_e32 v20, v20, v17
	v_and_b32_e32 v18, v21, v18
	v_bfe_u32 v31, v30, 21, 1
	v_cmp_eq_u32_e64 s16, v18, v34
	v_add_nc_u32_e32 v21, -1, v31
	v_cndmask_b32_e64 v18, 0, v21, s16
	v_lshrrev_b32_e32 v21, 23, v30
	s_mov_b32 s16, exec_lo
	v_add_nc_u32_e32 v18, v18, v30
	v_xor_b32_e32 v21, 1, v21
	v_and_b32_e32 v17, 0x1fffff, v18
	v_add_nc_u32_e32 v18, v17, v30
                                        ; implicit-def: $vgpr17
	v_cmpx_ne_u32_e64 v20, v21
	s_xor_b32 s16, exec_lo, s16
; %bb.6912:                             ;   in Loop: Header=BB4_6741 Depth=3
	v_cmp_lt_u32_e32 vcc_lo, 0xffffff, v18
	v_sub_nc_u32_e32 v17, v20, v21
	v_cndmask_b32_e64 v20, 0, 1, vcc_lo
	v_add_co_ci_u32_e64 v17, null, 0, v17, vcc_lo
	v_lshrrev_b32_e32 v18, v20, v18
; %bb.6913:                             ;   in Loop: Header=BB4_6741 Depth=3
	s_andn2_saveexec_b32 s16, s16
; %bb.6914:                             ;   in Loop: Header=BB4_6741 Depth=3
	v_bfe_u32 v17, v18, 23, 1
; %bb.6915:                             ;   in Loop: Header=BB4_6741 Depth=3
	s_or_b32 exec_lo, exec_lo, s16
	v_lshrrev_b32_e32 v18, 21, v18
	v_cmp_gt_i32_e32 vcc_lo, 32, v17
	v_min_i32_e32 v20, 31, v17
	v_and_b32_sdwa v1, v1, v101 dst_sel:DWORD dst_unused:UNUSED_PAD src0_sel:BYTE_3 src1_sel:DWORD
	v_cndmask_b32_e32 v18, 3, v18, vcc_lo
	v_lshlrev_b32_e32 v20, 2, v20
	v_and_b32_e32 v21, 3, v18
	v_or_b32_e32 v17, v17, v18
	v_or3_b32 v1, v20, v1, v21
	v_cmp_ne_u32_e32 vcc_lo, 0, v17
	v_cndmask_b32_e32 v36, 0, v1, vcc_lo
.LBB4_6916:                             ;   in Loop: Header=BB4_6741 Depth=3
	s_or_b32 exec_lo, exec_lo, s23
.LBB4_6917:                             ;   in Loop: Header=BB4_6741 Depth=3
	s_or_b32 exec_lo, exec_lo, s19
	flat_load_ubyte v1, v[12:13] offset:384 slc
	s_mov_b32 s16, 0
	s_mov_b32 s19, exec_lo
	s_waitcnt vmcnt(0) lgkmcnt(0)
	v_cmpx_lt_i16_e32 0x7f, v1
	s_xor_b32 s19, exec_lo, s19
	s_cbranch_execz .LBB4_7315
; %bb.6918:                             ;   in Loop: Header=BB4_6741 Depth=3
	s_mov_b32 s16, -1
	s_mov_b32 s23, exec_lo
	v_cmpx_eq_u16_e32 0x80, v1
; %bb.6919:                             ;   in Loop: Header=BB4_6741 Depth=3
	s_xor_b32 s16, exec_lo, -1
; %bb.6920:                             ;   in Loop: Header=BB4_6741 Depth=3
	s_or_b32 exec_lo, exec_lo, s23
	s_and_b32 s16, s16, exec_lo
	s_or_saveexec_b32 s19, s19
	v_mov_b32_e32 v17, 0x7f800001
	s_xor_b32 exec_lo, exec_lo, s19
	s_cbranch_execnz .LBB4_7316
.LBB4_6921:                             ;   in Loop: Header=BB4_6741 Depth=3
	s_or_b32 exec_lo, exec_lo, s19
	s_and_saveexec_b32 s19, s16
	s_cbranch_execz .LBB4_6923
.LBB4_6922:                             ;   in Loop: Header=BB4_6741 Depth=3
	v_and_b32_e32 v17, 0xffff, v1
	v_lshlrev_b32_e32 v1, 24, v1
	v_and_b32_e32 v18, 3, v17
	v_bfe_u32 v30, v17, 2, 5
	v_and_b32_e32 v1, 0x80000000, v1
	v_ffbh_u32_e32 v20, v18
	v_cmp_eq_u32_e32 vcc_lo, 0, v30
	v_min_u32_e32 v20, 32, v20
	v_subrev_nc_u32_e32 v21, 29, v20
	v_sub_nc_u32_e32 v20, 30, v20
	v_lshlrev_b32_e32 v17, v21, v17
	v_cndmask_b32_e32 v20, v30, v20, vcc_lo
	v_and_b32_e32 v17, 3, v17
	v_cndmask_b32_e32 v17, v18, v17, vcc_lo
	v_lshl_add_u32 v18, v20, 23, 0x37800000
	v_lshlrev_b32_e32 v17, 21, v17
	v_or3_b32 v17, v1, v18, v17
.LBB4_6923:                             ;   in Loop: Header=BB4_6741 Depth=3
	s_or_b32 exec_lo, exec_lo, s19
	v_mul_f32_e32 v1, v16, v17
	v_mov_b32_e32 v30, 0x80
	s_mov_b32 s19, exec_lo
	v_and_b32_e32 v17, 0x7f800000, v1
	v_cmpx_ne_u32_e32 0x7f800000, v17
	s_cbranch_execz .LBB4_6931
; %bb.6924:                             ;   in Loop: Header=BB4_6741 Depth=3
	v_mov_b32_e32 v30, 0
	s_mov_b32 s23, exec_lo
	v_cmpx_ne_u32_e32 0, v1
	s_cbranch_execz .LBB4_6930
; %bb.6925:                             ;   in Loop: Header=BB4_6741 Depth=3
	v_bfe_u32 v17, v1, 23, 8
	v_and_b32_e32 v18, 0x7fffff, v1
	v_sub_nc_u32_e32 v20, 0x70, v17
	v_cmp_gt_u32_e32 vcc_lo, 0x71, v17
	v_or_b32_e32 v21, 0x800000, v18
	v_cndmask_b32_e32 v20, 0, v20, vcc_lo
	v_cmp_eq_u32_e32 vcc_lo, 0, v17
	v_add_nc_u32_e32 v17, 0xffffff91, v17
	v_cndmask_b32_e64 v20, v20, 0x6f, vcc_lo
	v_cndmask_b32_e32 v18, v21, v18, vcc_lo
	v_cndmask_b32_e64 v17, v17, 0xffffff92, vcc_lo
	v_lshl_add_u32 v21, 0x200000, v20, -1
	v_lshrrev_b32_e32 v30, v20, v18
	v_lshlrev_b32_e64 v34, v20, 0x100000
	v_add_nc_u32_e32 v20, v20, v17
	v_and_b32_e32 v18, v21, v18
	v_bfe_u32 v31, v30, 21, 1
	v_cmp_eq_u32_e64 s16, v18, v34
	v_add_nc_u32_e32 v21, -1, v31
	v_cndmask_b32_e64 v18, 0, v21, s16
	v_lshrrev_b32_e32 v21, 23, v30
	s_mov_b32 s16, exec_lo
	v_add_nc_u32_e32 v18, v18, v30
	v_xor_b32_e32 v21, 1, v21
	v_and_b32_e32 v17, 0x1fffff, v18
	v_add_nc_u32_e32 v18, v17, v30
                                        ; implicit-def: $vgpr17
	v_cmpx_ne_u32_e64 v20, v21
	s_xor_b32 s16, exec_lo, s16
; %bb.6926:                             ;   in Loop: Header=BB4_6741 Depth=3
	v_cmp_lt_u32_e32 vcc_lo, 0xffffff, v18
	v_sub_nc_u32_e32 v17, v20, v21
	v_cndmask_b32_e64 v20, 0, 1, vcc_lo
	v_add_co_ci_u32_e64 v17, null, 0, v17, vcc_lo
	v_lshrrev_b32_e32 v18, v20, v18
; %bb.6927:                             ;   in Loop: Header=BB4_6741 Depth=3
	s_andn2_saveexec_b32 s16, s16
; %bb.6928:                             ;   in Loop: Header=BB4_6741 Depth=3
	v_bfe_u32 v17, v18, 23, 1
; %bb.6929:                             ;   in Loop: Header=BB4_6741 Depth=3
	s_or_b32 exec_lo, exec_lo, s16
	v_lshrrev_b32_e32 v18, 21, v18
	v_cmp_gt_i32_e32 vcc_lo, 32, v17
	v_min_i32_e32 v20, 31, v17
	v_and_b32_sdwa v1, v1, v101 dst_sel:DWORD dst_unused:UNUSED_PAD src0_sel:BYTE_3 src1_sel:DWORD
	v_cndmask_b32_e32 v18, 3, v18, vcc_lo
	v_lshlrev_b32_e32 v20, 2, v20
	v_and_b32_e32 v21, 3, v18
	v_or_b32_e32 v17, v17, v18
	v_or3_b32 v1, v20, v1, v21
	v_cmp_ne_u32_e32 vcc_lo, 0, v17
	v_cndmask_b32_e32 v30, 0, v1, vcc_lo
.LBB4_6930:                             ;   in Loop: Header=BB4_6741 Depth=3
	s_or_b32 exec_lo, exec_lo, s23
.LBB4_6931:                             ;   in Loop: Header=BB4_6741 Depth=3
	s_or_b32 exec_lo, exec_lo, s19
	flat_load_ubyte v1, v[12:13] offset:416 slc
	s_mov_b32 s16, 0
	s_mov_b32 s19, exec_lo
	s_waitcnt vmcnt(0) lgkmcnt(0)
	v_cmpx_lt_i16_e32 0x7f, v1
	s_xor_b32 s19, exec_lo, s19
	s_cbranch_execz .LBB4_7317
; %bb.6932:                             ;   in Loop: Header=BB4_6741 Depth=3
	s_mov_b32 s16, -1
	s_mov_b32 s23, exec_lo
	v_cmpx_eq_u16_e32 0x80, v1
; %bb.6933:                             ;   in Loop: Header=BB4_6741 Depth=3
	s_xor_b32 s16, exec_lo, -1
; %bb.6934:                             ;   in Loop: Header=BB4_6741 Depth=3
	s_or_b32 exec_lo, exec_lo, s23
	s_and_b32 s16, s16, exec_lo
	s_or_saveexec_b32 s19, s19
	v_mov_b32_e32 v17, 0x7f800001
	s_xor_b32 exec_lo, exec_lo, s19
	s_cbranch_execnz .LBB4_7318
.LBB4_6935:                             ;   in Loop: Header=BB4_6741 Depth=3
	s_or_b32 exec_lo, exec_lo, s19
	s_and_saveexec_b32 s19, s16
	s_cbranch_execz .LBB4_6937
.LBB4_6936:                             ;   in Loop: Header=BB4_6741 Depth=3
	v_and_b32_e32 v17, 0xffff, v1
	v_lshlrev_b32_e32 v1, 24, v1
	v_and_b32_e32 v18, 3, v17
	v_bfe_u32 v31, v17, 2, 5
	v_and_b32_e32 v1, 0x80000000, v1
	v_ffbh_u32_e32 v20, v18
	v_cmp_eq_u32_e32 vcc_lo, 0, v31
	v_min_u32_e32 v20, 32, v20
	v_subrev_nc_u32_e32 v21, 29, v20
	v_sub_nc_u32_e32 v20, 30, v20
	v_lshlrev_b32_e32 v17, v21, v17
	v_cndmask_b32_e32 v20, v31, v20, vcc_lo
	v_and_b32_e32 v17, 3, v17
	v_cndmask_b32_e32 v17, v18, v17, vcc_lo
	v_lshl_add_u32 v18, v20, 23, 0x37800000
	v_lshlrev_b32_e32 v17, 21, v17
	v_or3_b32 v17, v1, v18, v17
.LBB4_6937:                             ;   in Loop: Header=BB4_6741 Depth=3
	s_or_b32 exec_lo, exec_lo, s19
	v_mul_f32_e32 v1, v16, v17
	v_mov_b32_e32 v20, 0x80
	s_mov_b32 s19, exec_lo
	v_and_b32_e32 v17, 0x7f800000, v1
	v_cmpx_ne_u32_e32 0x7f800000, v17
	s_cbranch_execz .LBB4_6945
; %bb.6938:                             ;   in Loop: Header=BB4_6741 Depth=3
	v_mov_b32_e32 v20, 0
	s_mov_b32 s23, exec_lo
	v_cmpx_ne_u32_e32 0, v1
	s_cbranch_execz .LBB4_6944
; %bb.6939:                             ;   in Loop: Header=BB4_6741 Depth=3
	v_bfe_u32 v17, v1, 23, 8
	v_and_b32_e32 v18, 0x7fffff, v1
	v_sub_nc_u32_e32 v20, 0x70, v17
	v_cmp_gt_u32_e32 vcc_lo, 0x71, v17
	v_or_b32_e32 v21, 0x800000, v18
	v_cndmask_b32_e32 v20, 0, v20, vcc_lo
	v_cmp_eq_u32_e32 vcc_lo, 0, v17
	v_add_nc_u32_e32 v17, 0xffffff91, v17
	v_cndmask_b32_e64 v20, v20, 0x6f, vcc_lo
	v_cndmask_b32_e32 v18, v21, v18, vcc_lo
	v_cndmask_b32_e64 v17, v17, 0xffffff92, vcc_lo
	v_lshl_add_u32 v21, 0x200000, v20, -1
	v_lshrrev_b32_e32 v31, v20, v18
	v_lshlrev_b32_e64 v35, v20, 0x100000
	v_add_nc_u32_e32 v20, v20, v17
	v_and_b32_e32 v18, v21, v18
	v_bfe_u32 v34, v31, 21, 1
	v_cmp_eq_u32_e64 s16, v18, v35
	v_add_nc_u32_e32 v21, -1, v34
	v_cndmask_b32_e64 v18, 0, v21, s16
	v_lshrrev_b32_e32 v21, 23, v31
	s_mov_b32 s16, exec_lo
	v_add_nc_u32_e32 v18, v18, v31
	v_xor_b32_e32 v21, 1, v21
	v_and_b32_e32 v17, 0x1fffff, v18
	v_add_nc_u32_e32 v18, v17, v31
                                        ; implicit-def: $vgpr17
	v_cmpx_ne_u32_e64 v20, v21
	s_xor_b32 s16, exec_lo, s16
; %bb.6940:                             ;   in Loop: Header=BB4_6741 Depth=3
	v_cmp_lt_u32_e32 vcc_lo, 0xffffff, v18
	v_sub_nc_u32_e32 v17, v20, v21
	v_cndmask_b32_e64 v20, 0, 1, vcc_lo
	v_add_co_ci_u32_e64 v17, null, 0, v17, vcc_lo
	v_lshrrev_b32_e32 v18, v20, v18
; %bb.6941:                             ;   in Loop: Header=BB4_6741 Depth=3
	s_andn2_saveexec_b32 s16, s16
; %bb.6942:                             ;   in Loop: Header=BB4_6741 Depth=3
	v_bfe_u32 v17, v18, 23, 1
; %bb.6943:                             ;   in Loop: Header=BB4_6741 Depth=3
	s_or_b32 exec_lo, exec_lo, s16
	v_lshrrev_b32_e32 v18, 21, v18
	v_cmp_gt_i32_e32 vcc_lo, 32, v17
	v_min_i32_e32 v20, 31, v17
	v_and_b32_sdwa v1, v1, v101 dst_sel:DWORD dst_unused:UNUSED_PAD src0_sel:BYTE_3 src1_sel:DWORD
	v_cndmask_b32_e32 v18, 3, v18, vcc_lo
	v_lshlrev_b32_e32 v20, 2, v20
	v_and_b32_e32 v21, 3, v18
	v_or_b32_e32 v17, v17, v18
	v_or3_b32 v1, v20, v1, v21
	v_cmp_ne_u32_e32 vcc_lo, 0, v17
	v_cndmask_b32_e32 v20, 0, v1, vcc_lo
.LBB4_6944:                             ;   in Loop: Header=BB4_6741 Depth=3
	s_or_b32 exec_lo, exec_lo, s23
.LBB4_6945:                             ;   in Loop: Header=BB4_6741 Depth=3
	s_or_b32 exec_lo, exec_lo, s19
	flat_load_ubyte v1, v[12:13] offset:448 slc
	s_mov_b32 s16, 0
	s_mov_b32 s19, exec_lo
	s_waitcnt vmcnt(0) lgkmcnt(0)
	v_cmpx_lt_i16_e32 0x7f, v1
	s_xor_b32 s19, exec_lo, s19
	s_cbranch_execz .LBB4_7319
; %bb.6946:                             ;   in Loop: Header=BB4_6741 Depth=3
	s_mov_b32 s16, -1
	s_mov_b32 s23, exec_lo
	v_cmpx_eq_u16_e32 0x80, v1
; %bb.6947:                             ;   in Loop: Header=BB4_6741 Depth=3
	s_xor_b32 s16, exec_lo, -1
; %bb.6948:                             ;   in Loop: Header=BB4_6741 Depth=3
	s_or_b32 exec_lo, exec_lo, s23
	s_and_b32 s16, s16, exec_lo
	s_or_saveexec_b32 s19, s19
	v_mov_b32_e32 v17, 0x7f800001
	s_xor_b32 exec_lo, exec_lo, s19
	s_cbranch_execnz .LBB4_7320
.LBB4_6949:                             ;   in Loop: Header=BB4_6741 Depth=3
	s_or_b32 exec_lo, exec_lo, s19
	s_and_saveexec_b32 s19, s16
	s_cbranch_execz .LBB4_6951
.LBB4_6950:                             ;   in Loop: Header=BB4_6741 Depth=3
	v_and_b32_e32 v17, 0xffff, v1
	v_lshlrev_b32_e32 v1, 24, v1
	v_and_b32_e32 v18, 3, v17
	v_bfe_u32 v34, v17, 2, 5
	v_and_b32_e32 v1, 0x80000000, v1
	v_ffbh_u32_e32 v21, v18
	v_cmp_eq_u32_e32 vcc_lo, 0, v34
	v_min_u32_e32 v21, 32, v21
	v_subrev_nc_u32_e32 v31, 29, v21
	v_sub_nc_u32_e32 v21, 30, v21
	v_lshlrev_b32_e32 v17, v31, v17
	v_cndmask_b32_e32 v21, v34, v21, vcc_lo
	v_and_b32_e32 v17, 3, v17
	v_cndmask_b32_e32 v17, v18, v17, vcc_lo
	v_lshl_add_u32 v18, v21, 23, 0x37800000
	v_lshlrev_b32_e32 v17, 21, v17
	v_or3_b32 v17, v1, v18, v17
.LBB4_6951:                             ;   in Loop: Header=BB4_6741 Depth=3
	s_or_b32 exec_lo, exec_lo, s19
	v_mul_f32_e32 v1, v16, v17
	v_mov_b32_e32 v18, 0x80
	s_mov_b32 s19, exec_lo
	v_and_b32_e32 v17, 0x7f800000, v1
	v_cmpx_ne_u32_e32 0x7f800000, v17
	s_cbranch_execz .LBB4_6959
; %bb.6952:                             ;   in Loop: Header=BB4_6741 Depth=3
	v_mov_b32_e32 v18, 0
	s_mov_b32 s23, exec_lo
	v_cmpx_ne_u32_e32 0, v1
	s_cbranch_execz .LBB4_6958
; %bb.6953:                             ;   in Loop: Header=BB4_6741 Depth=3
	v_bfe_u32 v17, v1, 23, 8
	v_and_b32_e32 v18, 0x7fffff, v1
	v_sub_nc_u32_e32 v21, 0x70, v17
	v_cmp_gt_u32_e32 vcc_lo, 0x71, v17
	v_or_b32_e32 v31, 0x800000, v18
	v_cndmask_b32_e32 v21, 0, v21, vcc_lo
	v_cmp_eq_u32_e32 vcc_lo, 0, v17
	v_add_nc_u32_e32 v17, 0xffffff91, v17
	v_cndmask_b32_e64 v21, v21, 0x6f, vcc_lo
	v_cndmask_b32_e32 v18, v31, v18, vcc_lo
	v_cndmask_b32_e64 v17, v17, 0xffffff92, vcc_lo
	v_lshl_add_u32 v31, 0x200000, v21, -1
	v_lshrrev_b32_e32 v34, v21, v18
	v_lshlrev_b32_e64 v50, v21, 0x100000
	v_add_nc_u32_e32 v21, v21, v17
	v_and_b32_e32 v18, v31, v18
	v_bfe_u32 v35, v34, 21, 1
	v_cmp_eq_u32_e64 s16, v18, v50
	v_add_nc_u32_e32 v31, -1, v35
	v_cndmask_b32_e64 v18, 0, v31, s16
	v_lshrrev_b32_e32 v31, 23, v34
	s_mov_b32 s16, exec_lo
	v_add_nc_u32_e32 v18, v18, v34
	v_xor_b32_e32 v31, 1, v31
	v_and_b32_e32 v17, 0x1fffff, v18
	v_add_nc_u32_e32 v18, v17, v34
                                        ; implicit-def: $vgpr17
	v_cmpx_ne_u32_e64 v21, v31
	s_xor_b32 s16, exec_lo, s16
; %bb.6954:                             ;   in Loop: Header=BB4_6741 Depth=3
	v_cmp_lt_u32_e32 vcc_lo, 0xffffff, v18
	v_sub_nc_u32_e32 v17, v21, v31
	v_cndmask_b32_e64 v21, 0, 1, vcc_lo
	v_add_co_ci_u32_e64 v17, null, 0, v17, vcc_lo
	v_lshrrev_b32_e32 v18, v21, v18
; %bb.6955:                             ;   in Loop: Header=BB4_6741 Depth=3
	s_andn2_saveexec_b32 s16, s16
; %bb.6956:                             ;   in Loop: Header=BB4_6741 Depth=3
	v_bfe_u32 v17, v18, 23, 1
; %bb.6957:                             ;   in Loop: Header=BB4_6741 Depth=3
	s_or_b32 exec_lo, exec_lo, s16
	v_lshrrev_b32_e32 v18, 21, v18
	v_cmp_gt_i32_e32 vcc_lo, 32, v17
	v_min_i32_e32 v21, 31, v17
	v_and_b32_sdwa v1, v1, v101 dst_sel:DWORD dst_unused:UNUSED_PAD src0_sel:BYTE_3 src1_sel:DWORD
	v_cndmask_b32_e32 v18, 3, v18, vcc_lo
	v_lshlrev_b32_e32 v21, 2, v21
	v_and_b32_e32 v31, 3, v18
	v_or_b32_e32 v17, v17, v18
	v_or3_b32 v1, v21, v1, v31
	v_cmp_ne_u32_e32 vcc_lo, 0, v17
	v_cndmask_b32_e32 v18, 0, v1, vcc_lo
.LBB4_6958:                             ;   in Loop: Header=BB4_6741 Depth=3
	s_or_b32 exec_lo, exec_lo, s23
.LBB4_6959:                             ;   in Loop: Header=BB4_6741 Depth=3
	s_or_b32 exec_lo, exec_lo, s19
	flat_load_ubyte v1, v[12:13] offset:480 slc
	s_mov_b32 s16, 0
	s_mov_b32 s19, exec_lo
	s_waitcnt vmcnt(0) lgkmcnt(0)
	v_cmpx_lt_i16_e32 0x7f, v1
	s_xor_b32 s19, exec_lo, s19
	s_cbranch_execz .LBB4_7321
; %bb.6960:                             ;   in Loop: Header=BB4_6741 Depth=3
	s_mov_b32 s16, -1
	s_mov_b32 s23, exec_lo
	v_cmpx_eq_u16_e32 0x80, v1
; %bb.6961:                             ;   in Loop: Header=BB4_6741 Depth=3
	s_xor_b32 s16, exec_lo, -1
; %bb.6962:                             ;   in Loop: Header=BB4_6741 Depth=3
	s_or_b32 exec_lo, exec_lo, s23
	s_and_b32 s16, s16, exec_lo
	s_or_saveexec_b32 s19, s19
	v_mov_b32_e32 v17, 0x7f800001
	s_xor_b32 exec_lo, exec_lo, s19
	s_cbranch_execnz .LBB4_7322
.LBB4_6963:                             ;   in Loop: Header=BB4_6741 Depth=3
	s_or_b32 exec_lo, exec_lo, s19
	s_and_saveexec_b32 s19, s16
	s_cbranch_execz .LBB4_6965
.LBB4_6964:                             ;   in Loop: Header=BB4_6741 Depth=3
	v_and_b32_e32 v17, 0xffff, v1
	v_lshlrev_b32_e32 v1, 24, v1
	v_and_b32_e32 v21, 3, v17
	v_bfe_u32 v35, v17, 2, 5
	v_and_b32_e32 v1, 0x80000000, v1
	v_ffbh_u32_e32 v31, v21
	v_cmp_eq_u32_e32 vcc_lo, 0, v35
	v_min_u32_e32 v31, 32, v31
	v_subrev_nc_u32_e32 v34, 29, v31
	v_sub_nc_u32_e32 v31, 30, v31
	v_lshlrev_b32_e32 v17, v34, v17
	v_cndmask_b32_e32 v31, v35, v31, vcc_lo
	v_and_b32_e32 v17, 3, v17
	v_cndmask_b32_e32 v17, v21, v17, vcc_lo
	v_lshl_add_u32 v21, v31, 23, 0x37800000
	v_lshlrev_b32_e32 v17, 21, v17
	v_or3_b32 v17, v1, v21, v17
.LBB4_6965:                             ;   in Loop: Header=BB4_6741 Depth=3
	s_or_b32 exec_lo, exec_lo, s19
	v_mul_f32_e32 v1, v16, v17
	v_mov_b32_e32 v17, 0x80
	s_mov_b32 s19, exec_lo
	v_and_b32_e32 v16, 0x7f800000, v1
	v_cmpx_ne_u32_e32 0x7f800000, v16
	s_cbranch_execz .LBB4_6973
; %bb.6966:                             ;   in Loop: Header=BB4_6741 Depth=3
	v_mov_b32_e32 v17, 0
	s_mov_b32 s23, exec_lo
	v_cmpx_ne_u32_e32 0, v1
	s_cbranch_execz .LBB4_6972
; %bb.6967:                             ;   in Loop: Header=BB4_6741 Depth=3
	v_bfe_u32 v16, v1, 23, 8
	v_and_b32_e32 v17, 0x7fffff, v1
	v_sub_nc_u32_e32 v21, 0x70, v16
	v_cmp_gt_u32_e32 vcc_lo, 0x71, v16
	v_or_b32_e32 v31, 0x800000, v17
	v_cndmask_b32_e32 v21, 0, v21, vcc_lo
	v_cmp_eq_u32_e32 vcc_lo, 0, v16
	v_add_nc_u32_e32 v16, 0xffffff91, v16
	v_cndmask_b32_e64 v21, v21, 0x6f, vcc_lo
	v_cndmask_b32_e32 v17, v31, v17, vcc_lo
	v_cndmask_b32_e64 v16, v16, 0xffffff92, vcc_lo
	v_lshl_add_u32 v31, 0x200000, v21, -1
	v_lshrrev_b32_e32 v34, v21, v17
	v_lshlrev_b32_e64 v50, v21, 0x100000
	v_add_nc_u32_e32 v21, v21, v16
	v_and_b32_e32 v17, v31, v17
	v_bfe_u32 v35, v34, 21, 1
	v_cmp_eq_u32_e64 s16, v17, v50
	v_add_nc_u32_e32 v31, -1, v35
	v_cndmask_b32_e64 v17, 0, v31, s16
	v_lshrrev_b32_e32 v31, 23, v34
	s_mov_b32 s16, exec_lo
	v_add_nc_u32_e32 v17, v17, v34
	v_xor_b32_e32 v31, 1, v31
	v_and_b32_e32 v16, 0x1fffff, v17
	v_add_nc_u32_e32 v17, v16, v34
                                        ; implicit-def: $vgpr16
	v_cmpx_ne_u32_e64 v21, v31
	s_xor_b32 s16, exec_lo, s16
; %bb.6968:                             ;   in Loop: Header=BB4_6741 Depth=3
	v_cmp_lt_u32_e32 vcc_lo, 0xffffff, v17
	v_sub_nc_u32_e32 v16, v21, v31
	v_cndmask_b32_e64 v21, 0, 1, vcc_lo
	v_add_co_ci_u32_e64 v16, null, 0, v16, vcc_lo
	v_lshrrev_b32_e32 v17, v21, v17
; %bb.6969:                             ;   in Loop: Header=BB4_6741 Depth=3
	s_andn2_saveexec_b32 s16, s16
; %bb.6970:                             ;   in Loop: Header=BB4_6741 Depth=3
	v_bfe_u32 v16, v17, 23, 1
; %bb.6971:                             ;   in Loop: Header=BB4_6741 Depth=3
	s_or_b32 exec_lo, exec_lo, s16
	v_lshrrev_b32_e32 v17, 21, v17
	v_cmp_gt_i32_e32 vcc_lo, 32, v16
	v_min_i32_e32 v21, 31, v16
	v_and_b32_sdwa v1, v1, v101 dst_sel:DWORD dst_unused:UNUSED_PAD src0_sel:BYTE_3 src1_sel:DWORD
	v_cndmask_b32_e32 v17, 3, v17, vcc_lo
	v_lshlrev_b32_e32 v21, 2, v21
	v_and_b32_e32 v31, 3, v17
	v_or_b32_e32 v16, v16, v17
	v_or3_b32 v1, v21, v1, v31
	v_cmp_ne_u32_e32 vcc_lo, 0, v16
	v_cndmask_b32_e32 v17, 0, v1, vcc_lo
.LBB4_6972:                             ;   in Loop: Header=BB4_6741 Depth=3
	s_or_b32 exec_lo, exec_lo, s23
.LBB4_6973:                             ;   in Loop: Header=BB4_6741 Depth=3
	s_or_b32 exec_lo, exec_lo, s19
	s_clause 0xf
	flat_load_ubyte v50, v[14:15] slc
	flat_load_ubyte v79, v[14:15] offset:32 slc
	flat_load_ubyte v97, v[14:15] offset:64 slc
	;; [unrolled: 1-line block ×15, first 2 shown]
	v_cmp_gt_i16_sdwa s19, v19, v100 src0_sel:BYTE_0 src1_sel:DWORD
	s_mov_b32 s16, 0
	s_and_saveexec_b32 s23, s19
	s_xor_b32 s19, exec_lo, s23
	s_cbranch_execz .LBB4_7323
; %bb.6974:                             ;   in Loop: Header=BB4_6741 Depth=3
	v_cmp_eq_u16_sdwa s72, v19, v101 src0_sel:BYTE_0 src1_sel:DWORD
	s_mov_b32 s16, -1
	s_and_saveexec_b32 s23, s72
; %bb.6975:                             ;   in Loop: Header=BB4_6741 Depth=3
	s_xor_b32 s16, exec_lo, -1
; %bb.6976:                             ;   in Loop: Header=BB4_6741 Depth=3
	s_or_b32 exec_lo, exec_lo, s23
	s_and_b32 s16, s16, exec_lo
	s_or_saveexec_b32 s19, s19
	v_mov_b32_e32 v51, 0x7f800001
	s_xor_b32 exec_lo, exec_lo, s19
	s_cbranch_execnz .LBB4_7324
.LBB4_6977:                             ;   in Loop: Header=BB4_6741 Depth=3
	s_or_b32 exec_lo, exec_lo, s19
	s_and_saveexec_b32 s19, s16
	s_cbranch_execz .LBB4_6979
.LBB4_6978:                             ;   in Loop: Header=BB4_6741 Depth=3
	v_and_b32_e32 v51, 3, v19
	v_lshrrev_b16 v40, 2, v19
	v_ffbh_u32_e32 v115, v51
	v_and_b32_e32 v40, 31, v40
	v_min_u32_e32 v115, 32, v115
	v_cmp_eq_u32_e32 vcc_lo, 0, v40
	v_subrev_nc_u32_e32 v88, 29, v115
	v_sub_nc_u32_e32 v115, 30, v115
	v_lshlrev_b32_e32 v88, v88, v19
	v_lshlrev_b32_e32 v19, 24, v19
	v_cndmask_b32_e32 v115, v40, v115, vcc_lo
	v_and_b32_e32 v88, 3, v88
	v_and_b32_e32 v19, 0x80000000, v19
	v_lshl_add_u32 v115, v115, 23, 0x37800000
	v_cndmask_b32_e32 v51, v51, v88, vcc_lo
	v_lshlrev_b32_e32 v51, 21, v51
	v_or3_b32 v51, v19, v115, v51
.LBB4_6979:                             ;   in Loop: Header=BB4_6741 Depth=3
	s_or_b32 exec_lo, exec_lo, s19
	s_waitcnt vmcnt(15) lgkmcnt(15)
	v_cmp_gt_i16_sdwa s19, v50, v100 src0_sel:BYTE_0 src1_sel:DWORD
	s_mov_b32 s16, 0
	s_and_saveexec_b32 s23, s19
	s_xor_b32 s19, exec_lo, s23
	s_cbranch_execz .LBB4_7325
; %bb.6980:                             ;   in Loop: Header=BB4_6741 Depth=3
	v_cmp_eq_u16_sdwa s72, v50, v101 src0_sel:BYTE_0 src1_sel:DWORD
	s_mov_b32 s16, -1
	s_and_saveexec_b32 s23, s72
; %bb.6981:                             ;   in Loop: Header=BB4_6741 Depth=3
	s_xor_b32 s16, exec_lo, -1
; %bb.6982:                             ;   in Loop: Header=BB4_6741 Depth=3
	s_or_b32 exec_lo, exec_lo, s23
	s_and_b32 s16, s16, exec_lo
	s_or_saveexec_b32 s19, s19
	v_mov_b32_e32 v19, 0x7f800001
	s_xor_b32 exec_lo, exec_lo, s19
	s_cbranch_execnz .LBB4_7326
.LBB4_6983:                             ;   in Loop: Header=BB4_6741 Depth=3
	s_or_b32 exec_lo, exec_lo, s19
	s_and_saveexec_b32 s19, s16
	s_cbranch_execz .LBB4_6985
.LBB4_6984:                             ;   in Loop: Header=BB4_6741 Depth=3
	v_and_b32_e32 v19, 3, v50
	v_lshrrev_b16 v40, 2, v50
	v_ffbh_u32_e32 v115, v19
	v_and_b32_e32 v40, 31, v40
	v_min_u32_e32 v115, 32, v115
	v_cmp_eq_u32_e32 vcc_lo, 0, v40
	v_subrev_nc_u32_e32 v88, 29, v115
	v_sub_nc_u32_e32 v115, 30, v115
	v_lshlrev_b32_e32 v88, v88, v50
	v_lshlrev_b32_e32 v50, 24, v50
	v_cndmask_b32_e32 v115, v40, v115, vcc_lo
	v_and_b32_e32 v88, 3, v88
	v_and_b32_e32 v50, 0x80000000, v50
	v_lshl_add_u32 v115, v115, 23, 0x37800000
	v_cndmask_b32_e32 v19, v19, v88, vcc_lo
	v_lshlrev_b32_e32 v19, 21, v19
	v_or3_b32 v19, v50, v115, v19
.LBB4_6985:                             ;   in Loop: Header=BB4_6741 Depth=3
	s_or_b32 exec_lo, exec_lo, s19
	v_add_f32_e32 v50, v51, v19
	v_and_b32_e32 v19, 0x7f800000, v50
	v_cmp_ne_u32_e32 vcc_lo, 0x7f800000, v19
	v_mov_b32_e32 v19, 0x80
	s_and_saveexec_b32 s19, vcc_lo
	s_cbranch_execz .LBB4_6993
; %bb.6986:                             ;   in Loop: Header=BB4_6741 Depth=3
	v_mov_b32_e32 v19, 0
	s_mov_b32 s23, exec_lo
	v_cmpx_ne_u32_e32 0, v50
	s_cbranch_execz .LBB4_6992
; %bb.6987:                             ;   in Loop: Header=BB4_6741 Depth=3
	v_bfe_u32 v51, v50, 23, 8
	v_and_b32_e32 v19, 0x7fffff, v50
	v_cmp_gt_u32_e64 s16, 0x71, v51
	v_sub_nc_u32_e32 v115, 0x70, v51
	v_cmp_eq_u32_e32 vcc_lo, 0, v51
	v_or_b32_e32 v40, 0x800000, v19
	v_cndmask_b32_e64 v115, 0, v115, s16
	v_cndmask_b32_e32 v19, v40, v19, vcc_lo
	v_cndmask_b32_e64 v115, v115, 0x6f, vcc_lo
	v_lshl_add_u32 v40, 0x200000, v115, -1
	v_lshlrev_b32_e64 v88, v115, 0x100000
	v_and_b32_e32 v40, v40, v19
	v_cmp_eq_u32_e64 s16, v40, v88
	v_lshrrev_b32_e32 v40, v115, v19
	v_add_nc_u32_e32 v19, 0xffffff91, v51
	v_lshrrev_b32_e32 v51, 23, v40
	v_cndmask_b32_e64 v19, v19, 0xffffff92, vcc_lo
	v_xor_b32_e32 v51, 1, v51
	v_add_nc_u32_e32 v19, v115, v19
	v_bfe_u32 v115, v40, 21, 1
	v_add_nc_u32_e32 v115, -1, v115
	v_cndmask_b32_e64 v115, 0, v115, s16
	s_mov_b32 s16, exec_lo
	v_add_nc_u32_e32 v115, v115, v40
	v_and_b32_e32 v115, 0x1fffff, v115
	v_add_nc_u32_e32 v88, v115, v40
                                        ; implicit-def: $vgpr40
	v_cmpx_ne_u32_e64 v19, v51
	s_xor_b32 s16, exec_lo, s16
; %bb.6988:                             ;   in Loop: Header=BB4_6741 Depth=3
	v_cmp_lt_u32_e32 vcc_lo, 0xffffff, v88
	v_sub_nc_u32_e32 v19, v19, v51
	v_cndmask_b32_e64 v51, 0, 1, vcc_lo
	v_add_co_ci_u32_e64 v40, null, 0, v19, vcc_lo
	v_lshrrev_b32_e32 v88, v51, v88
; %bb.6989:                             ;   in Loop: Header=BB4_6741 Depth=3
	s_andn2_saveexec_b32 s16, s16
; %bb.6990:                             ;   in Loop: Header=BB4_6741 Depth=3
	v_bfe_u32 v40, v88, 23, 1
; %bb.6991:                             ;   in Loop: Header=BB4_6741 Depth=3
	s_or_b32 exec_lo, exec_lo, s16
	v_lshrrev_b32_e32 v19, 21, v88
	v_cmp_gt_i32_e32 vcc_lo, 32, v40
	v_min_i32_e32 v51, 31, v40
	v_and_b32_sdwa v50, v50, v101 dst_sel:DWORD dst_unused:UNUSED_PAD src0_sel:BYTE_3 src1_sel:DWORD
	v_cndmask_b32_e32 v19, 3, v19, vcc_lo
	v_lshlrev_b32_e32 v51, 2, v51
	v_and_b32_e32 v115, 3, v19
	v_or_b32_e32 v19, v40, v19
	v_or3_b32 v50, v51, v50, v115
	v_cmp_ne_u32_e32 vcc_lo, 0, v19
	v_cndmask_b32_e32 v19, 0, v50, vcc_lo
.LBB4_6992:                             ;   in Loop: Header=BB4_6741 Depth=3
	s_or_b32 exec_lo, exec_lo, s23
.LBB4_6993:                             ;   in Loop: Header=BB4_6741 Depth=3
	s_or_b32 exec_lo, exec_lo, s19
	v_cmp_gt_i16_sdwa s19, v66, v100 src0_sel:BYTE_0 src1_sel:DWORD
	s_mov_b32 s16, 0
	s_and_saveexec_b32 s23, s19
	s_xor_b32 s19, exec_lo, s23
	s_cbranch_execz .LBB4_7327
; %bb.6994:                             ;   in Loop: Header=BB4_6741 Depth=3
	v_cmp_eq_u16_sdwa s72, v66, v101 src0_sel:BYTE_0 src1_sel:DWORD
	s_mov_b32 s16, -1
	s_and_saveexec_b32 s23, s72
; %bb.6995:                             ;   in Loop: Header=BB4_6741 Depth=3
	s_xor_b32 s16, exec_lo, -1
; %bb.6996:                             ;   in Loop: Header=BB4_6741 Depth=3
	s_or_b32 exec_lo, exec_lo, s23
	s_and_b32 s16, s16, exec_lo
	s_or_saveexec_b32 s19, s19
	v_mov_b32_e32 v50, 0x7f800001
	s_xor_b32 exec_lo, exec_lo, s19
	s_cbranch_execnz .LBB4_7328
.LBB4_6997:                             ;   in Loop: Header=BB4_6741 Depth=3
	s_or_b32 exec_lo, exec_lo, s19
	s_and_saveexec_b32 s19, s16
	s_cbranch_execz .LBB4_6999
.LBB4_6998:                             ;   in Loop: Header=BB4_6741 Depth=3
	v_and_b32_e32 v50, 3, v66
	v_lshrrev_b16 v115, 2, v66
	v_ffbh_u32_e32 v51, v50
	v_and_b32_e32 v115, 31, v115
	v_min_u32_e32 v51, 32, v51
	v_cmp_eq_u32_e32 vcc_lo, 0, v115
	v_subrev_nc_u32_e32 v40, 29, v51
	v_sub_nc_u32_e32 v51, 30, v51
	v_lshlrev_b32_e32 v40, v40, v66
	v_lshlrev_b32_e32 v66, 24, v66
	v_cndmask_b32_e32 v51, v115, v51, vcc_lo
	v_and_b32_e32 v40, 3, v40
	v_and_b32_e32 v66, 0x80000000, v66
	v_lshl_add_u32 v51, v51, 23, 0x37800000
	v_cndmask_b32_e32 v50, v50, v40, vcc_lo
	v_lshlrev_b32_e32 v50, 21, v50
	v_or3_b32 v50, v66, v51, v50
.LBB4_6999:                             ;   in Loop: Header=BB4_6741 Depth=3
	s_or_b32 exec_lo, exec_lo, s19
	s_waitcnt vmcnt(14) lgkmcnt(14)
	v_cmp_gt_i16_sdwa s19, v79, v100 src0_sel:BYTE_0 src1_sel:DWORD
	s_mov_b32 s16, 0
	s_and_saveexec_b32 s23, s19
	s_xor_b32 s19, exec_lo, s23
	s_cbranch_execz .LBB4_7329
; %bb.7000:                             ;   in Loop: Header=BB4_6741 Depth=3
	v_cmp_eq_u16_sdwa s72, v79, v101 src0_sel:BYTE_0 src1_sel:DWORD
	s_mov_b32 s16, -1
	s_and_saveexec_b32 s23, s72
; %bb.7001:                             ;   in Loop: Header=BB4_6741 Depth=3
	s_xor_b32 s16, exec_lo, -1
; %bb.7002:                             ;   in Loop: Header=BB4_6741 Depth=3
	s_or_b32 exec_lo, exec_lo, s23
	s_and_b32 s16, s16, exec_lo
	s_or_saveexec_b32 s19, s19
	v_mov_b32_e32 v51, 0x7f800001
	s_xor_b32 exec_lo, exec_lo, s19
	s_cbranch_execnz .LBB4_7330
.LBB4_7003:                             ;   in Loop: Header=BB4_6741 Depth=3
	s_or_b32 exec_lo, exec_lo, s19
	s_and_saveexec_b32 s19, s16
	s_cbranch_execz .LBB4_7005
.LBB4_7004:                             ;   in Loop: Header=BB4_6741 Depth=3
	v_and_b32_e32 v51, 3, v79
	v_lshrrev_b16 v115, 2, v79
	v_ffbh_u32_e32 v66, v51
	v_and_b32_e32 v115, 31, v115
	v_min_u32_e32 v66, 32, v66
	v_cmp_eq_u32_e32 vcc_lo, 0, v115
	v_subrev_nc_u32_e32 v40, 29, v66
	v_sub_nc_u32_e32 v66, 30, v66
	v_lshlrev_b32_e32 v40, v40, v79
	v_lshlrev_b32_e32 v79, 24, v79
	v_cndmask_b32_e32 v66, v115, v66, vcc_lo
	v_and_b32_e32 v40, 3, v40
	v_and_b32_e32 v115, 0x80000000, v79
	v_lshl_add_u32 v66, v66, 23, 0x37800000
	v_cndmask_b32_e32 v51, v51, v40, vcc_lo
	v_lshlrev_b32_e32 v51, 21, v51
	v_or3_b32 v51, v115, v66, v51
.LBB4_7005:                             ;   in Loop: Header=BB4_6741 Depth=3
	s_or_b32 exec_lo, exec_lo, s19
	v_add_f32_e32 v50, v50, v51
	v_mov_b32_e32 v66, 0x80
	s_mov_b32 s19, exec_lo
	v_and_b32_e32 v51, 0x7f800000, v50
	v_cmpx_ne_u32_e32 0x7f800000, v51
	s_cbranch_execz .LBB4_7013
; %bb.7006:                             ;   in Loop: Header=BB4_6741 Depth=3
	v_mov_b32_e32 v66, 0
	s_mov_b32 s23, exec_lo
	v_cmpx_ne_u32_e32 0, v50
	s_cbranch_execz .LBB4_7012
; %bb.7007:                             ;   in Loop: Header=BB4_6741 Depth=3
	v_bfe_u32 v66, v50, 23, 8
	v_and_b32_e32 v51, 0x7fffff, v50
	v_cmp_gt_u32_e64 s16, 0x71, v66
	v_sub_nc_u32_e32 v115, 0x70, v66
	v_cmp_eq_u32_e32 vcc_lo, 0, v66
	v_or_b32_e32 v40, 0x800000, v51
	v_cndmask_b32_e64 v115, 0, v115, s16
	v_cndmask_b32_e32 v51, v40, v51, vcc_lo
	v_cndmask_b32_e64 v115, v115, 0x6f, vcc_lo
	v_lshl_add_u32 v40, 0x200000, v115, -1
	v_lshlrev_b32_e64 v79, v115, 0x100000
	v_and_b32_e32 v40, v40, v51
	v_cmp_eq_u32_e64 s16, v40, v79
	v_lshrrev_b32_e32 v40, v115, v51
	v_add_nc_u32_e32 v51, 0xffffff91, v66
	v_lshrrev_b32_e32 v66, 23, v40
	v_cndmask_b32_e64 v51, v51, 0xffffff92, vcc_lo
	v_xor_b32_e32 v66, 1, v66
	v_add_nc_u32_e32 v51, v115, v51
	v_bfe_u32 v115, v40, 21, 1
	v_add_nc_u32_e32 v115, -1, v115
	v_cndmask_b32_e64 v115, 0, v115, s16
	s_mov_b32 s16, exec_lo
	v_add_nc_u32_e32 v115, v115, v40
	v_and_b32_e32 v115, 0x1fffff, v115
	v_add_nc_u32_e32 v79, v115, v40
                                        ; implicit-def: $vgpr40
	v_cmpx_ne_u32_e64 v51, v66
	s_xor_b32 s16, exec_lo, s16
; %bb.7008:                             ;   in Loop: Header=BB4_6741 Depth=3
	v_cmp_lt_u32_e32 vcc_lo, 0xffffff, v79
	v_sub_nc_u32_e32 v51, v51, v66
	v_cndmask_b32_e64 v66, 0, 1, vcc_lo
	v_add_co_ci_u32_e64 v40, null, 0, v51, vcc_lo
	v_lshrrev_b32_e32 v79, v66, v79
; %bb.7009:                             ;   in Loop: Header=BB4_6741 Depth=3
	s_andn2_saveexec_b32 s16, s16
; %bb.7010:                             ;   in Loop: Header=BB4_6741 Depth=3
	v_bfe_u32 v40, v79, 23, 1
; %bb.7011:                             ;   in Loop: Header=BB4_6741 Depth=3
	s_or_b32 exec_lo, exec_lo, s16
	v_lshrrev_b32_e32 v51, 21, v79
	v_cmp_gt_i32_e32 vcc_lo, 32, v40
	v_min_i32_e32 v66, 31, v40
	v_and_b32_sdwa v50, v50, v101 dst_sel:DWORD dst_unused:UNUSED_PAD src0_sel:BYTE_3 src1_sel:DWORD
	v_cndmask_b32_e32 v51, 3, v51, vcc_lo
	v_lshlrev_b32_e32 v66, 2, v66
	v_and_b32_e32 v115, 3, v51
	v_or_b32_e32 v51, v40, v51
	v_or3_b32 v50, v66, v50, v115
	v_cmp_ne_u32_e32 vcc_lo, 0, v51
	v_cndmask_b32_e32 v66, 0, v50, vcc_lo
.LBB4_7012:                             ;   in Loop: Header=BB4_6741 Depth=3
	s_or_b32 exec_lo, exec_lo, s23
.LBB4_7013:                             ;   in Loop: Header=BB4_6741 Depth=3
	s_or_b32 exec_lo, exec_lo, s19
	v_cmp_gt_i16_sdwa s19, v83, v100 src0_sel:BYTE_0 src1_sel:DWORD
	s_mov_b32 s16, 0
	s_and_saveexec_b32 s23, s19
	s_xor_b32 s19, exec_lo, s23
	s_cbranch_execz .LBB4_7331
; %bb.7014:                             ;   in Loop: Header=BB4_6741 Depth=3
	v_cmp_eq_u16_sdwa s72, v83, v101 src0_sel:BYTE_0 src1_sel:DWORD
	s_mov_b32 s16, -1
	s_and_saveexec_b32 s23, s72
; %bb.7015:                             ;   in Loop: Header=BB4_6741 Depth=3
	s_xor_b32 s16, exec_lo, -1
; %bb.7016:                             ;   in Loop: Header=BB4_6741 Depth=3
	s_or_b32 exec_lo, exec_lo, s23
	s_and_b32 s16, s16, exec_lo
	s_or_saveexec_b32 s19, s19
	v_mov_b32_e32 v50, 0x7f800001
	s_xor_b32 exec_lo, exec_lo, s19
	s_cbranch_execnz .LBB4_7332
.LBB4_7017:                             ;   in Loop: Header=BB4_6741 Depth=3
	s_or_b32 exec_lo, exec_lo, s19
	s_and_saveexec_b32 s19, s16
	s_cbranch_execz .LBB4_7019
.LBB4_7018:                             ;   in Loop: Header=BB4_6741 Depth=3
	v_and_b32_e32 v50, 3, v83
	v_lshrrev_b16 v115, 2, v83
	v_ffbh_u32_e32 v51, v50
	v_and_b32_e32 v115, 31, v115
	v_min_u32_e32 v51, 32, v51
	v_cmp_eq_u32_e32 vcc_lo, 0, v115
	v_subrev_nc_u32_e32 v40, 29, v51
	v_sub_nc_u32_e32 v51, 30, v51
	v_lshlrev_b32_e32 v40, v40, v83
	v_lshlrev_b32_e32 v83, 24, v83
	v_cndmask_b32_e32 v51, v115, v51, vcc_lo
	v_and_b32_e32 v40, 3, v40
	v_and_b32_e32 v83, 0x80000000, v83
	v_lshl_add_u32 v51, v51, 23, 0x37800000
	v_cndmask_b32_e32 v50, v50, v40, vcc_lo
	v_lshlrev_b32_e32 v50, 21, v50
	v_or3_b32 v50, v83, v51, v50
.LBB4_7019:                             ;   in Loop: Header=BB4_6741 Depth=3
	s_or_b32 exec_lo, exec_lo, s19
	s_waitcnt vmcnt(13) lgkmcnt(13)
	v_cmp_gt_i16_sdwa s19, v97, v100 src0_sel:BYTE_0 src1_sel:DWORD
	s_mov_b32 s16, 0
	s_and_saveexec_b32 s23, s19
	s_xor_b32 s19, exec_lo, s23
	s_cbranch_execz .LBB4_7333
; %bb.7020:                             ;   in Loop: Header=BB4_6741 Depth=3
	v_cmp_eq_u16_sdwa s72, v97, v101 src0_sel:BYTE_0 src1_sel:DWORD
	s_mov_b32 s16, -1
	s_and_saveexec_b32 s23, s72
; %bb.7021:                             ;   in Loop: Header=BB4_6741 Depth=3
	s_xor_b32 s16, exec_lo, -1
; %bb.7022:                             ;   in Loop: Header=BB4_6741 Depth=3
	s_or_b32 exec_lo, exec_lo, s23
	s_and_b32 s16, s16, exec_lo
	s_or_saveexec_b32 s19, s19
	v_mov_b32_e32 v51, 0x7f800001
	s_xor_b32 exec_lo, exec_lo, s19
	s_cbranch_execnz .LBB4_7334
.LBB4_7023:                             ;   in Loop: Header=BB4_6741 Depth=3
	s_or_b32 exec_lo, exec_lo, s19
	s_and_saveexec_b32 s19, s16
	s_cbranch_execz .LBB4_7025
.LBB4_7024:                             ;   in Loop: Header=BB4_6741 Depth=3
	v_and_b32_e32 v51, 3, v97
	v_lshrrev_b16 v115, 2, v97
	v_ffbh_u32_e32 v83, v51
	v_and_b32_e32 v115, 31, v115
	v_min_u32_e32 v83, 32, v83
	v_cmp_eq_u32_e32 vcc_lo, 0, v115
	v_subrev_nc_u32_e32 v40, 29, v83
	v_sub_nc_u32_e32 v83, 30, v83
	v_lshlrev_b32_e32 v40, v40, v97
	v_lshlrev_b32_e32 v97, 24, v97
	v_cndmask_b32_e32 v83, v115, v83, vcc_lo
	v_and_b32_e32 v40, 3, v40
	v_and_b32_e32 v97, 0x80000000, v97
	v_lshl_add_u32 v83, v83, 23, 0x37800000
	v_cndmask_b32_e32 v51, v51, v40, vcc_lo
	v_lshlrev_b32_e32 v51, 21, v51
	v_or3_b32 v51, v97, v83, v51
.LBB4_7025:                             ;   in Loop: Header=BB4_6741 Depth=3
	s_or_b32 exec_lo, exec_lo, s19
	v_add_f32_e32 v50, v50, v51
	v_mov_b32_e32 v83, 0x80
	s_mov_b32 s19, exec_lo
	v_and_b32_e32 v51, 0x7f800000, v50
	v_cmpx_ne_u32_e32 0x7f800000, v51
	s_cbranch_execz .LBB4_7033
; %bb.7026:                             ;   in Loop: Header=BB4_6741 Depth=3
	v_mov_b32_e32 v83, 0
	s_mov_b32 s23, exec_lo
	v_cmpx_ne_u32_e32 0, v50
	s_cbranch_execz .LBB4_7032
; %bb.7027:                             ;   in Loop: Header=BB4_6741 Depth=3
	v_bfe_u32 v51, v50, 23, 8
	v_and_b32_e32 v83, 0x7fffff, v50
	v_sub_nc_u32_e32 v97, 0x70, v51
	v_cmp_gt_u32_e32 vcc_lo, 0x71, v51
	v_or_b32_e32 v115, 0x800000, v83
	v_cndmask_b32_e32 v97, 0, v97, vcc_lo
	v_cmp_eq_u32_e32 vcc_lo, 0, v51
	v_add_nc_u32_e32 v51, 0xffffff91, v51
	v_cndmask_b32_e64 v97, v97, 0x6f, vcc_lo
	v_cndmask_b32_e32 v83, v115, v83, vcc_lo
	v_cndmask_b32_e64 v51, v51, 0xffffff92, vcc_lo
	v_lshl_add_u32 v40, 0x200000, v97, -1
	v_lshrrev_b32_e32 v115, v97, v83
	v_lshlrev_b32_e64 v88, v97, 0x100000
	v_add_nc_u32_e32 v97, v97, v51
	v_and_b32_e32 v83, v40, v83
	v_bfe_u32 v79, v115, 21, 1
	v_cmp_eq_u32_e64 s16, v83, v88
	v_add_nc_u32_e32 v40, -1, v79
	v_cndmask_b32_e64 v83, 0, v40, s16
	v_lshrrev_b32_e32 v40, 23, v115
	s_mov_b32 s16, exec_lo
	v_add_nc_u32_e32 v83, v83, v115
	v_xor_b32_e32 v40, 1, v40
	v_and_b32_e32 v51, 0x1fffff, v83
	v_add_nc_u32_e32 v83, v51, v115
                                        ; implicit-def: $vgpr51
	v_cmpx_ne_u32_e64 v97, v40
	s_xor_b32 s16, exec_lo, s16
; %bb.7028:                             ;   in Loop: Header=BB4_6741 Depth=3
	v_cmp_lt_u32_e32 vcc_lo, 0xffffff, v83
	v_sub_nc_u32_e32 v51, v97, v40
	v_cndmask_b32_e64 v97, 0, 1, vcc_lo
	v_add_co_ci_u32_e64 v51, null, 0, v51, vcc_lo
	v_lshrrev_b32_e32 v83, v97, v83
; %bb.7029:                             ;   in Loop: Header=BB4_6741 Depth=3
	s_andn2_saveexec_b32 s16, s16
; %bb.7030:                             ;   in Loop: Header=BB4_6741 Depth=3
	v_bfe_u32 v51, v83, 23, 1
; %bb.7031:                             ;   in Loop: Header=BB4_6741 Depth=3
	s_or_b32 exec_lo, exec_lo, s16
	v_lshrrev_b32_e32 v83, 21, v83
	v_cmp_gt_i32_e32 vcc_lo, 32, v51
	v_min_i32_e32 v97, 31, v51
	v_and_b32_sdwa v50, v50, v101 dst_sel:DWORD dst_unused:UNUSED_PAD src0_sel:BYTE_3 src1_sel:DWORD
	v_cndmask_b32_e32 v83, 3, v83, vcc_lo
	v_lshlrev_b32_e32 v97, 2, v97
	v_and_b32_e32 v115, 3, v83
	v_or_b32_e32 v51, v51, v83
	v_or3_b32 v50, v97, v50, v115
	v_cmp_ne_u32_e32 vcc_lo, 0, v51
	v_cndmask_b32_e32 v83, 0, v50, vcc_lo
.LBB4_7032:                             ;   in Loop: Header=BB4_6741 Depth=3
	s_or_b32 exec_lo, exec_lo, s23
.LBB4_7033:                             ;   in Loop: Header=BB4_6741 Depth=3
	s_or_b32 exec_lo, exec_lo, s19
	v_cmp_gt_i16_sdwa s19, v74, v100 src0_sel:BYTE_0 src1_sel:DWORD
	s_mov_b32 s16, 0
	s_and_saveexec_b32 s23, s19
	s_xor_b32 s19, exec_lo, s23
	s_cbranch_execz .LBB4_7335
; %bb.7034:                             ;   in Loop: Header=BB4_6741 Depth=3
	v_cmp_eq_u16_sdwa s72, v74, v101 src0_sel:BYTE_0 src1_sel:DWORD
	s_mov_b32 s16, -1
	s_and_saveexec_b32 s23, s72
; %bb.7035:                             ;   in Loop: Header=BB4_6741 Depth=3
	s_xor_b32 s16, exec_lo, -1
; %bb.7036:                             ;   in Loop: Header=BB4_6741 Depth=3
	s_or_b32 exec_lo, exec_lo, s23
	s_and_b32 s16, s16, exec_lo
	s_or_saveexec_b32 s19, s19
	v_mov_b32_e32 v50, 0x7f800001
	s_xor_b32 exec_lo, exec_lo, s19
	s_cbranch_execnz .LBB4_7336
.LBB4_7037:                             ;   in Loop: Header=BB4_6741 Depth=3
	s_or_b32 exec_lo, exec_lo, s19
	s_and_saveexec_b32 s19, s16
	s_cbranch_execz .LBB4_7039
.LBB4_7038:                             ;   in Loop: Header=BB4_6741 Depth=3
	v_and_b32_e32 v50, 3, v74
	v_lshrrev_b16 v97, 2, v74
	v_lshlrev_b32_e32 v40, 24, v74
	v_ffbh_u32_e32 v51, v50
	v_and_b32_e32 v97, 31, v97
	v_min_u32_e32 v51, 32, v51
	v_cmp_eq_u32_e32 vcc_lo, 0, v97
	v_subrev_nc_u32_e32 v115, 29, v51
	v_sub_nc_u32_e32 v51, 30, v51
	v_lshlrev_b32_e32 v115, v115, v74
	v_cndmask_b32_e32 v51, v97, v51, vcc_lo
	v_and_b32_e32 v97, 0x80000000, v40
	v_and_b32_e32 v115, 3, v115
	v_lshl_add_u32 v51, v51, 23, 0x37800000
	v_cndmask_b32_e32 v50, v50, v115, vcc_lo
	v_lshlrev_b32_e32 v50, 21, v50
	v_or3_b32 v50, v97, v51, v50
.LBB4_7039:                             ;   in Loop: Header=BB4_6741 Depth=3
	s_or_b32 exec_lo, exec_lo, s19
	s_waitcnt vmcnt(12) lgkmcnt(12)
	v_cmp_gt_i16_sdwa s19, v34, v100 src0_sel:BYTE_0 src1_sel:DWORD
	s_mov_b32 s16, 0
	s_and_saveexec_b32 s23, s19
	s_xor_b32 s19, exec_lo, s23
	s_cbranch_execz .LBB4_7337
; %bb.7040:                             ;   in Loop: Header=BB4_6741 Depth=3
	v_cmp_eq_u16_sdwa s72, v34, v101 src0_sel:BYTE_0 src1_sel:DWORD
	s_mov_b32 s16, -1
	s_and_saveexec_b32 s23, s72
; %bb.7041:                             ;   in Loop: Header=BB4_6741 Depth=3
	s_xor_b32 s16, exec_lo, -1
; %bb.7042:                             ;   in Loop: Header=BB4_6741 Depth=3
	s_or_b32 exec_lo, exec_lo, s23
	s_and_b32 s16, s16, exec_lo
	s_or_saveexec_b32 s19, s19
	v_mov_b32_e32 v51, 0x7f800001
	s_xor_b32 exec_lo, exec_lo, s19
	s_cbranch_execnz .LBB4_7338
.LBB4_7043:                             ;   in Loop: Header=BB4_6741 Depth=3
	s_or_b32 exec_lo, exec_lo, s19
	s_and_saveexec_b32 s19, s16
	s_cbranch_execz .LBB4_7045
.LBB4_7044:                             ;   in Loop: Header=BB4_6741 Depth=3
	v_and_b32_e32 v51, 3, v34
	v_lshrrev_b16 v115, 2, v34
	v_ffbh_u32_e32 v97, v51
	v_and_b32_e32 v115, 31, v115
	v_min_u32_e32 v97, 32, v97
	v_cmp_eq_u32_e32 vcc_lo, 0, v115
	v_subrev_nc_u32_e32 v40, 29, v97
	v_sub_nc_u32_e32 v97, 30, v97
	v_lshlrev_b32_e32 v40, v40, v34
	v_lshlrev_b32_e32 v34, 24, v34
	v_cndmask_b32_e32 v97, v115, v97, vcc_lo
	v_and_b32_e32 v40, 3, v40
	v_and_b32_e32 v34, 0x80000000, v34
	v_lshl_add_u32 v97, v97, 23, 0x37800000
	v_cndmask_b32_e32 v51, v51, v40, vcc_lo
	v_lshlrev_b32_e32 v51, 21, v51
	v_or3_b32 v51, v34, v97, v51
.LBB4_7045:                             ;   in Loop: Header=BB4_6741 Depth=3
	s_or_b32 exec_lo, exec_lo, s19
	v_add_f32_e32 v34, v50, v51
	v_mov_b32_e32 v74, 0x80
	s_mov_b32 s19, exec_lo
	v_and_b32_e32 v50, 0x7f800000, v34
	v_cmpx_ne_u32_e32 0x7f800000, v50
	s_cbranch_execz .LBB4_7053
; %bb.7046:                             ;   in Loop: Header=BB4_6741 Depth=3
	v_mov_b32_e32 v74, 0
	s_mov_b32 s23, exec_lo
	v_cmpx_ne_u32_e32 0, v34
	s_cbranch_execz .LBB4_7052
; %bb.7047:                             ;   in Loop: Header=BB4_6741 Depth=3
	v_bfe_u32 v50, v34, 23, 8
	v_and_b32_e32 v51, 0x7fffff, v34
	v_sub_nc_u32_e32 v97, 0x70, v50
	v_cmp_gt_u32_e32 vcc_lo, 0x71, v50
	v_or_b32_e32 v115, 0x800000, v51
	v_cndmask_b32_e32 v97, 0, v97, vcc_lo
	v_cmp_eq_u32_e32 vcc_lo, 0, v50
	v_add_nc_u32_e32 v50, 0xffffff91, v50
	v_cndmask_b32_e64 v97, v97, 0x6f, vcc_lo
	v_cndmask_b32_e32 v51, v115, v51, vcc_lo
	v_cndmask_b32_e64 v50, v50, 0xffffff92, vcc_lo
	v_lshl_add_u32 v40, 0x200000, v97, -1
	v_lshrrev_b32_e32 v115, v97, v51
	v_lshlrev_b32_e64 v79, v97, 0x100000
	v_add_nc_u32_e32 v97, v97, v50
	v_and_b32_e32 v51, v40, v51
	v_bfe_u32 v74, v115, 21, 1
	v_cmp_eq_u32_e64 s16, v51, v79
	v_add_nc_u32_e32 v40, -1, v74
	v_cndmask_b32_e64 v51, 0, v40, s16
	v_lshrrev_b32_e32 v40, 23, v115
	s_mov_b32 s16, exec_lo
	v_add_nc_u32_e32 v51, v51, v115
	v_xor_b32_e32 v40, 1, v40
	v_and_b32_e32 v50, 0x1fffff, v51
	v_add_nc_u32_e32 v51, v50, v115
                                        ; implicit-def: $vgpr50
	v_cmpx_ne_u32_e64 v97, v40
	s_xor_b32 s16, exec_lo, s16
; %bb.7048:                             ;   in Loop: Header=BB4_6741 Depth=3
	v_cmp_lt_u32_e32 vcc_lo, 0xffffff, v51
	v_sub_nc_u32_e32 v50, v97, v40
	v_cndmask_b32_e64 v97, 0, 1, vcc_lo
	v_add_co_ci_u32_e64 v50, null, 0, v50, vcc_lo
	v_lshrrev_b32_e32 v51, v97, v51
; %bb.7049:                             ;   in Loop: Header=BB4_6741 Depth=3
	s_andn2_saveexec_b32 s16, s16
; %bb.7050:                             ;   in Loop: Header=BB4_6741 Depth=3
	v_bfe_u32 v50, v51, 23, 1
; %bb.7051:                             ;   in Loop: Header=BB4_6741 Depth=3
	s_or_b32 exec_lo, exec_lo, s16
	v_lshrrev_b32_e32 v51, 21, v51
	v_cmp_gt_i32_e32 vcc_lo, 32, v50
	v_min_i32_e32 v97, 31, v50
	v_and_b32_sdwa v34, v34, v101 dst_sel:DWORD dst_unused:UNUSED_PAD src0_sel:BYTE_3 src1_sel:DWORD
	v_cndmask_b32_e32 v51, 3, v51, vcc_lo
	v_lshlrev_b32_e32 v97, 2, v97
	v_and_b32_e32 v115, 3, v51
	v_or_b32_e32 v50, v50, v51
	v_or3_b32 v34, v97, v34, v115
	v_cmp_ne_u32_e32 vcc_lo, 0, v50
	v_cndmask_b32_e32 v74, 0, v34, vcc_lo
.LBB4_7052:                             ;   in Loop: Header=BB4_6741 Depth=3
	s_or_b32 exec_lo, exec_lo, s23
.LBB4_7053:                             ;   in Loop: Header=BB4_6741 Depth=3
	s_or_b32 exec_lo, exec_lo, s19
	v_cmp_gt_i16_sdwa s19, v73, v100 src0_sel:BYTE_0 src1_sel:DWORD
	s_mov_b32 s16, 0
	s_and_saveexec_b32 s23, s19
	s_xor_b32 s19, exec_lo, s23
	s_cbranch_execz .LBB4_7339
; %bb.7054:                             ;   in Loop: Header=BB4_6741 Depth=3
	v_cmp_eq_u16_sdwa s72, v73, v101 src0_sel:BYTE_0 src1_sel:DWORD
	s_mov_b32 s16, -1
	s_and_saveexec_b32 s23, s72
; %bb.7055:                             ;   in Loop: Header=BB4_6741 Depth=3
	s_xor_b32 s16, exec_lo, -1
; %bb.7056:                             ;   in Loop: Header=BB4_6741 Depth=3
	s_or_b32 exec_lo, exec_lo, s23
	s_and_b32 s16, s16, exec_lo
	s_or_saveexec_b32 s19, s19
	v_mov_b32_e32 v34, 0x7f800001
	s_xor_b32 exec_lo, exec_lo, s19
	s_cbranch_execnz .LBB4_7340
.LBB4_7057:                             ;   in Loop: Header=BB4_6741 Depth=3
	s_or_b32 exec_lo, exec_lo, s19
	s_and_saveexec_b32 s19, s16
	s_cbranch_execz .LBB4_7059
.LBB4_7058:                             ;   in Loop: Header=BB4_6741 Depth=3
	v_and_b32_e32 v34, 3, v73
	v_lshrrev_b16 v51, 2, v73
	v_lshlrev_b32_e32 v115, 24, v73
	v_ffbh_u32_e32 v50, v34
	v_and_b32_e32 v51, 31, v51
	v_min_u32_e32 v50, 32, v50
	v_cmp_eq_u32_e32 vcc_lo, 0, v51
	v_subrev_nc_u32_e32 v97, 29, v50
	v_sub_nc_u32_e32 v50, 30, v50
	v_lshlrev_b32_e32 v97, v97, v73
	v_cndmask_b32_e32 v50, v51, v50, vcc_lo
	v_and_b32_e32 v51, 0x80000000, v115
	v_and_b32_e32 v97, 3, v97
	v_lshl_add_u32 v50, v50, 23, 0x37800000
	v_cndmask_b32_e32 v34, v34, v97, vcc_lo
	v_lshlrev_b32_e32 v34, 21, v34
	v_or3_b32 v34, v51, v50, v34
.LBB4_7059:                             ;   in Loop: Header=BB4_6741 Depth=3
	s_or_b32 exec_lo, exec_lo, s19
	s_waitcnt vmcnt(11) lgkmcnt(11)
	v_cmp_gt_i16_sdwa s19, v1, v100 src0_sel:BYTE_0 src1_sel:DWORD
	s_mov_b32 s16, 0
	s_and_saveexec_b32 s23, s19
	s_xor_b32 s19, exec_lo, s23
	s_cbranch_execz .LBB4_7341
; %bb.7060:                             ;   in Loop: Header=BB4_6741 Depth=3
	v_cmp_eq_u16_sdwa s72, v1, v101 src0_sel:BYTE_0 src1_sel:DWORD
	s_mov_b32 s16, -1
	s_and_saveexec_b32 s23, s72
; %bb.7061:                             ;   in Loop: Header=BB4_6741 Depth=3
	s_xor_b32 s16, exec_lo, -1
; %bb.7062:                             ;   in Loop: Header=BB4_6741 Depth=3
	s_or_b32 exec_lo, exec_lo, s23
	s_and_b32 s16, s16, exec_lo
	s_or_saveexec_b32 s19, s19
	v_mov_b32_e32 v50, 0x7f800001
	s_xor_b32 exec_lo, exec_lo, s19
	s_cbranch_execnz .LBB4_7342
.LBB4_7063:                             ;   in Loop: Header=BB4_6741 Depth=3
	s_or_b32 exec_lo, exec_lo, s19
	s_and_saveexec_b32 s19, s16
	s_cbranch_execz .LBB4_7065
.LBB4_7064:                             ;   in Loop: Header=BB4_6741 Depth=3
	v_and_b32_e32 v50, 3, v1
	v_lshrrev_b16 v97, 2, v1
	v_ffbh_u32_e32 v51, v50
	v_and_b32_e32 v97, 31, v97
	v_min_u32_e32 v51, 32, v51
	v_cmp_eq_u32_e32 vcc_lo, 0, v97
	v_subrev_nc_u32_e32 v115, 29, v51
	v_sub_nc_u32_e32 v51, 30, v51
	v_lshlrev_b32_e32 v115, v115, v1
	v_lshlrev_b32_e32 v1, 24, v1
	v_cndmask_b32_e32 v51, v97, v51, vcc_lo
	v_and_b32_e32 v115, 3, v115
	v_and_b32_e32 v1, 0x80000000, v1
	v_lshl_add_u32 v51, v51, 23, 0x37800000
	v_cndmask_b32_e32 v50, v50, v115, vcc_lo
	v_lshlrev_b32_e32 v50, 21, v50
	v_or3_b32 v50, v1, v51, v50
.LBB4_7065:                             ;   in Loop: Header=BB4_6741 Depth=3
	s_or_b32 exec_lo, exec_lo, s19
	v_add_f32_e32 v1, v34, v50
	v_mov_b32_e32 v73, 0x80
	s_mov_b32 s19, exec_lo
	v_and_b32_e32 v34, 0x7f800000, v1
	v_cmpx_ne_u32_e32 0x7f800000, v34
	s_cbranch_execz .LBB4_7073
; %bb.7066:                             ;   in Loop: Header=BB4_6741 Depth=3
	v_mov_b32_e32 v73, 0
	s_mov_b32 s23, exec_lo
	v_cmpx_ne_u32_e32 0, v1
	s_cbranch_execz .LBB4_7072
; %bb.7067:                             ;   in Loop: Header=BB4_6741 Depth=3
	v_bfe_u32 v34, v1, 23, 8
	v_and_b32_e32 v50, 0x7fffff, v1
	v_sub_nc_u32_e32 v51, 0x70, v34
	v_cmp_gt_u32_e32 vcc_lo, 0x71, v34
	v_or_b32_e32 v97, 0x800000, v50
	v_cndmask_b32_e32 v51, 0, v51, vcc_lo
	v_cmp_eq_u32_e32 vcc_lo, 0, v34
	v_add_nc_u32_e32 v34, 0xffffff91, v34
	v_cndmask_b32_e64 v51, v51, 0x6f, vcc_lo
	v_cndmask_b32_e32 v50, v97, v50, vcc_lo
	v_cndmask_b32_e64 v34, v34, 0xffffff92, vcc_lo
	v_lshl_add_u32 v97, 0x200000, v51, -1
	v_lshrrev_b32_e32 v115, v51, v50
	v_lshlrev_b32_e64 v73, v51, 0x100000
	v_add_nc_u32_e32 v51, v51, v34
	v_and_b32_e32 v50, v97, v50
	v_bfe_u32 v40, v115, 21, 1
	v_cmp_eq_u32_e64 s16, v50, v73
	v_add_nc_u32_e32 v97, -1, v40
	v_cndmask_b32_e64 v50, 0, v97, s16
	v_lshrrev_b32_e32 v97, 23, v115
	s_mov_b32 s16, exec_lo
	v_add_nc_u32_e32 v50, v50, v115
	v_xor_b32_e32 v97, 1, v97
	v_and_b32_e32 v34, 0x1fffff, v50
	v_add_nc_u32_e32 v50, v34, v115
                                        ; implicit-def: $vgpr34
	v_cmpx_ne_u32_e64 v51, v97
	s_xor_b32 s16, exec_lo, s16
; %bb.7068:                             ;   in Loop: Header=BB4_6741 Depth=3
	v_cmp_lt_u32_e32 vcc_lo, 0xffffff, v50
	v_sub_nc_u32_e32 v34, v51, v97
	v_cndmask_b32_e64 v51, 0, 1, vcc_lo
	v_add_co_ci_u32_e64 v34, null, 0, v34, vcc_lo
	v_lshrrev_b32_e32 v50, v51, v50
; %bb.7069:                             ;   in Loop: Header=BB4_6741 Depth=3
	s_andn2_saveexec_b32 s16, s16
; %bb.7070:                             ;   in Loop: Header=BB4_6741 Depth=3
	v_bfe_u32 v34, v50, 23, 1
; %bb.7071:                             ;   in Loop: Header=BB4_6741 Depth=3
	s_or_b32 exec_lo, exec_lo, s16
	v_lshrrev_b32_e32 v50, 21, v50
	v_cmp_gt_i32_e32 vcc_lo, 32, v34
	v_min_i32_e32 v51, 31, v34
	v_and_b32_sdwa v1, v1, v101 dst_sel:DWORD dst_unused:UNUSED_PAD src0_sel:BYTE_3 src1_sel:DWORD
	v_cndmask_b32_e32 v50, 3, v50, vcc_lo
	v_lshlrev_b32_e32 v51, 2, v51
	v_and_b32_e32 v97, 3, v50
	v_or_b32_e32 v34, v34, v50
	v_or3_b32 v1, v51, v1, v97
	v_cmp_ne_u32_e32 vcc_lo, 0, v34
	v_cndmask_b32_e32 v73, 0, v1, vcc_lo
.LBB4_7072:                             ;   in Loop: Header=BB4_6741 Depth=3
	s_or_b32 exec_lo, exec_lo, s23
.LBB4_7073:                             ;   in Loop: Header=BB4_6741 Depth=3
	s_or_b32 exec_lo, exec_lo, s19
	v_cmp_gt_i16_sdwa s19, v72, v100 src0_sel:BYTE_0 src1_sel:DWORD
	s_mov_b32 s16, 0
	s_and_saveexec_b32 s23, s19
	s_xor_b32 s19, exec_lo, s23
	s_cbranch_execz .LBB4_7343
; %bb.7074:                             ;   in Loop: Header=BB4_6741 Depth=3
	v_cmp_eq_u16_sdwa s72, v72, v101 src0_sel:BYTE_0 src1_sel:DWORD
	s_mov_b32 s16, -1
	s_and_saveexec_b32 s23, s72
; %bb.7075:                             ;   in Loop: Header=BB4_6741 Depth=3
	s_xor_b32 s16, exec_lo, -1
; %bb.7076:                             ;   in Loop: Header=BB4_6741 Depth=3
	s_or_b32 exec_lo, exec_lo, s23
	s_and_b32 s16, s16, exec_lo
	s_or_saveexec_b32 s19, s19
	v_mov_b32_e32 v1, 0x7f800001
	s_xor_b32 exec_lo, exec_lo, s19
	s_cbranch_execnz .LBB4_7344
.LBB4_7077:                             ;   in Loop: Header=BB4_6741 Depth=3
	s_or_b32 exec_lo, exec_lo, s19
	s_and_saveexec_b32 s19, s16
	s_cbranch_execz .LBB4_7079
.LBB4_7078:                             ;   in Loop: Header=BB4_6741 Depth=3
	v_and_b32_e32 v1, 3, v72
	v_lshrrev_b16 v50, 2, v72
	v_lshlrev_b32_e32 v97, 24, v72
	v_ffbh_u32_e32 v34, v1
	v_and_b32_e32 v50, 31, v50
	v_min_u32_e32 v34, 32, v34
	v_cmp_eq_u32_e32 vcc_lo, 0, v50
	v_subrev_nc_u32_e32 v51, 29, v34
	v_sub_nc_u32_e32 v34, 30, v34
	v_lshlrev_b32_e32 v51, v51, v72
	v_cndmask_b32_e32 v34, v50, v34, vcc_lo
	v_and_b32_e32 v50, 0x80000000, v97
	v_and_b32_e32 v51, 3, v51
	v_lshl_add_u32 v34, v34, 23, 0x37800000
	v_cndmask_b32_e32 v1, v1, v51, vcc_lo
	v_lshlrev_b32_e32 v1, 21, v1
	v_or3_b32 v1, v50, v34, v1
.LBB4_7079:                             ;   in Loop: Header=BB4_6741 Depth=3
	s_or_b32 exec_lo, exec_lo, s19
	s_waitcnt vmcnt(10) lgkmcnt(10)
	v_cmp_gt_i16_sdwa s19, v31, v100 src0_sel:BYTE_0 src1_sel:DWORD
	s_mov_b32 s16, 0
	s_and_saveexec_b32 s23, s19
	s_xor_b32 s19, exec_lo, s23
	s_cbranch_execz .LBB4_7345
; %bb.7080:                             ;   in Loop: Header=BB4_6741 Depth=3
	v_cmp_eq_u16_sdwa s72, v31, v101 src0_sel:BYTE_0 src1_sel:DWORD
	s_mov_b32 s16, -1
	s_and_saveexec_b32 s23, s72
; %bb.7081:                             ;   in Loop: Header=BB4_6741 Depth=3
	s_xor_b32 s16, exec_lo, -1
; %bb.7082:                             ;   in Loop: Header=BB4_6741 Depth=3
	s_or_b32 exec_lo, exec_lo, s23
	s_and_b32 s16, s16, exec_lo
	s_or_saveexec_b32 s19, s19
	v_mov_b32_e32 v34, 0x7f800001
	s_xor_b32 exec_lo, exec_lo, s19
	s_cbranch_execnz .LBB4_7346
.LBB4_7083:                             ;   in Loop: Header=BB4_6741 Depth=3
	s_or_b32 exec_lo, exec_lo, s19
	s_and_saveexec_b32 s19, s16
	s_cbranch_execz .LBB4_7085
.LBB4_7084:                             ;   in Loop: Header=BB4_6741 Depth=3
	v_and_b32_e32 v34, 3, v31
	v_lshrrev_b16 v51, 2, v31
	v_ffbh_u32_e32 v50, v34
	v_and_b32_e32 v51, 31, v51
	v_min_u32_e32 v50, 32, v50
	v_cmp_eq_u32_e32 vcc_lo, 0, v51
	v_subrev_nc_u32_e32 v97, 29, v50
	v_sub_nc_u32_e32 v50, 30, v50
	v_lshlrev_b32_e32 v97, v97, v31
	v_lshlrev_b32_e32 v31, 24, v31
	v_cndmask_b32_e32 v50, v51, v50, vcc_lo
	v_and_b32_e32 v97, 3, v97
	v_and_b32_e32 v31, 0x80000000, v31
	v_lshl_add_u32 v50, v50, 23, 0x37800000
	v_cndmask_b32_e32 v34, v34, v97, vcc_lo
	v_lshlrev_b32_e32 v34, 21, v34
	v_or3_b32 v34, v31, v50, v34
.LBB4_7085:                             ;   in Loop: Header=BB4_6741 Depth=3
	s_or_b32 exec_lo, exec_lo, s19
	v_add_f32_e32 v1, v1, v34
	v_mov_b32_e32 v34, 0x80
	s_mov_b32 s19, exec_lo
	v_and_b32_e32 v31, 0x7f800000, v1
	v_cmpx_ne_u32_e32 0x7f800000, v31
	s_cbranch_execz .LBB4_7093
; %bb.7086:                             ;   in Loop: Header=BB4_6741 Depth=3
	v_mov_b32_e32 v34, 0
	s_mov_b32 s23, exec_lo
	v_cmpx_ne_u32_e32 0, v1
	s_cbranch_execz .LBB4_7092
; %bb.7087:                             ;   in Loop: Header=BB4_6741 Depth=3
	v_bfe_u32 v31, v1, 23, 8
	v_and_b32_e32 v34, 0x7fffff, v1
	v_sub_nc_u32_e32 v50, 0x70, v31
	v_cmp_gt_u32_e32 vcc_lo, 0x71, v31
	v_or_b32_e32 v51, 0x800000, v34
	v_cndmask_b32_e32 v50, 0, v50, vcc_lo
	v_cmp_eq_u32_e32 vcc_lo, 0, v31
	v_add_nc_u32_e32 v31, 0xffffff91, v31
	v_cndmask_b32_e64 v50, v50, 0x6f, vcc_lo
	v_cndmask_b32_e32 v34, v51, v34, vcc_lo
	v_cndmask_b32_e64 v31, v31, 0xffffff92, vcc_lo
	v_lshl_add_u32 v51, 0x200000, v50, -1
	v_lshrrev_b32_e32 v97, v50, v34
	v_lshlrev_b32_e64 v40, v50, 0x100000
	v_add_nc_u32_e32 v50, v50, v31
	v_and_b32_e32 v34, v51, v34
	v_bfe_u32 v115, v97, 21, 1
	v_cmp_eq_u32_e64 s16, v34, v40
	v_add_nc_u32_e32 v51, -1, v115
	v_cndmask_b32_e64 v34, 0, v51, s16
	v_lshrrev_b32_e32 v51, 23, v97
	s_mov_b32 s16, exec_lo
	v_add_nc_u32_e32 v34, v34, v97
	v_xor_b32_e32 v51, 1, v51
	v_and_b32_e32 v31, 0x1fffff, v34
	v_add_nc_u32_e32 v34, v31, v97
                                        ; implicit-def: $vgpr31
	v_cmpx_ne_u32_e64 v50, v51
	s_xor_b32 s16, exec_lo, s16
; %bb.7088:                             ;   in Loop: Header=BB4_6741 Depth=3
	v_cmp_lt_u32_e32 vcc_lo, 0xffffff, v34
	v_sub_nc_u32_e32 v31, v50, v51
	v_cndmask_b32_e64 v50, 0, 1, vcc_lo
	v_add_co_ci_u32_e64 v31, null, 0, v31, vcc_lo
	v_lshrrev_b32_e32 v34, v50, v34
; %bb.7089:                             ;   in Loop: Header=BB4_6741 Depth=3
	s_andn2_saveexec_b32 s16, s16
; %bb.7090:                             ;   in Loop: Header=BB4_6741 Depth=3
	v_bfe_u32 v31, v34, 23, 1
; %bb.7091:                             ;   in Loop: Header=BB4_6741 Depth=3
	s_or_b32 exec_lo, exec_lo, s16
	v_lshrrev_b32_e32 v34, 21, v34
	v_cmp_gt_i32_e32 vcc_lo, 32, v31
	v_min_i32_e32 v50, 31, v31
	v_and_b32_sdwa v1, v1, v101 dst_sel:DWORD dst_unused:UNUSED_PAD src0_sel:BYTE_3 src1_sel:DWORD
	v_cndmask_b32_e32 v34, 3, v34, vcc_lo
	v_lshlrev_b32_e32 v50, 2, v50
	v_and_b32_e32 v51, 3, v34
	v_or_b32_e32 v31, v31, v34
	v_or3_b32 v1, v50, v1, v51
	v_cmp_ne_u32_e32 vcc_lo, 0, v31
	v_cndmask_b32_e32 v34, 0, v1, vcc_lo
.LBB4_7092:                             ;   in Loop: Header=BB4_6741 Depth=3
	s_or_b32 exec_lo, exec_lo, s23
.LBB4_7093:                             ;   in Loop: Header=BB4_6741 Depth=3
	s_or_b32 exec_lo, exec_lo, s19
	v_cmp_gt_i16_sdwa s19, v62, v100 src0_sel:BYTE_0 src1_sel:DWORD
	s_mov_b32 s16, 0
	s_and_saveexec_b32 s23, s19
	s_xor_b32 s19, exec_lo, s23
	s_cbranch_execz .LBB4_7347
; %bb.7094:                             ;   in Loop: Header=BB4_6741 Depth=3
	v_cmp_eq_u16_sdwa s72, v62, v101 src0_sel:BYTE_0 src1_sel:DWORD
	s_mov_b32 s16, -1
	s_and_saveexec_b32 s23, s72
; %bb.7095:                             ;   in Loop: Header=BB4_6741 Depth=3
	s_xor_b32 s16, exec_lo, -1
; %bb.7096:                             ;   in Loop: Header=BB4_6741 Depth=3
	s_or_b32 exec_lo, exec_lo, s23
	s_and_b32 s16, s16, exec_lo
	s_or_saveexec_b32 s19, s19
	v_mov_b32_e32 v1, 0x7f800001
	s_xor_b32 exec_lo, exec_lo, s19
	s_cbranch_execnz .LBB4_7348
.LBB4_7097:                             ;   in Loop: Header=BB4_6741 Depth=3
	s_or_b32 exec_lo, exec_lo, s19
	s_and_saveexec_b32 s19, s16
	s_cbranch_execz .LBB4_7099
.LBB4_7098:                             ;   in Loop: Header=BB4_6741 Depth=3
	v_and_b32_e32 v1, 3, v62
	v_lshrrev_b16 v50, 2, v62
	v_lshlrev_b32_e32 v97, 24, v62
	v_ffbh_u32_e32 v31, v1
	v_and_b32_e32 v50, 31, v50
	v_min_u32_e32 v31, 32, v31
	v_cmp_eq_u32_e32 vcc_lo, 0, v50
	v_subrev_nc_u32_e32 v51, 29, v31
	v_sub_nc_u32_e32 v31, 30, v31
	v_lshlrev_b32_e32 v51, v51, v62
	v_cndmask_b32_e32 v31, v50, v31, vcc_lo
	v_and_b32_e32 v50, 0x80000000, v97
	v_and_b32_e32 v51, 3, v51
	v_lshl_add_u32 v31, v31, 23, 0x37800000
	v_cndmask_b32_e32 v1, v1, v51, vcc_lo
	v_lshlrev_b32_e32 v1, 21, v1
	v_or3_b32 v1, v50, v31, v1
.LBB4_7099:                             ;   in Loop: Header=BB4_6741 Depth=3
	s_or_b32 exec_lo, exec_lo, s19
	s_waitcnt vmcnt(9) lgkmcnt(9)
	v_cmp_gt_i16_sdwa s19, v96, v100 src0_sel:BYTE_0 src1_sel:DWORD
	s_mov_b32 s16, 0
	s_and_saveexec_b32 s23, s19
	s_xor_b32 s19, exec_lo, s23
	s_cbranch_execz .LBB4_7349
; %bb.7100:                             ;   in Loop: Header=BB4_6741 Depth=3
	v_cmp_eq_u16_sdwa s72, v96, v101 src0_sel:BYTE_0 src1_sel:DWORD
	s_mov_b32 s16, -1
	s_and_saveexec_b32 s23, s72
; %bb.7101:                             ;   in Loop: Header=BB4_6741 Depth=3
	s_xor_b32 s16, exec_lo, -1
; %bb.7102:                             ;   in Loop: Header=BB4_6741 Depth=3
	s_or_b32 exec_lo, exec_lo, s23
	s_and_b32 s16, s16, exec_lo
	s_or_saveexec_b32 s19, s19
	v_mov_b32_e32 v31, 0x7f800001
	s_xor_b32 exec_lo, exec_lo, s19
	s_cbranch_execnz .LBB4_7350
.LBB4_7103:                             ;   in Loop: Header=BB4_6741 Depth=3
	s_or_b32 exec_lo, exec_lo, s19
	s_and_saveexec_b32 s19, s16
	s_cbranch_execz .LBB4_7105
.LBB4_7104:                             ;   in Loop: Header=BB4_6741 Depth=3
	v_and_b32_e32 v31, 3, v96
	v_lshrrev_b16 v51, 2, v96
	v_ffbh_u32_e32 v50, v31
	v_and_b32_e32 v51, 31, v51
	v_min_u32_e32 v50, 32, v50
	v_cmp_eq_u32_e32 vcc_lo, 0, v51
	v_subrev_nc_u32_e32 v97, 29, v50
	v_sub_nc_u32_e32 v50, 30, v50
	v_lshlrev_b32_e32 v97, v97, v96
	v_lshlrev_b32_e32 v96, 24, v96
	v_cndmask_b32_e32 v50, v51, v50, vcc_lo
	v_and_b32_e32 v97, 3, v97
	v_and_b32_e32 v51, 0x80000000, v96
	v_lshl_add_u32 v50, v50, 23, 0x37800000
	v_cndmask_b32_e32 v31, v31, v97, vcc_lo
	v_lshlrev_b32_e32 v31, 21, v31
	v_or3_b32 v31, v51, v50, v31
.LBB4_7105:                             ;   in Loop: Header=BB4_6741 Depth=3
	s_or_b32 exec_lo, exec_lo, s19
	v_add_f32_e32 v1, v1, v31
	v_mov_b32_e32 v62, 0x80
	s_mov_b32 s19, exec_lo
	v_and_b32_e32 v31, 0x7f800000, v1
	v_cmpx_ne_u32_e32 0x7f800000, v31
	s_cbranch_execz .LBB4_7113
; %bb.7106:                             ;   in Loop: Header=BB4_6741 Depth=3
	v_mov_b32_e32 v62, 0
	s_mov_b32 s23, exec_lo
	v_cmpx_ne_u32_e32 0, v1
	s_cbranch_execz .LBB4_7112
; %bb.7107:                             ;   in Loop: Header=BB4_6741 Depth=3
	v_bfe_u32 v31, v1, 23, 8
	v_and_b32_e32 v50, 0x7fffff, v1
	v_sub_nc_u32_e32 v51, 0x70, v31
	v_cmp_gt_u32_e32 vcc_lo, 0x71, v31
	v_or_b32_e32 v96, 0x800000, v50
	v_cndmask_b32_e32 v51, 0, v51, vcc_lo
	v_cmp_eq_u32_e32 vcc_lo, 0, v31
	v_add_nc_u32_e32 v31, 0xffffff91, v31
	v_cndmask_b32_e64 v51, v51, 0x6f, vcc_lo
	v_cndmask_b32_e32 v50, v96, v50, vcc_lo
	v_cndmask_b32_e64 v31, v31, 0xffffff92, vcc_lo
	v_lshl_add_u32 v96, 0x200000, v51, -1
	v_lshrrev_b32_e32 v97, v51, v50
	v_lshlrev_b32_e64 v40, v51, 0x100000
	v_add_nc_u32_e32 v51, v51, v31
	v_and_b32_e32 v50, v96, v50
	v_bfe_u32 v115, v97, 21, 1
	v_cmp_eq_u32_e64 s16, v50, v40
	v_add_nc_u32_e32 v96, -1, v115
	v_cndmask_b32_e64 v50, 0, v96, s16
	v_lshrrev_b32_e32 v96, 23, v97
	s_mov_b32 s16, exec_lo
	v_add_nc_u32_e32 v50, v50, v97
	v_xor_b32_e32 v96, 1, v96
	v_and_b32_e32 v31, 0x1fffff, v50
	v_add_nc_u32_e32 v50, v31, v97
                                        ; implicit-def: $vgpr31
	v_cmpx_ne_u32_e64 v51, v96
	s_xor_b32 s16, exec_lo, s16
; %bb.7108:                             ;   in Loop: Header=BB4_6741 Depth=3
	v_cmp_lt_u32_e32 vcc_lo, 0xffffff, v50
	v_sub_nc_u32_e32 v31, v51, v96
	v_cndmask_b32_e64 v51, 0, 1, vcc_lo
	v_add_co_ci_u32_e64 v31, null, 0, v31, vcc_lo
	v_lshrrev_b32_e32 v50, v51, v50
; %bb.7109:                             ;   in Loop: Header=BB4_6741 Depth=3
	s_andn2_saveexec_b32 s16, s16
; %bb.7110:                             ;   in Loop: Header=BB4_6741 Depth=3
	v_bfe_u32 v31, v50, 23, 1
; %bb.7111:                             ;   in Loop: Header=BB4_6741 Depth=3
	s_or_b32 exec_lo, exec_lo, s16
	v_lshrrev_b32_e32 v50, 21, v50
	v_cmp_gt_i32_e32 vcc_lo, 32, v31
	v_min_i32_e32 v51, 31, v31
	v_and_b32_sdwa v1, v1, v101 dst_sel:DWORD dst_unused:UNUSED_PAD src0_sel:BYTE_3 src1_sel:DWORD
	v_cndmask_b32_e32 v50, 3, v50, vcc_lo
	v_lshlrev_b32_e32 v51, 2, v51
	v_and_b32_e32 v96, 3, v50
	v_or_b32_e32 v31, v31, v50
	v_or3_b32 v1, v51, v1, v96
	v_cmp_ne_u32_e32 vcc_lo, 0, v31
	v_cndmask_b32_e32 v62, 0, v1, vcc_lo
.LBB4_7112:                             ;   in Loop: Header=BB4_6741 Depth=3
	s_or_b32 exec_lo, exec_lo, s23
.LBB4_7113:                             ;   in Loop: Header=BB4_6741 Depth=3
	s_or_b32 exec_lo, exec_lo, s19
	v_cmp_gt_i16_sdwa s19, v5, v100 src0_sel:BYTE_0 src1_sel:DWORD
	s_mov_b32 s16, 0
	s_and_saveexec_b32 s23, s19
	s_xor_b32 s19, exec_lo, s23
	s_cbranch_execz .LBB4_7351
; %bb.7114:                             ;   in Loop: Header=BB4_6741 Depth=3
	v_cmp_eq_u16_sdwa s72, v5, v101 src0_sel:BYTE_0 src1_sel:DWORD
	s_mov_b32 s16, -1
	s_and_saveexec_b32 s23, s72
; %bb.7115:                             ;   in Loop: Header=BB4_6741 Depth=3
	s_xor_b32 s16, exec_lo, -1
; %bb.7116:                             ;   in Loop: Header=BB4_6741 Depth=3
	s_or_b32 exec_lo, exec_lo, s23
	s_and_b32 s16, s16, exec_lo
	s_or_saveexec_b32 s19, s19
	v_mov_b32_e32 v1, 0x7f800001
	s_xor_b32 exec_lo, exec_lo, s19
	s_cbranch_execnz .LBB4_7352
.LBB4_7117:                             ;   in Loop: Header=BB4_6741 Depth=3
	s_or_b32 exec_lo, exec_lo, s19
	s_and_saveexec_b32 s19, s16
	s_cbranch_execz .LBB4_7119
.LBB4_7118:                             ;   in Loop: Header=BB4_6741 Depth=3
	v_and_b32_e32 v1, 3, v5
	v_lshrrev_b16 v50, 2, v5
	v_ffbh_u32_e32 v31, v1
	v_and_b32_e32 v50, 31, v50
	v_min_u32_e32 v31, 32, v31
	v_cmp_eq_u32_e32 vcc_lo, 0, v50
	v_subrev_nc_u32_e32 v51, 29, v31
	v_sub_nc_u32_e32 v31, 30, v31
	v_lshlrev_b32_e32 v51, v51, v5
	v_lshlrev_b32_e32 v5, 24, v5
	v_cndmask_b32_e32 v31, v50, v31, vcc_lo
	v_and_b32_e32 v51, 3, v51
	v_and_b32_e32 v5, 0x80000000, v5
	v_lshl_add_u32 v31, v31, 23, 0x37800000
	v_cndmask_b32_e32 v1, v1, v51, vcc_lo
	v_lshlrev_b32_e32 v1, 21, v1
	v_or3_b32 v1, v5, v31, v1
.LBB4_7119:                             ;   in Loop: Header=BB4_6741 Depth=3
	s_or_b32 exec_lo, exec_lo, s19
	s_waitcnt vmcnt(8) lgkmcnt(8)
	v_cmp_gt_i16_sdwa s19, v78, v100 src0_sel:BYTE_0 src1_sel:DWORD
	s_mov_b32 s16, 0
	s_and_saveexec_b32 s23, s19
	s_xor_b32 s19, exec_lo, s23
	s_cbranch_execz .LBB4_7353
; %bb.7120:                             ;   in Loop: Header=BB4_6741 Depth=3
	v_cmp_eq_u16_sdwa s72, v78, v101 src0_sel:BYTE_0 src1_sel:DWORD
	s_mov_b32 s16, -1
	s_and_saveexec_b32 s23, s72
; %bb.7121:                             ;   in Loop: Header=BB4_6741 Depth=3
	s_xor_b32 s16, exec_lo, -1
; %bb.7122:                             ;   in Loop: Header=BB4_6741 Depth=3
	s_or_b32 exec_lo, exec_lo, s23
	s_and_b32 s16, s16, exec_lo
	s_or_saveexec_b32 s19, s19
	v_mov_b32_e32 v5, 0x7f800001
	s_xor_b32 exec_lo, exec_lo, s19
	s_cbranch_execnz .LBB4_7354
.LBB4_7123:                             ;   in Loop: Header=BB4_6741 Depth=3
	s_or_b32 exec_lo, exec_lo, s19
	s_and_saveexec_b32 s19, s16
	s_cbranch_execz .LBB4_7125
.LBB4_7124:                             ;   in Loop: Header=BB4_6741 Depth=3
	v_and_b32_e32 v5, 3, v78
	v_lshrrev_b16 v50, 2, v78
	v_lshlrev_b32_e32 v96, 24, v78
	v_ffbh_u32_e32 v31, v5
	v_and_b32_e32 v50, 31, v50
	v_min_u32_e32 v31, 32, v31
	v_cmp_eq_u32_e32 vcc_lo, 0, v50
	v_subrev_nc_u32_e32 v51, 29, v31
	v_sub_nc_u32_e32 v31, 30, v31
	v_lshlrev_b32_e32 v51, v51, v78
	v_cndmask_b32_e32 v31, v50, v31, vcc_lo
	v_and_b32_e32 v50, 0x80000000, v96
	v_and_b32_e32 v51, 3, v51
	v_lshl_add_u32 v31, v31, 23, 0x37800000
	v_cndmask_b32_e32 v5, v5, v51, vcc_lo
	v_lshlrev_b32_e32 v5, 21, v5
	v_or3_b32 v5, v50, v31, v5
.LBB4_7125:                             ;   in Loop: Header=BB4_6741 Depth=3
	s_or_b32 exec_lo, exec_lo, s19
	v_add_f32_e32 v1, v1, v5
	v_and_b32_e32 v5, 0x7f800000, v1
	v_cmp_ne_u32_e32 vcc_lo, 0x7f800000, v5
	v_mov_b32_e32 v5, 0x80
	s_and_saveexec_b32 s19, vcc_lo
	s_cbranch_execz .LBB4_7133
; %bb.7126:                             ;   in Loop: Header=BB4_6741 Depth=3
	v_mov_b32_e32 v5, 0
	s_mov_b32 s23, exec_lo
	v_cmpx_ne_u32_e32 0, v1
	s_cbranch_execz .LBB4_7132
; %bb.7127:                             ;   in Loop: Header=BB4_6741 Depth=3
	v_bfe_u32 v5, v1, 23, 8
	v_and_b32_e32 v31, 0x7fffff, v1
	v_sub_nc_u32_e32 v50, 0x70, v5
	v_cmp_gt_u32_e32 vcc_lo, 0x71, v5
	v_or_b32_e32 v51, 0x800000, v31
	v_cndmask_b32_e32 v50, 0, v50, vcc_lo
	v_cmp_eq_u32_e32 vcc_lo, 0, v5
	v_add_nc_u32_e32 v5, 0xffffff91, v5
	v_cndmask_b32_e64 v50, v50, 0x6f, vcc_lo
	v_cndmask_b32_e32 v31, v51, v31, vcc_lo
	v_cndmask_b32_e64 v5, v5, 0xffffff92, vcc_lo
	v_lshl_add_u32 v51, 0x200000, v50, -1
	v_lshrrev_b32_e32 v96, v50, v31
	v_lshlrev_b32_e64 v115, v50, 0x100000
	v_add_nc_u32_e32 v50, v50, v5
	v_and_b32_e32 v31, v51, v31
	v_bfe_u32 v97, v96, 21, 1
	v_cmp_eq_u32_e64 s16, v31, v115
	v_add_nc_u32_e32 v51, -1, v97
	v_cndmask_b32_e64 v31, 0, v51, s16
	v_lshrrev_b32_e32 v51, 23, v96
	s_mov_b32 s16, exec_lo
	v_add_nc_u32_e32 v31, v31, v96
	v_xor_b32_e32 v51, 1, v51
	v_and_b32_e32 v5, 0x1fffff, v31
	v_add_nc_u32_e32 v31, v5, v96
                                        ; implicit-def: $vgpr5
	v_cmpx_ne_u32_e64 v50, v51
	s_xor_b32 s16, exec_lo, s16
; %bb.7128:                             ;   in Loop: Header=BB4_6741 Depth=3
	v_cmp_lt_u32_e32 vcc_lo, 0xffffff, v31
	v_sub_nc_u32_e32 v5, v50, v51
	v_cndmask_b32_e64 v50, 0, 1, vcc_lo
	v_add_co_ci_u32_e64 v5, null, 0, v5, vcc_lo
	v_lshrrev_b32_e32 v31, v50, v31
; %bb.7129:                             ;   in Loop: Header=BB4_6741 Depth=3
	s_andn2_saveexec_b32 s16, s16
; %bb.7130:                             ;   in Loop: Header=BB4_6741 Depth=3
	v_bfe_u32 v5, v31, 23, 1
; %bb.7131:                             ;   in Loop: Header=BB4_6741 Depth=3
	s_or_b32 exec_lo, exec_lo, s16
	v_lshrrev_b32_e32 v31, 21, v31
	v_cmp_gt_i32_e32 vcc_lo, 32, v5
	v_min_i32_e32 v50, 31, v5
	v_and_b32_sdwa v1, v1, v101 dst_sel:DWORD dst_unused:UNUSED_PAD src0_sel:BYTE_3 src1_sel:DWORD
	v_cndmask_b32_e32 v31, 3, v31, vcc_lo
	v_lshlrev_b32_e32 v50, 2, v50
	v_and_b32_e32 v51, 3, v31
	v_or_b32_e32 v5, v5, v31
	v_or3_b32 v1, v50, v1, v51
	v_cmp_ne_u32_e32 vcc_lo, 0, v5
	v_cndmask_b32_e32 v5, 0, v1, vcc_lo
.LBB4_7132:                             ;   in Loop: Header=BB4_6741 Depth=3
	s_or_b32 exec_lo, exec_lo, s23
.LBB4_7133:                             ;   in Loop: Header=BB4_6741 Depth=3
	s_or_b32 exec_lo, exec_lo, s19
	v_cmp_gt_i16_sdwa s19, v4, v100 src0_sel:BYTE_0 src1_sel:DWORD
	s_mov_b32 s16, 0
	s_and_saveexec_b32 s23, s19
	s_xor_b32 s19, exec_lo, s23
	s_cbranch_execz .LBB4_7355
; %bb.7134:                             ;   in Loop: Header=BB4_6741 Depth=3
	v_cmp_eq_u16_sdwa s72, v4, v101 src0_sel:BYTE_0 src1_sel:DWORD
	s_mov_b32 s16, -1
	s_and_saveexec_b32 s23, s72
; %bb.7135:                             ;   in Loop: Header=BB4_6741 Depth=3
	s_xor_b32 s16, exec_lo, -1
; %bb.7136:                             ;   in Loop: Header=BB4_6741 Depth=3
	s_or_b32 exec_lo, exec_lo, s23
	s_and_b32 s16, s16, exec_lo
	s_or_saveexec_b32 s19, s19
	v_mov_b32_e32 v1, 0x7f800001
	s_xor_b32 exec_lo, exec_lo, s19
	s_cbranch_execnz .LBB4_7356
.LBB4_7137:                             ;   in Loop: Header=BB4_6741 Depth=3
	s_or_b32 exec_lo, exec_lo, s19
	s_and_saveexec_b32 s19, s16
	s_cbranch_execz .LBB4_7139
.LBB4_7138:                             ;   in Loop: Header=BB4_6741 Depth=3
	v_and_b32_e32 v1, 3, v4
	v_lshrrev_b16 v50, 2, v4
	v_ffbh_u32_e32 v31, v1
	v_and_b32_e32 v50, 31, v50
	v_min_u32_e32 v31, 32, v31
	v_cmp_eq_u32_e32 vcc_lo, 0, v50
	v_subrev_nc_u32_e32 v51, 29, v31
	v_sub_nc_u32_e32 v31, 30, v31
	v_lshlrev_b32_e32 v51, v51, v4
	v_lshlrev_b32_e32 v4, 24, v4
	v_cndmask_b32_e32 v31, v50, v31, vcc_lo
	v_and_b32_e32 v51, 3, v51
	v_and_b32_e32 v4, 0x80000000, v4
	v_lshl_add_u32 v31, v31, 23, 0x37800000
	v_cndmask_b32_e32 v1, v1, v51, vcc_lo
	v_lshlrev_b32_e32 v1, 21, v1
	v_or3_b32 v1, v4, v31, v1
.LBB4_7139:                             ;   in Loop: Header=BB4_6741 Depth=3
	s_or_b32 exec_lo, exec_lo, s19
	s_waitcnt vmcnt(7) lgkmcnt(7)
	v_cmp_gt_i16_sdwa s19, v77, v100 src0_sel:BYTE_0 src1_sel:DWORD
	s_mov_b32 s16, 0
	s_and_saveexec_b32 s23, s19
	s_xor_b32 s19, exec_lo, s23
	s_cbranch_execz .LBB4_7357
; %bb.7140:                             ;   in Loop: Header=BB4_6741 Depth=3
	v_cmp_eq_u16_sdwa s72, v77, v101 src0_sel:BYTE_0 src1_sel:DWORD
	s_mov_b32 s16, -1
	s_and_saveexec_b32 s23, s72
; %bb.7141:                             ;   in Loop: Header=BB4_6741 Depth=3
	s_xor_b32 s16, exec_lo, -1
; %bb.7142:                             ;   in Loop: Header=BB4_6741 Depth=3
	s_or_b32 exec_lo, exec_lo, s23
	s_and_b32 s16, s16, exec_lo
	s_or_saveexec_b32 s19, s19
	v_mov_b32_e32 v4, 0x7f800001
	s_xor_b32 exec_lo, exec_lo, s19
	s_cbranch_execnz .LBB4_7358
.LBB4_7143:                             ;   in Loop: Header=BB4_6741 Depth=3
	s_or_b32 exec_lo, exec_lo, s19
	s_and_saveexec_b32 s19, s16
	s_cbranch_execz .LBB4_7145
.LBB4_7144:                             ;   in Loop: Header=BB4_6741 Depth=3
	v_and_b32_e32 v4, 3, v77
	v_lshrrev_b16 v50, 2, v77
	v_lshlrev_b32_e32 v96, 24, v77
	v_ffbh_u32_e32 v31, v4
	v_and_b32_e32 v50, 31, v50
	v_min_u32_e32 v31, 32, v31
	v_cmp_eq_u32_e32 vcc_lo, 0, v50
	v_subrev_nc_u32_e32 v51, 29, v31
	v_sub_nc_u32_e32 v31, 30, v31
	v_lshlrev_b32_e32 v51, v51, v77
	v_cndmask_b32_e32 v31, v50, v31, vcc_lo
	v_and_b32_e32 v50, 0x80000000, v96
	v_and_b32_e32 v51, 3, v51
	v_lshl_add_u32 v31, v31, 23, 0x37800000
	v_cndmask_b32_e32 v4, v4, v51, vcc_lo
	v_lshlrev_b32_e32 v4, 21, v4
	v_or3_b32 v4, v50, v31, v4
.LBB4_7145:                             ;   in Loop: Header=BB4_6741 Depth=3
	s_or_b32 exec_lo, exec_lo, s19
	v_add_f32_e32 v1, v1, v4
	v_and_b32_e32 v4, 0x7f800000, v1
	v_cmp_ne_u32_e32 vcc_lo, 0x7f800000, v4
	v_mov_b32_e32 v4, 0x80
	s_and_saveexec_b32 s19, vcc_lo
	s_cbranch_execz .LBB4_7153
; %bb.7146:                             ;   in Loop: Header=BB4_6741 Depth=3
	v_mov_b32_e32 v4, 0
	s_mov_b32 s23, exec_lo
	v_cmpx_ne_u32_e32 0, v1
	s_cbranch_execz .LBB4_7152
; %bb.7147:                             ;   in Loop: Header=BB4_6741 Depth=3
	v_bfe_u32 v4, v1, 23, 8
	v_and_b32_e32 v31, 0x7fffff, v1
	v_sub_nc_u32_e32 v50, 0x70, v4
	v_cmp_gt_u32_e32 vcc_lo, 0x71, v4
	v_or_b32_e32 v51, 0x800000, v31
	v_cndmask_b32_e32 v50, 0, v50, vcc_lo
	v_cmp_eq_u32_e32 vcc_lo, 0, v4
	v_add_nc_u32_e32 v4, 0xffffff91, v4
	v_cndmask_b32_e64 v50, v50, 0x6f, vcc_lo
	v_cndmask_b32_e32 v31, v51, v31, vcc_lo
	v_cndmask_b32_e64 v4, v4, 0xffffff92, vcc_lo
	v_lshl_add_u32 v51, 0x200000, v50, -1
	v_lshrrev_b32_e32 v96, v50, v31
	v_lshlrev_b32_e64 v115, v50, 0x100000
	v_add_nc_u32_e32 v50, v50, v4
	v_and_b32_e32 v31, v51, v31
	v_bfe_u32 v97, v96, 21, 1
	v_cmp_eq_u32_e64 s16, v31, v115
	v_add_nc_u32_e32 v51, -1, v97
	v_cndmask_b32_e64 v31, 0, v51, s16
	v_lshrrev_b32_e32 v51, 23, v96
	s_mov_b32 s16, exec_lo
	v_add_nc_u32_e32 v31, v31, v96
	v_xor_b32_e32 v51, 1, v51
	v_and_b32_e32 v4, 0x1fffff, v31
	v_add_nc_u32_e32 v31, v4, v96
                                        ; implicit-def: $vgpr4
	v_cmpx_ne_u32_e64 v50, v51
	s_xor_b32 s16, exec_lo, s16
; %bb.7148:                             ;   in Loop: Header=BB4_6741 Depth=3
	v_cmp_lt_u32_e32 vcc_lo, 0xffffff, v31
	v_sub_nc_u32_e32 v4, v50, v51
	v_cndmask_b32_e64 v50, 0, 1, vcc_lo
	v_add_co_ci_u32_e64 v4, null, 0, v4, vcc_lo
	v_lshrrev_b32_e32 v31, v50, v31
; %bb.7149:                             ;   in Loop: Header=BB4_6741 Depth=3
	s_andn2_saveexec_b32 s16, s16
; %bb.7150:                             ;   in Loop: Header=BB4_6741 Depth=3
	v_bfe_u32 v4, v31, 23, 1
; %bb.7151:                             ;   in Loop: Header=BB4_6741 Depth=3
	s_or_b32 exec_lo, exec_lo, s16
	v_lshrrev_b32_e32 v31, 21, v31
	v_cmp_gt_i32_e32 vcc_lo, 32, v4
	v_min_i32_e32 v50, 31, v4
	v_and_b32_sdwa v1, v1, v101 dst_sel:DWORD dst_unused:UNUSED_PAD src0_sel:BYTE_3 src1_sel:DWORD
	v_cndmask_b32_e32 v31, 3, v31, vcc_lo
	v_lshlrev_b32_e32 v50, 2, v50
	v_and_b32_e32 v51, 3, v31
	v_or_b32_e32 v4, v4, v31
	v_or3_b32 v1, v50, v1, v51
	v_cmp_ne_u32_e32 vcc_lo, 0, v4
	v_cndmask_b32_e32 v4, 0, v1, vcc_lo
.LBB4_7152:                             ;   in Loop: Header=BB4_6741 Depth=3
	s_or_b32 exec_lo, exec_lo, s23
.LBB4_7153:                             ;   in Loop: Header=BB4_6741 Depth=3
	s_or_b32 exec_lo, exec_lo, s19
	v_cmp_gt_i16_sdwa s19, v67, v100 src0_sel:BYTE_0 src1_sel:DWORD
	s_mov_b32 s16, 0
	s_and_saveexec_b32 s23, s19
	s_xor_b32 s19, exec_lo, s23
	s_cbranch_execz .LBB4_7359
; %bb.7154:                             ;   in Loop: Header=BB4_6741 Depth=3
	v_cmp_eq_u16_sdwa s72, v67, v101 src0_sel:BYTE_0 src1_sel:DWORD
	s_mov_b32 s16, -1
	s_and_saveexec_b32 s23, s72
; %bb.7155:                             ;   in Loop: Header=BB4_6741 Depth=3
	s_xor_b32 s16, exec_lo, -1
; %bb.7156:                             ;   in Loop: Header=BB4_6741 Depth=3
	s_or_b32 exec_lo, exec_lo, s23
	s_and_b32 s16, s16, exec_lo
	s_or_saveexec_b32 s19, s19
	v_mov_b32_e32 v1, 0x7f800001
	s_xor_b32 exec_lo, exec_lo, s19
	s_cbranch_execnz .LBB4_7360
.LBB4_7157:                             ;   in Loop: Header=BB4_6741 Depth=3
	s_or_b32 exec_lo, exec_lo, s19
	s_and_saveexec_b32 s19, s16
	s_cbranch_execz .LBB4_7159
.LBB4_7158:                             ;   in Loop: Header=BB4_6741 Depth=3
	v_and_b32_e32 v1, 3, v67
	v_lshrrev_b16 v50, 2, v67
	v_ffbh_u32_e32 v31, v1
	v_and_b32_e32 v50, 31, v50
	v_min_u32_e32 v31, 32, v31
	v_cmp_eq_u32_e32 vcc_lo, 0, v50
	v_subrev_nc_u32_e32 v51, 29, v31
	v_sub_nc_u32_e32 v31, 30, v31
	v_lshlrev_b32_e32 v51, v51, v67
	v_lshlrev_b32_e32 v67, 24, v67
	v_cndmask_b32_e32 v31, v50, v31, vcc_lo
	v_and_b32_e32 v51, 3, v51
	v_and_b32_e32 v50, 0x80000000, v67
	v_lshl_add_u32 v31, v31, 23, 0x37800000
	v_cndmask_b32_e32 v1, v1, v51, vcc_lo
	v_lshlrev_b32_e32 v1, 21, v1
	v_or3_b32 v1, v50, v31, v1
.LBB4_7159:                             ;   in Loop: Header=BB4_6741 Depth=3
	s_or_b32 exec_lo, exec_lo, s19
	s_waitcnt vmcnt(6) lgkmcnt(6)
	v_cmp_gt_i16_sdwa s19, v35, v100 src0_sel:BYTE_0 src1_sel:DWORD
	s_mov_b32 s16, 0
	s_and_saveexec_b32 s23, s19
	s_xor_b32 s19, exec_lo, s23
	s_cbranch_execz .LBB4_7361
; %bb.7160:                             ;   in Loop: Header=BB4_6741 Depth=3
	v_cmp_eq_u16_sdwa s72, v35, v101 src0_sel:BYTE_0 src1_sel:DWORD
	s_mov_b32 s16, -1
	s_and_saveexec_b32 s23, s72
; %bb.7161:                             ;   in Loop: Header=BB4_6741 Depth=3
	s_xor_b32 s16, exec_lo, -1
; %bb.7162:                             ;   in Loop: Header=BB4_6741 Depth=3
	s_or_b32 exec_lo, exec_lo, s23
	s_and_b32 s16, s16, exec_lo
	s_or_saveexec_b32 s19, s19
	v_mov_b32_e32 v31, 0x7f800001
	s_xor_b32 exec_lo, exec_lo, s19
	s_cbranch_execnz .LBB4_7362
.LBB4_7163:                             ;   in Loop: Header=BB4_6741 Depth=3
	s_or_b32 exec_lo, exec_lo, s19
	s_and_saveexec_b32 s19, s16
	s_cbranch_execz .LBB4_7165
.LBB4_7164:                             ;   in Loop: Header=BB4_6741 Depth=3
	v_and_b32_e32 v31, 3, v35
	v_lshrrev_b16 v51, 2, v35
	v_ffbh_u32_e32 v50, v31
	v_and_b32_e32 v51, 31, v51
	v_min_u32_e32 v50, 32, v50
	v_cmp_eq_u32_e32 vcc_lo, 0, v51
	v_subrev_nc_u32_e32 v67, 29, v50
	v_sub_nc_u32_e32 v50, 30, v50
	v_lshlrev_b32_e32 v67, v67, v35
	v_lshlrev_b32_e32 v35, 24, v35
	v_cndmask_b32_e32 v50, v51, v50, vcc_lo
	v_and_b32_e32 v67, 3, v67
	v_and_b32_e32 v35, 0x80000000, v35
	v_lshl_add_u32 v50, v50, 23, 0x37800000
	v_cndmask_b32_e32 v31, v31, v67, vcc_lo
	v_lshlrev_b32_e32 v31, 21, v31
	v_or3_b32 v31, v35, v50, v31
.LBB4_7165:                             ;   in Loop: Header=BB4_6741 Depth=3
	s_or_b32 exec_lo, exec_lo, s19
	v_add_f32_e32 v1, v1, v31
	v_and_b32_e32 v31, 0x7f800000, v1
	v_cmp_ne_u32_e32 vcc_lo, 0x7f800000, v31
	v_mov_b32_e32 v31, 0x80
	s_and_saveexec_b32 s19, vcc_lo
	s_cbranch_execz .LBB4_7173
; %bb.7166:                             ;   in Loop: Header=BB4_6741 Depth=3
	v_mov_b32_e32 v31, 0
	s_mov_b32 s23, exec_lo
	v_cmpx_ne_u32_e32 0, v1
	s_cbranch_execz .LBB4_7172
; %bb.7167:                             ;   in Loop: Header=BB4_6741 Depth=3
	v_bfe_u32 v31, v1, 23, 8
	v_and_b32_e32 v35, 0x7fffff, v1
	v_sub_nc_u32_e32 v50, 0x70, v31
	v_cmp_gt_u32_e32 vcc_lo, 0x71, v31
	v_or_b32_e32 v51, 0x800000, v35
	v_cndmask_b32_e32 v50, 0, v50, vcc_lo
	v_cmp_eq_u32_e32 vcc_lo, 0, v31
	v_add_nc_u32_e32 v31, 0xffffff91, v31
	v_cndmask_b32_e64 v50, v50, 0x6f, vcc_lo
	v_cndmask_b32_e32 v35, v51, v35, vcc_lo
	v_cndmask_b32_e64 v31, v31, 0xffffff92, vcc_lo
	v_lshl_add_u32 v51, 0x200000, v50, -1
	v_lshrrev_b32_e32 v67, v50, v35
	v_lshlrev_b32_e64 v97, v50, 0x100000
	v_add_nc_u32_e32 v50, v50, v31
	v_and_b32_e32 v35, v51, v35
	v_bfe_u32 v96, v67, 21, 1
	v_cmp_eq_u32_e64 s16, v35, v97
	v_add_nc_u32_e32 v51, -1, v96
	v_cndmask_b32_e64 v35, 0, v51, s16
	v_lshrrev_b32_e32 v51, 23, v67
	s_mov_b32 s16, exec_lo
	v_add_nc_u32_e32 v35, v35, v67
	v_xor_b32_e32 v51, 1, v51
	v_and_b32_e32 v31, 0x1fffff, v35
	v_add_nc_u32_e32 v35, v31, v67
                                        ; implicit-def: $vgpr31
	v_cmpx_ne_u32_e64 v50, v51
	s_xor_b32 s16, exec_lo, s16
; %bb.7168:                             ;   in Loop: Header=BB4_6741 Depth=3
	v_cmp_lt_u32_e32 vcc_lo, 0xffffff, v35
	v_sub_nc_u32_e32 v31, v50, v51
	v_cndmask_b32_e64 v50, 0, 1, vcc_lo
	v_add_co_ci_u32_e64 v31, null, 0, v31, vcc_lo
	v_lshrrev_b32_e32 v35, v50, v35
; %bb.7169:                             ;   in Loop: Header=BB4_6741 Depth=3
	s_andn2_saveexec_b32 s16, s16
; %bb.7170:                             ;   in Loop: Header=BB4_6741 Depth=3
	v_bfe_u32 v31, v35, 23, 1
; %bb.7171:                             ;   in Loop: Header=BB4_6741 Depth=3
	s_or_b32 exec_lo, exec_lo, s16
	v_lshrrev_b32_e32 v35, 21, v35
	v_cmp_gt_i32_e32 vcc_lo, 32, v31
	v_min_i32_e32 v50, 31, v31
	v_and_b32_sdwa v1, v1, v101 dst_sel:DWORD dst_unused:UNUSED_PAD src0_sel:BYTE_3 src1_sel:DWORD
	v_cndmask_b32_e32 v35, 3, v35, vcc_lo
	v_lshlrev_b32_e32 v50, 2, v50
	v_and_b32_e32 v51, 3, v35
	v_or_b32_e32 v31, v31, v35
	v_or3_b32 v1, v50, v1, v51
	v_cmp_ne_u32_e32 vcc_lo, 0, v31
	v_cndmask_b32_e32 v31, 0, v1, vcc_lo
.LBB4_7172:                             ;   in Loop: Header=BB4_6741 Depth=3
	s_or_b32 exec_lo, exec_lo, s23
.LBB4_7173:                             ;   in Loop: Header=BB4_6741 Depth=3
	s_or_b32 exec_lo, exec_lo, s19
	v_cmp_gt_i16_sdwa s19, v37, v100 src0_sel:BYTE_0 src1_sel:DWORD
	s_mov_b32 s16, 0
	s_and_saveexec_b32 s23, s19
	s_xor_b32 s19, exec_lo, s23
	s_cbranch_execz .LBB4_7363
; %bb.7174:                             ;   in Loop: Header=BB4_6741 Depth=3
	v_cmp_eq_u16_sdwa s72, v37, v101 src0_sel:BYTE_0 src1_sel:DWORD
	s_mov_b32 s16, -1
	s_and_saveexec_b32 s23, s72
; %bb.7175:                             ;   in Loop: Header=BB4_6741 Depth=3
	s_xor_b32 s16, exec_lo, -1
; %bb.7176:                             ;   in Loop: Header=BB4_6741 Depth=3
	s_or_b32 exec_lo, exec_lo, s23
	s_and_b32 s16, s16, exec_lo
	s_or_saveexec_b32 s19, s19
	v_mov_b32_e32 v1, 0x7f800001
	s_xor_b32 exec_lo, exec_lo, s19
	s_cbranch_execnz .LBB4_7364
.LBB4_7177:                             ;   in Loop: Header=BB4_6741 Depth=3
	s_or_b32 exec_lo, exec_lo, s19
	s_and_saveexec_b32 s19, s16
	s_cbranch_execz .LBB4_7179
.LBB4_7178:                             ;   in Loop: Header=BB4_6741 Depth=3
	v_and_b32_e32 v1, 3, v37
	v_lshrrev_b16 v50, 2, v37
	v_ffbh_u32_e32 v35, v1
	v_and_b32_e32 v50, 31, v50
	v_min_u32_e32 v35, 32, v35
	v_cmp_eq_u32_e32 vcc_lo, 0, v50
	v_subrev_nc_u32_e32 v51, 29, v35
	v_sub_nc_u32_e32 v35, 30, v35
	v_lshlrev_b32_e32 v51, v51, v37
	v_lshlrev_b32_e32 v37, 24, v37
	v_cndmask_b32_e32 v35, v50, v35, vcc_lo
	v_and_b32_e32 v51, 3, v51
	v_and_b32_e32 v37, 0x80000000, v37
	v_lshl_add_u32 v35, v35, 23, 0x37800000
	v_cndmask_b32_e32 v1, v1, v51, vcc_lo
	v_lshlrev_b32_e32 v1, 21, v1
	v_or3_b32 v1, v37, v35, v1
.LBB4_7179:                             ;   in Loop: Header=BB4_6741 Depth=3
	s_or_b32 exec_lo, exec_lo, s19
	s_waitcnt vmcnt(5) lgkmcnt(5)
	v_cmp_gt_i16_sdwa s19, v76, v100 src0_sel:BYTE_0 src1_sel:DWORD
	s_mov_b32 s16, 0
	s_and_saveexec_b32 s23, s19
	s_xor_b32 s19, exec_lo, s23
	s_cbranch_execz .LBB4_7365
; %bb.7180:                             ;   in Loop: Header=BB4_6741 Depth=3
	v_cmp_eq_u16_sdwa s72, v76, v101 src0_sel:BYTE_0 src1_sel:DWORD
	s_mov_b32 s16, -1
	s_and_saveexec_b32 s23, s72
; %bb.7181:                             ;   in Loop: Header=BB4_6741 Depth=3
	s_xor_b32 s16, exec_lo, -1
; %bb.7182:                             ;   in Loop: Header=BB4_6741 Depth=3
	s_or_b32 exec_lo, exec_lo, s23
	s_and_b32 s16, s16, exec_lo
	s_or_saveexec_b32 s19, s19
	v_mov_b32_e32 v35, 0x7f800001
	s_xor_b32 exec_lo, exec_lo, s19
	s_cbranch_execnz .LBB4_7366
.LBB4_7183:                             ;   in Loop: Header=BB4_6741 Depth=3
	s_or_b32 exec_lo, exec_lo, s19
	s_and_saveexec_b32 s19, s16
	s_cbranch_execz .LBB4_7185
.LBB4_7184:                             ;   in Loop: Header=BB4_6741 Depth=3
	v_and_b32_e32 v35, 3, v76
	v_lshrrev_b16 v50, 2, v76
	v_lshlrev_b32_e32 v67, 24, v76
	v_ffbh_u32_e32 v37, v35
	v_and_b32_e32 v50, 31, v50
	v_min_u32_e32 v37, 32, v37
	v_cmp_eq_u32_e32 vcc_lo, 0, v50
	v_subrev_nc_u32_e32 v51, 29, v37
	v_sub_nc_u32_e32 v37, 30, v37
	v_lshlrev_b32_e32 v51, v51, v76
	v_cndmask_b32_e32 v37, v50, v37, vcc_lo
	v_and_b32_e32 v50, 0x80000000, v67
	v_and_b32_e32 v51, 3, v51
	v_lshl_add_u32 v37, v37, 23, 0x37800000
	v_cndmask_b32_e32 v35, v35, v51, vcc_lo
	v_lshlrev_b32_e32 v35, 21, v35
	v_or3_b32 v35, v50, v37, v35
.LBB4_7185:                             ;   in Loop: Header=BB4_6741 Depth=3
	s_or_b32 exec_lo, exec_lo, s19
	v_add_f32_e32 v35, v1, v35
	v_and_b32_e32 v1, 0x7f800000, v35
	v_cmp_ne_u32_e32 vcc_lo, 0x7f800000, v1
	v_mov_b32_e32 v1, 0x80
	s_and_saveexec_b32 s19, vcc_lo
	s_cbranch_execz .LBB4_7193
; %bb.7186:                             ;   in Loop: Header=BB4_6741 Depth=3
	v_mov_b32_e32 v1, 0
	s_mov_b32 s23, exec_lo
	v_cmpx_ne_u32_e32 0, v35
	s_cbranch_execz .LBB4_7192
; %bb.7187:                             ;   in Loop: Header=BB4_6741 Depth=3
	v_bfe_u32 v1, v35, 23, 8
	v_and_b32_e32 v37, 0x7fffff, v35
	v_sub_nc_u32_e32 v50, 0x70, v1
	v_cmp_gt_u32_e32 vcc_lo, 0x71, v1
	v_or_b32_e32 v51, 0x800000, v37
	v_cndmask_b32_e32 v50, 0, v50, vcc_lo
	v_cmp_eq_u32_e32 vcc_lo, 0, v1
	v_add_nc_u32_e32 v1, 0xffffff91, v1
	v_cndmask_b32_e64 v50, v50, 0x6f, vcc_lo
	v_cndmask_b32_e32 v37, v51, v37, vcc_lo
	v_cndmask_b32_e64 v1, v1, 0xffffff92, vcc_lo
	v_lshl_add_u32 v51, 0x200000, v50, -1
	v_lshrrev_b32_e32 v67, v50, v37
	v_lshlrev_b32_e64 v97, v50, 0x100000
	v_add_nc_u32_e32 v50, v50, v1
	v_and_b32_e32 v37, v51, v37
	v_bfe_u32 v96, v67, 21, 1
	v_cmp_eq_u32_e64 s16, v37, v97
	v_add_nc_u32_e32 v51, -1, v96
	v_cndmask_b32_e64 v37, 0, v51, s16
	v_lshrrev_b32_e32 v51, 23, v67
	s_mov_b32 s16, exec_lo
	v_add_nc_u32_e32 v37, v37, v67
	v_xor_b32_e32 v51, 1, v51
	v_and_b32_e32 v1, 0x1fffff, v37
	v_add_nc_u32_e32 v37, v1, v67
                                        ; implicit-def: $vgpr1
	v_cmpx_ne_u32_e64 v50, v51
	s_xor_b32 s16, exec_lo, s16
; %bb.7188:                             ;   in Loop: Header=BB4_6741 Depth=3
	v_cmp_lt_u32_e32 vcc_lo, 0xffffff, v37
	v_sub_nc_u32_e32 v1, v50, v51
	v_cndmask_b32_e64 v50, 0, 1, vcc_lo
	v_add_co_ci_u32_e64 v1, null, 0, v1, vcc_lo
	v_lshrrev_b32_e32 v37, v50, v37
; %bb.7189:                             ;   in Loop: Header=BB4_6741 Depth=3
	s_andn2_saveexec_b32 s16, s16
; %bb.7190:                             ;   in Loop: Header=BB4_6741 Depth=3
	v_bfe_u32 v1, v37, 23, 1
; %bb.7191:                             ;   in Loop: Header=BB4_6741 Depth=3
	s_or_b32 exec_lo, exec_lo, s16
	v_lshrrev_b32_e32 v37, 21, v37
	v_cmp_gt_i32_e32 vcc_lo, 32, v1
	v_min_i32_e32 v50, 31, v1
	v_and_b32_sdwa v35, v35, v101 dst_sel:DWORD dst_unused:UNUSED_PAD src0_sel:BYTE_3 src1_sel:DWORD
	v_cndmask_b32_e32 v37, 3, v37, vcc_lo
	v_lshlrev_b32_e32 v50, 2, v50
	v_and_b32_e32 v51, 3, v37
	v_or_b32_e32 v1, v1, v37
	v_or3_b32 v35, v50, v35, v51
	v_cmp_ne_u32_e32 vcc_lo, 0, v1
	v_cndmask_b32_e32 v1, 0, v35, vcc_lo
.LBB4_7192:                             ;   in Loop: Header=BB4_6741 Depth=3
	s_or_b32 exec_lo, exec_lo, s23
.LBB4_7193:                             ;   in Loop: Header=BB4_6741 Depth=3
	s_or_b32 exec_lo, exec_lo, s19
	v_cmp_gt_i16_sdwa s19, v36, v100 src0_sel:BYTE_0 src1_sel:DWORD
	s_mov_b32 s16, 0
	s_and_saveexec_b32 s23, s19
	s_xor_b32 s19, exec_lo, s23
	s_cbranch_execz .LBB4_7367
; %bb.7194:                             ;   in Loop: Header=BB4_6741 Depth=3
	v_cmp_eq_u16_sdwa s72, v36, v101 src0_sel:BYTE_0 src1_sel:DWORD
	s_mov_b32 s16, -1
	s_and_saveexec_b32 s23, s72
; %bb.7195:                             ;   in Loop: Header=BB4_6741 Depth=3
	s_xor_b32 s16, exec_lo, -1
; %bb.7196:                             ;   in Loop: Header=BB4_6741 Depth=3
	s_or_b32 exec_lo, exec_lo, s23
	s_and_b32 s16, s16, exec_lo
	s_or_saveexec_b32 s19, s19
	v_mov_b32_e32 v35, 0x7f800001
	s_xor_b32 exec_lo, exec_lo, s19
	s_cbranch_execnz .LBB4_7368
.LBB4_7197:                             ;   in Loop: Header=BB4_6741 Depth=3
	s_or_b32 exec_lo, exec_lo, s19
	s_and_saveexec_b32 s19, s16
	s_cbranch_execz .LBB4_7199
.LBB4_7198:                             ;   in Loop: Header=BB4_6741 Depth=3
	v_and_b32_e32 v35, 3, v36
	v_lshrrev_b16 v50, 2, v36
	v_ffbh_u32_e32 v37, v35
	v_and_b32_e32 v50, 31, v50
	v_min_u32_e32 v37, 32, v37
	v_cmp_eq_u32_e32 vcc_lo, 0, v50
	v_subrev_nc_u32_e32 v51, 29, v37
	v_sub_nc_u32_e32 v37, 30, v37
	v_lshlrev_b32_e32 v51, v51, v36
	v_lshlrev_b32_e32 v36, 24, v36
	v_cndmask_b32_e32 v37, v50, v37, vcc_lo
	v_and_b32_e32 v51, 3, v51
	v_and_b32_e32 v36, 0x80000000, v36
	v_lshl_add_u32 v37, v37, 23, 0x37800000
	v_cndmask_b32_e32 v35, v35, v51, vcc_lo
	v_lshlrev_b32_e32 v35, 21, v35
	v_or3_b32 v35, v36, v37, v35
.LBB4_7199:                             ;   in Loop: Header=BB4_6741 Depth=3
	s_or_b32 exec_lo, exec_lo, s19
	s_waitcnt vmcnt(4) lgkmcnt(4)
	v_cmp_gt_i16_sdwa s19, v75, v100 src0_sel:BYTE_0 src1_sel:DWORD
	s_mov_b32 s16, 0
	s_and_saveexec_b32 s23, s19
	s_xor_b32 s19, exec_lo, s23
	s_cbranch_execz .LBB4_7369
; %bb.7200:                             ;   in Loop: Header=BB4_6741 Depth=3
	v_cmp_eq_u16_sdwa s72, v75, v101 src0_sel:BYTE_0 src1_sel:DWORD
	s_mov_b32 s16, -1
	s_and_saveexec_b32 s23, s72
; %bb.7201:                             ;   in Loop: Header=BB4_6741 Depth=3
	s_xor_b32 s16, exec_lo, -1
; %bb.7202:                             ;   in Loop: Header=BB4_6741 Depth=3
	s_or_b32 exec_lo, exec_lo, s23
	s_and_b32 s16, s16, exec_lo
	s_or_saveexec_b32 s19, s19
	v_mov_b32_e32 v36, 0x7f800001
	s_xor_b32 exec_lo, exec_lo, s19
	s_cbranch_execnz .LBB4_7370
.LBB4_7203:                             ;   in Loop: Header=BB4_6741 Depth=3
	s_or_b32 exec_lo, exec_lo, s19
	s_and_saveexec_b32 s19, s16
	s_cbranch_execz .LBB4_7205
.LBB4_7204:                             ;   in Loop: Header=BB4_6741 Depth=3
	v_and_b32_e32 v36, 3, v75
	v_lshrrev_b16 v50, 2, v75
	v_lshlrev_b32_e32 v67, 24, v75
	v_ffbh_u32_e32 v37, v36
	v_and_b32_e32 v50, 31, v50
	v_min_u32_e32 v37, 32, v37
	v_cmp_eq_u32_e32 vcc_lo, 0, v50
	v_subrev_nc_u32_e32 v51, 29, v37
	v_sub_nc_u32_e32 v37, 30, v37
	v_lshlrev_b32_e32 v51, v51, v75
	v_cndmask_b32_e32 v37, v50, v37, vcc_lo
	v_and_b32_e32 v50, 0x80000000, v67
	v_and_b32_e32 v51, 3, v51
	v_lshl_add_u32 v37, v37, 23, 0x37800000
	v_cndmask_b32_e32 v36, v36, v51, vcc_lo
	v_lshlrev_b32_e32 v36, 21, v36
	v_or3_b32 v36, v50, v37, v36
.LBB4_7205:                             ;   in Loop: Header=BB4_6741 Depth=3
	s_or_b32 exec_lo, exec_lo, s19
	v_add_f32_e32 v36, v35, v36
	v_and_b32_e32 v35, 0x7f800000, v36
	v_cmp_ne_u32_e32 vcc_lo, 0x7f800000, v35
	v_mov_b32_e32 v35, 0x80
	s_and_saveexec_b32 s19, vcc_lo
	s_cbranch_execz .LBB4_7213
; %bb.7206:                             ;   in Loop: Header=BB4_6741 Depth=3
	v_mov_b32_e32 v35, 0
	s_mov_b32 s23, exec_lo
	v_cmpx_ne_u32_e32 0, v36
	s_cbranch_execz .LBB4_7212
; %bb.7207:                             ;   in Loop: Header=BB4_6741 Depth=3
	v_bfe_u32 v35, v36, 23, 8
	v_and_b32_e32 v37, 0x7fffff, v36
	v_sub_nc_u32_e32 v50, 0x70, v35
	v_cmp_gt_u32_e32 vcc_lo, 0x71, v35
	v_or_b32_e32 v51, 0x800000, v37
	v_cndmask_b32_e32 v50, 0, v50, vcc_lo
	v_cmp_eq_u32_e32 vcc_lo, 0, v35
	v_add_nc_u32_e32 v35, 0xffffff91, v35
	v_cndmask_b32_e64 v50, v50, 0x6f, vcc_lo
	v_cndmask_b32_e32 v37, v51, v37, vcc_lo
	v_cndmask_b32_e64 v35, v35, 0xffffff92, vcc_lo
	v_lshl_add_u32 v51, 0x200000, v50, -1
	v_lshrrev_b32_e32 v67, v50, v37
	v_lshlrev_b32_e64 v97, v50, 0x100000
	v_add_nc_u32_e32 v50, v50, v35
	v_and_b32_e32 v37, v51, v37
	v_bfe_u32 v96, v67, 21, 1
	v_cmp_eq_u32_e64 s16, v37, v97
	v_add_nc_u32_e32 v51, -1, v96
	v_cndmask_b32_e64 v37, 0, v51, s16
	v_lshrrev_b32_e32 v51, 23, v67
	s_mov_b32 s16, exec_lo
	v_add_nc_u32_e32 v37, v37, v67
	v_xor_b32_e32 v51, 1, v51
	v_and_b32_e32 v35, 0x1fffff, v37
	v_add_nc_u32_e32 v37, v35, v67
                                        ; implicit-def: $vgpr35
	v_cmpx_ne_u32_e64 v50, v51
	s_xor_b32 s16, exec_lo, s16
; %bb.7208:                             ;   in Loop: Header=BB4_6741 Depth=3
	v_cmp_lt_u32_e32 vcc_lo, 0xffffff, v37
	v_sub_nc_u32_e32 v35, v50, v51
	v_cndmask_b32_e64 v50, 0, 1, vcc_lo
	v_add_co_ci_u32_e64 v35, null, 0, v35, vcc_lo
	v_lshrrev_b32_e32 v37, v50, v37
; %bb.7209:                             ;   in Loop: Header=BB4_6741 Depth=3
	s_andn2_saveexec_b32 s16, s16
; %bb.7210:                             ;   in Loop: Header=BB4_6741 Depth=3
	v_bfe_u32 v35, v37, 23, 1
; %bb.7211:                             ;   in Loop: Header=BB4_6741 Depth=3
	s_or_b32 exec_lo, exec_lo, s16
	v_lshrrev_b32_e32 v37, 21, v37
	v_cmp_gt_i32_e32 vcc_lo, 32, v35
	v_min_i32_e32 v50, 31, v35
	v_and_b32_sdwa v36, v36, v101 dst_sel:DWORD dst_unused:UNUSED_PAD src0_sel:BYTE_3 src1_sel:DWORD
	v_cndmask_b32_e32 v37, 3, v37, vcc_lo
	v_lshlrev_b32_e32 v50, 2, v50
	v_and_b32_e32 v51, 3, v37
	v_or_b32_e32 v35, v35, v37
	v_or3_b32 v36, v50, v36, v51
	v_cmp_ne_u32_e32 vcc_lo, 0, v35
	v_cndmask_b32_e32 v35, 0, v36, vcc_lo
.LBB4_7212:                             ;   in Loop: Header=BB4_6741 Depth=3
	s_or_b32 exec_lo, exec_lo, s23
.LBB4_7213:                             ;   in Loop: Header=BB4_6741 Depth=3
	s_or_b32 exec_lo, exec_lo, s19
	v_cmp_gt_i16_sdwa s19, v30, v100 src0_sel:BYTE_0 src1_sel:DWORD
	s_mov_b32 s16, 0
	s_and_saveexec_b32 s23, s19
	s_xor_b32 s19, exec_lo, s23
	s_cbranch_execz .LBB4_7371
; %bb.7214:                             ;   in Loop: Header=BB4_6741 Depth=3
	v_cmp_eq_u16_sdwa s72, v30, v101 src0_sel:BYTE_0 src1_sel:DWORD
	s_mov_b32 s16, -1
	s_and_saveexec_b32 s23, s72
; %bb.7215:                             ;   in Loop: Header=BB4_6741 Depth=3
	s_xor_b32 s16, exec_lo, -1
; %bb.7216:                             ;   in Loop: Header=BB4_6741 Depth=3
	s_or_b32 exec_lo, exec_lo, s23
	s_and_b32 s16, s16, exec_lo
	s_or_saveexec_b32 s19, s19
	v_mov_b32_e32 v36, 0x7f800001
	s_xor_b32 exec_lo, exec_lo, s19
	s_cbranch_execnz .LBB4_7372
.LBB4_7217:                             ;   in Loop: Header=BB4_6741 Depth=3
	s_or_b32 exec_lo, exec_lo, s19
	s_and_saveexec_b32 s19, s16
	s_cbranch_execz .LBB4_7219
.LBB4_7218:                             ;   in Loop: Header=BB4_6741 Depth=3
	v_and_b32_e32 v36, 3, v30
	v_lshrrev_b16 v50, 2, v30
	v_ffbh_u32_e32 v37, v36
	v_and_b32_e32 v50, 31, v50
	v_min_u32_e32 v37, 32, v37
	v_cmp_eq_u32_e32 vcc_lo, 0, v50
	v_subrev_nc_u32_e32 v51, 29, v37
	v_sub_nc_u32_e32 v37, 30, v37
	v_lshlrev_b32_e32 v51, v51, v30
	v_lshlrev_b32_e32 v30, 24, v30
	v_cndmask_b32_e32 v37, v50, v37, vcc_lo
	v_and_b32_e32 v51, 3, v51
	v_and_b32_e32 v30, 0x80000000, v30
	v_lshl_add_u32 v37, v37, 23, 0x37800000
	v_cndmask_b32_e32 v36, v36, v51, vcc_lo
	v_lshlrev_b32_e32 v36, 21, v36
	v_or3_b32 v36, v30, v37, v36
.LBB4_7219:                             ;   in Loop: Header=BB4_6741 Depth=3
	s_or_b32 exec_lo, exec_lo, s19
	s_waitcnt vmcnt(3) lgkmcnt(3)
	v_cmp_gt_i16_sdwa s19, v63, v100 src0_sel:BYTE_0 src1_sel:DWORD
	s_mov_b32 s16, 0
	s_and_saveexec_b32 s23, s19
	s_xor_b32 s19, exec_lo, s23
	s_cbranch_execz .LBB4_7373
; %bb.7220:                             ;   in Loop: Header=BB4_6741 Depth=3
	v_cmp_eq_u16_sdwa s72, v63, v101 src0_sel:BYTE_0 src1_sel:DWORD
	s_mov_b32 s16, -1
	s_and_saveexec_b32 s23, s72
; %bb.7221:                             ;   in Loop: Header=BB4_6741 Depth=3
	s_xor_b32 s16, exec_lo, -1
; %bb.7222:                             ;   in Loop: Header=BB4_6741 Depth=3
	s_or_b32 exec_lo, exec_lo, s23
	s_and_b32 s16, s16, exec_lo
	s_or_saveexec_b32 s19, s19
	v_mov_b32_e32 v30, 0x7f800001
	s_xor_b32 exec_lo, exec_lo, s19
	s_cbranch_execnz .LBB4_7374
.LBB4_7223:                             ;   in Loop: Header=BB4_6741 Depth=3
	s_or_b32 exec_lo, exec_lo, s19
	s_and_saveexec_b32 s19, s16
	s_cbranch_execz .LBB4_7225
.LBB4_7224:                             ;   in Loop: Header=BB4_6741 Depth=3
	v_and_b32_e32 v30, 3, v63
	v_lshrrev_b16 v50, 2, v63
	v_lshlrev_b32_e32 v67, 24, v63
	v_ffbh_u32_e32 v37, v30
	v_and_b32_e32 v50, 31, v50
	v_min_u32_e32 v37, 32, v37
	v_cmp_eq_u32_e32 vcc_lo, 0, v50
	v_subrev_nc_u32_e32 v51, 29, v37
	v_sub_nc_u32_e32 v37, 30, v37
	v_lshlrev_b32_e32 v51, v51, v63
	v_cndmask_b32_e32 v37, v50, v37, vcc_lo
	v_and_b32_e32 v50, 0x80000000, v67
	v_and_b32_e32 v51, 3, v51
	v_lshl_add_u32 v37, v37, 23, 0x37800000
	v_cndmask_b32_e32 v30, v30, v51, vcc_lo
	v_lshlrev_b32_e32 v30, 21, v30
	v_or3_b32 v30, v50, v37, v30
.LBB4_7225:                             ;   in Loop: Header=BB4_6741 Depth=3
	s_or_b32 exec_lo, exec_lo, s19
	v_add_f32_e32 v36, v36, v30
	v_and_b32_e32 v30, 0x7f800000, v36
	v_cmp_ne_u32_e32 vcc_lo, 0x7f800000, v30
	v_mov_b32_e32 v30, 0x80
	s_and_saveexec_b32 s19, vcc_lo
	s_cbranch_execz .LBB4_7233
; %bb.7226:                             ;   in Loop: Header=BB4_6741 Depth=3
	v_mov_b32_e32 v30, 0
	s_mov_b32 s23, exec_lo
	v_cmpx_ne_u32_e32 0, v36
	s_cbranch_execz .LBB4_7232
; %bb.7227:                             ;   in Loop: Header=BB4_6741 Depth=3
	v_bfe_u32 v30, v36, 23, 8
	v_and_b32_e32 v37, 0x7fffff, v36
	v_sub_nc_u32_e32 v50, 0x70, v30
	v_cmp_gt_u32_e32 vcc_lo, 0x71, v30
	v_or_b32_e32 v51, 0x800000, v37
	v_cndmask_b32_e32 v50, 0, v50, vcc_lo
	v_cmp_eq_u32_e32 vcc_lo, 0, v30
	v_add_nc_u32_e32 v30, 0xffffff91, v30
	v_cndmask_b32_e64 v50, v50, 0x6f, vcc_lo
	v_cndmask_b32_e32 v37, v51, v37, vcc_lo
	v_cndmask_b32_e64 v30, v30, 0xffffff92, vcc_lo
	v_lshl_add_u32 v51, 0x200000, v50, -1
	v_lshrrev_b32_e32 v67, v50, v37
	v_lshlrev_b32_e64 v97, v50, 0x100000
	v_add_nc_u32_e32 v50, v50, v30
	v_and_b32_e32 v37, v51, v37
	v_bfe_u32 v96, v67, 21, 1
	v_cmp_eq_u32_e64 s16, v37, v97
	v_add_nc_u32_e32 v51, -1, v96
	v_cndmask_b32_e64 v37, 0, v51, s16
	v_lshrrev_b32_e32 v51, 23, v67
	s_mov_b32 s16, exec_lo
	v_add_nc_u32_e32 v37, v37, v67
	v_xor_b32_e32 v51, 1, v51
	v_and_b32_e32 v30, 0x1fffff, v37
	v_add_nc_u32_e32 v37, v30, v67
                                        ; implicit-def: $vgpr30
	v_cmpx_ne_u32_e64 v50, v51
	s_xor_b32 s16, exec_lo, s16
; %bb.7228:                             ;   in Loop: Header=BB4_6741 Depth=3
	v_cmp_lt_u32_e32 vcc_lo, 0xffffff, v37
	v_sub_nc_u32_e32 v30, v50, v51
	v_cndmask_b32_e64 v50, 0, 1, vcc_lo
	v_add_co_ci_u32_e64 v30, null, 0, v30, vcc_lo
	v_lshrrev_b32_e32 v37, v50, v37
; %bb.7229:                             ;   in Loop: Header=BB4_6741 Depth=3
	s_andn2_saveexec_b32 s16, s16
; %bb.7230:                             ;   in Loop: Header=BB4_6741 Depth=3
	v_bfe_u32 v30, v37, 23, 1
; %bb.7231:                             ;   in Loop: Header=BB4_6741 Depth=3
	s_or_b32 exec_lo, exec_lo, s16
	v_lshrrev_b32_e32 v37, 21, v37
	v_cmp_gt_i32_e32 vcc_lo, 32, v30
	v_min_i32_e32 v50, 31, v30
	v_and_b32_sdwa v36, v36, v101 dst_sel:DWORD dst_unused:UNUSED_PAD src0_sel:BYTE_3 src1_sel:DWORD
	v_cndmask_b32_e32 v37, 3, v37, vcc_lo
	v_lshlrev_b32_e32 v50, 2, v50
	v_and_b32_e32 v51, 3, v37
	v_or_b32_e32 v30, v30, v37
	v_or3_b32 v36, v50, v36, v51
	v_cmp_ne_u32_e32 vcc_lo, 0, v30
	v_cndmask_b32_e32 v30, 0, v36, vcc_lo
.LBB4_7232:                             ;   in Loop: Header=BB4_6741 Depth=3
	s_or_b32 exec_lo, exec_lo, s23
.LBB4_7233:                             ;   in Loop: Header=BB4_6741 Depth=3
	s_or_b32 exec_lo, exec_lo, s19
	v_cmp_gt_i16_sdwa s19, v20, v100 src0_sel:BYTE_0 src1_sel:DWORD
	s_mov_b32 s16, 0
	s_and_saveexec_b32 s23, s19
	s_xor_b32 s19, exec_lo, s23
	s_cbranch_execz .LBB4_7375
; %bb.7234:                             ;   in Loop: Header=BB4_6741 Depth=3
	v_cmp_eq_u16_sdwa s72, v20, v101 src0_sel:BYTE_0 src1_sel:DWORD
	s_mov_b32 s16, -1
	s_and_saveexec_b32 s23, s72
; %bb.7235:                             ;   in Loop: Header=BB4_6741 Depth=3
	s_xor_b32 s16, exec_lo, -1
; %bb.7236:                             ;   in Loop: Header=BB4_6741 Depth=3
	s_or_b32 exec_lo, exec_lo, s23
	s_and_b32 s16, s16, exec_lo
	s_or_saveexec_b32 s19, s19
	v_mov_b32_e32 v36, 0x7f800001
	s_xor_b32 exec_lo, exec_lo, s19
	s_cbranch_execnz .LBB4_7376
.LBB4_7237:                             ;   in Loop: Header=BB4_6741 Depth=3
	s_or_b32 exec_lo, exec_lo, s19
	s_and_saveexec_b32 s19, s16
	s_cbranch_execz .LBB4_7239
.LBB4_7238:                             ;   in Loop: Header=BB4_6741 Depth=3
	v_and_b32_e32 v36, 3, v20
	v_lshrrev_b16 v50, 2, v20
	v_ffbh_u32_e32 v37, v36
	v_and_b32_e32 v50, 31, v50
	v_min_u32_e32 v37, 32, v37
	v_cmp_eq_u32_e32 vcc_lo, 0, v50
	v_subrev_nc_u32_e32 v51, 29, v37
	v_sub_nc_u32_e32 v37, 30, v37
	v_lshlrev_b32_e32 v51, v51, v20
	v_lshlrev_b32_e32 v20, 24, v20
	v_cndmask_b32_e32 v37, v50, v37, vcc_lo
	v_and_b32_e32 v51, 3, v51
	v_and_b32_e32 v20, 0x80000000, v20
	v_lshl_add_u32 v37, v37, 23, 0x37800000
	v_cndmask_b32_e32 v36, v36, v51, vcc_lo
	v_lshlrev_b32_e32 v36, 21, v36
	v_or3_b32 v36, v20, v37, v36
.LBB4_7239:                             ;   in Loop: Header=BB4_6741 Depth=3
	s_or_b32 exec_lo, exec_lo, s19
	s_waitcnt vmcnt(2) lgkmcnt(2)
	v_cmp_gt_i16_sdwa s19, v82, v100 src0_sel:BYTE_0 src1_sel:DWORD
	s_mov_b32 s16, 0
	s_and_saveexec_b32 s23, s19
	s_xor_b32 s19, exec_lo, s23
	s_cbranch_execz .LBB4_7377
; %bb.7240:                             ;   in Loop: Header=BB4_6741 Depth=3
	v_cmp_eq_u16_sdwa s72, v82, v101 src0_sel:BYTE_0 src1_sel:DWORD
	s_mov_b32 s16, -1
	s_and_saveexec_b32 s23, s72
; %bb.7241:                             ;   in Loop: Header=BB4_6741 Depth=3
	s_xor_b32 s16, exec_lo, -1
; %bb.7242:                             ;   in Loop: Header=BB4_6741 Depth=3
	s_or_b32 exec_lo, exec_lo, s23
	s_and_b32 s16, s16, exec_lo
	s_or_saveexec_b32 s19, s19
	v_mov_b32_e32 v20, 0x7f800001
	s_xor_b32 exec_lo, exec_lo, s19
	s_cbranch_execnz .LBB4_7378
.LBB4_7243:                             ;   in Loop: Header=BB4_6741 Depth=3
	s_or_b32 exec_lo, exec_lo, s19
	s_and_saveexec_b32 s19, s16
	s_cbranch_execz .LBB4_7245
.LBB4_7244:                             ;   in Loop: Header=BB4_6741 Depth=3
	v_and_b32_e32 v20, 3, v82
	v_lshrrev_b16 v50, 2, v82
	v_lshlrev_b32_e32 v67, 24, v82
	v_ffbh_u32_e32 v37, v20
	v_and_b32_e32 v50, 31, v50
	v_min_u32_e32 v37, 32, v37
	v_cmp_eq_u32_e32 vcc_lo, 0, v50
	v_subrev_nc_u32_e32 v51, 29, v37
	v_sub_nc_u32_e32 v37, 30, v37
	v_lshlrev_b32_e32 v51, v51, v82
	v_cndmask_b32_e32 v37, v50, v37, vcc_lo
	v_and_b32_e32 v50, 0x80000000, v67
	v_and_b32_e32 v51, 3, v51
	v_lshl_add_u32 v37, v37, 23, 0x37800000
	v_cndmask_b32_e32 v20, v20, v51, vcc_lo
	v_lshlrev_b32_e32 v20, 21, v20
	v_or3_b32 v20, v50, v37, v20
.LBB4_7245:                             ;   in Loop: Header=BB4_6741 Depth=3
	s_or_b32 exec_lo, exec_lo, s19
	v_add_f32_e32 v36, v36, v20
	v_and_b32_e32 v20, 0x7f800000, v36
	v_cmp_ne_u32_e32 vcc_lo, 0x7f800000, v20
	v_mov_b32_e32 v20, 0x80
	s_and_saveexec_b32 s19, vcc_lo
	s_cbranch_execz .LBB4_7253
; %bb.7246:                             ;   in Loop: Header=BB4_6741 Depth=3
	v_mov_b32_e32 v20, 0
	s_mov_b32 s23, exec_lo
	v_cmpx_ne_u32_e32 0, v36
	s_cbranch_execz .LBB4_7252
; %bb.7247:                             ;   in Loop: Header=BB4_6741 Depth=3
	v_bfe_u32 v20, v36, 23, 8
	v_and_b32_e32 v37, 0x7fffff, v36
	v_sub_nc_u32_e32 v50, 0x70, v20
	v_cmp_gt_u32_e32 vcc_lo, 0x71, v20
	v_or_b32_e32 v51, 0x800000, v37
	v_cndmask_b32_e32 v50, 0, v50, vcc_lo
	v_cmp_eq_u32_e32 vcc_lo, 0, v20
	v_add_nc_u32_e32 v20, 0xffffff91, v20
	v_cndmask_b32_e64 v50, v50, 0x6f, vcc_lo
	v_cndmask_b32_e32 v37, v51, v37, vcc_lo
	v_cndmask_b32_e64 v20, v20, 0xffffff92, vcc_lo
	v_lshl_add_u32 v51, 0x200000, v50, -1
	v_lshrrev_b32_e32 v67, v50, v37
	v_lshlrev_b32_e64 v96, v50, 0x100000
	v_add_nc_u32_e32 v50, v50, v20
	v_and_b32_e32 v37, v51, v37
	v_bfe_u32 v82, v67, 21, 1
	v_cmp_eq_u32_e64 s16, v37, v96
	v_add_nc_u32_e32 v51, -1, v82
	v_cndmask_b32_e64 v37, 0, v51, s16
	v_lshrrev_b32_e32 v51, 23, v67
	s_mov_b32 s16, exec_lo
	v_add_nc_u32_e32 v37, v37, v67
	v_xor_b32_e32 v51, 1, v51
	v_and_b32_e32 v20, 0x1fffff, v37
	v_add_nc_u32_e32 v37, v20, v67
                                        ; implicit-def: $vgpr20
	v_cmpx_ne_u32_e64 v50, v51
	s_xor_b32 s16, exec_lo, s16
; %bb.7248:                             ;   in Loop: Header=BB4_6741 Depth=3
	v_cmp_lt_u32_e32 vcc_lo, 0xffffff, v37
	v_sub_nc_u32_e32 v20, v50, v51
	v_cndmask_b32_e64 v50, 0, 1, vcc_lo
	v_add_co_ci_u32_e64 v20, null, 0, v20, vcc_lo
	v_lshrrev_b32_e32 v37, v50, v37
; %bb.7249:                             ;   in Loop: Header=BB4_6741 Depth=3
	s_andn2_saveexec_b32 s16, s16
; %bb.7250:                             ;   in Loop: Header=BB4_6741 Depth=3
	v_bfe_u32 v20, v37, 23, 1
; %bb.7251:                             ;   in Loop: Header=BB4_6741 Depth=3
	s_or_b32 exec_lo, exec_lo, s16
	v_lshrrev_b32_e32 v37, 21, v37
	v_cmp_gt_i32_e32 vcc_lo, 32, v20
	v_min_i32_e32 v50, 31, v20
	v_and_b32_sdwa v36, v36, v101 dst_sel:DWORD dst_unused:UNUSED_PAD src0_sel:BYTE_3 src1_sel:DWORD
	v_cndmask_b32_e32 v37, 3, v37, vcc_lo
	v_lshlrev_b32_e32 v50, 2, v50
	v_and_b32_e32 v51, 3, v37
	v_or_b32_e32 v20, v20, v37
	v_or3_b32 v36, v50, v36, v51
	v_cmp_ne_u32_e32 vcc_lo, 0, v20
	v_cndmask_b32_e32 v20, 0, v36, vcc_lo
.LBB4_7252:                             ;   in Loop: Header=BB4_6741 Depth=3
	s_or_b32 exec_lo, exec_lo, s23
.LBB4_7253:                             ;   in Loop: Header=BB4_6741 Depth=3
	s_or_b32 exec_lo, exec_lo, s19
	v_cmp_gt_i16_sdwa s19, v18, v100 src0_sel:BYTE_0 src1_sel:DWORD
	s_mov_b32 s16, 0
	s_and_saveexec_b32 s23, s19
	s_xor_b32 s19, exec_lo, s23
	s_cbranch_execz .LBB4_7379
; %bb.7254:                             ;   in Loop: Header=BB4_6741 Depth=3
	v_cmp_eq_u16_sdwa s72, v18, v101 src0_sel:BYTE_0 src1_sel:DWORD
	s_mov_b32 s16, -1
	s_and_saveexec_b32 s23, s72
; %bb.7255:                             ;   in Loop: Header=BB4_6741 Depth=3
	s_xor_b32 s16, exec_lo, -1
; %bb.7256:                             ;   in Loop: Header=BB4_6741 Depth=3
	s_or_b32 exec_lo, exec_lo, s23
	s_and_b32 s16, s16, exec_lo
	s_or_saveexec_b32 s19, s19
	v_mov_b32_e32 v36, 0x7f800001
	s_xor_b32 exec_lo, exec_lo, s19
	s_cbranch_execnz .LBB4_7380
.LBB4_7257:                             ;   in Loop: Header=BB4_6741 Depth=3
	s_or_b32 exec_lo, exec_lo, s19
	s_and_saveexec_b32 s19, s16
	s_cbranch_execz .LBB4_7259
.LBB4_7258:                             ;   in Loop: Header=BB4_6741 Depth=3
	v_and_b32_e32 v36, 3, v18
	v_lshrrev_b16 v50, 2, v18
	v_ffbh_u32_e32 v37, v36
	v_and_b32_e32 v50, 31, v50
	v_min_u32_e32 v37, 32, v37
	v_cmp_eq_u32_e32 vcc_lo, 0, v50
	v_subrev_nc_u32_e32 v51, 29, v37
	v_sub_nc_u32_e32 v37, 30, v37
	v_lshlrev_b32_e32 v51, v51, v18
	v_lshlrev_b32_e32 v18, 24, v18
	v_cndmask_b32_e32 v37, v50, v37, vcc_lo
	v_and_b32_e32 v51, 3, v51
	v_and_b32_e32 v18, 0x80000000, v18
	v_lshl_add_u32 v37, v37, 23, 0x37800000
	v_cndmask_b32_e32 v36, v36, v51, vcc_lo
	v_lshlrev_b32_e32 v36, 21, v36
	v_or3_b32 v36, v18, v37, v36
.LBB4_7259:                             ;   in Loop: Header=BB4_6741 Depth=3
	s_or_b32 exec_lo, exec_lo, s19
	s_waitcnt vmcnt(1) lgkmcnt(1)
	v_cmp_gt_i16_sdwa s19, v21, v100 src0_sel:BYTE_0 src1_sel:DWORD
	s_mov_b32 s16, 0
	s_and_saveexec_b32 s23, s19
	s_xor_b32 s19, exec_lo, s23
	s_cbranch_execz .LBB4_7381
; %bb.7260:                             ;   in Loop: Header=BB4_6741 Depth=3
	v_cmp_eq_u16_sdwa s72, v21, v101 src0_sel:BYTE_0 src1_sel:DWORD
	s_mov_b32 s16, -1
	s_and_saveexec_b32 s23, s72
; %bb.7261:                             ;   in Loop: Header=BB4_6741 Depth=3
	s_xor_b32 s16, exec_lo, -1
; %bb.7262:                             ;   in Loop: Header=BB4_6741 Depth=3
	s_or_b32 exec_lo, exec_lo, s23
	s_and_b32 s16, s16, exec_lo
	s_or_saveexec_b32 s19, s19
	v_mov_b32_e32 v18, 0x7f800001
	s_xor_b32 exec_lo, exec_lo, s19
	s_cbranch_execnz .LBB4_7382
.LBB4_7263:                             ;   in Loop: Header=BB4_6741 Depth=3
	s_or_b32 exec_lo, exec_lo, s19
	s_and_saveexec_b32 s19, s16
	s_cbranch_execz .LBB4_7265
.LBB4_7264:                             ;   in Loop: Header=BB4_6741 Depth=3
	v_and_b32_e32 v18, 3, v21
	v_lshrrev_b16 v50, 2, v21
	v_ffbh_u32_e32 v37, v18
	v_and_b32_e32 v50, 31, v50
	v_min_u32_e32 v37, 32, v37
	v_cmp_eq_u32_e32 vcc_lo, 0, v50
	v_subrev_nc_u32_e32 v51, 29, v37
	v_sub_nc_u32_e32 v37, 30, v37
	v_lshlrev_b32_e32 v51, v51, v21
	v_lshlrev_b32_e32 v21, 24, v21
	v_cndmask_b32_e32 v37, v50, v37, vcc_lo
	v_and_b32_e32 v51, 3, v51
	v_and_b32_e32 v21, 0x80000000, v21
	v_lshl_add_u32 v37, v37, 23, 0x37800000
	v_cndmask_b32_e32 v18, v18, v51, vcc_lo
	v_lshlrev_b32_e32 v18, 21, v18
	v_or3_b32 v18, v21, v37, v18
.LBB4_7265:                             ;   in Loop: Header=BB4_6741 Depth=3
	s_or_b32 exec_lo, exec_lo, s19
	v_add_f32_e32 v21, v36, v18
	v_and_b32_e32 v18, 0x7f800000, v21
	v_cmp_ne_u32_e32 vcc_lo, 0x7f800000, v18
	v_mov_b32_e32 v18, 0x80
	s_and_saveexec_b32 s19, vcc_lo
	s_cbranch_execz .LBB4_7273
; %bb.7266:                             ;   in Loop: Header=BB4_6741 Depth=3
	v_mov_b32_e32 v18, 0
	s_mov_b32 s23, exec_lo
	v_cmpx_ne_u32_e32 0, v21
	s_cbranch_execz .LBB4_7272
; %bb.7267:                             ;   in Loop: Header=BB4_6741 Depth=3
	v_bfe_u32 v18, v21, 23, 8
	v_and_b32_e32 v36, 0x7fffff, v21
	v_sub_nc_u32_e32 v37, 0x70, v18
	v_cmp_gt_u32_e32 vcc_lo, 0x71, v18
	v_or_b32_e32 v50, 0x800000, v36
	v_cndmask_b32_e32 v37, 0, v37, vcc_lo
	v_cmp_eq_u32_e32 vcc_lo, 0, v18
	v_add_nc_u32_e32 v18, 0xffffff91, v18
	v_cndmask_b32_e64 v37, v37, 0x6f, vcc_lo
	v_cndmask_b32_e32 v36, v50, v36, vcc_lo
	v_cndmask_b32_e64 v18, v18, 0xffffff92, vcc_lo
	v_lshl_add_u32 v50, 0x200000, v37, -1
	v_lshrrev_b32_e32 v51, v37, v36
	v_lshlrev_b32_e64 v82, v37, 0x100000
	v_add_nc_u32_e32 v37, v37, v18
	v_and_b32_e32 v36, v50, v36
	v_bfe_u32 v67, v51, 21, 1
	v_cmp_eq_u32_e64 s16, v36, v82
	v_add_nc_u32_e32 v50, -1, v67
	v_cndmask_b32_e64 v36, 0, v50, s16
	v_lshrrev_b32_e32 v50, 23, v51
	s_mov_b32 s16, exec_lo
	v_add_nc_u32_e32 v36, v36, v51
	v_xor_b32_e32 v50, 1, v50
	v_and_b32_e32 v18, 0x1fffff, v36
	v_add_nc_u32_e32 v36, v18, v51
                                        ; implicit-def: $vgpr18
	v_cmpx_ne_u32_e64 v37, v50
	s_xor_b32 s16, exec_lo, s16
; %bb.7268:                             ;   in Loop: Header=BB4_6741 Depth=3
	v_cmp_lt_u32_e32 vcc_lo, 0xffffff, v36
	v_sub_nc_u32_e32 v18, v37, v50
	v_cndmask_b32_e64 v37, 0, 1, vcc_lo
	v_add_co_ci_u32_e64 v18, null, 0, v18, vcc_lo
	v_lshrrev_b32_e32 v36, v37, v36
; %bb.7269:                             ;   in Loop: Header=BB4_6741 Depth=3
	s_andn2_saveexec_b32 s16, s16
; %bb.7270:                             ;   in Loop: Header=BB4_6741 Depth=3
	v_bfe_u32 v18, v36, 23, 1
; %bb.7271:                             ;   in Loop: Header=BB4_6741 Depth=3
	s_or_b32 exec_lo, exec_lo, s16
	v_lshrrev_b32_e32 v36, 21, v36
	v_cmp_gt_i32_e32 vcc_lo, 32, v18
	v_min_i32_e32 v37, 31, v18
	v_and_b32_sdwa v21, v21, v101 dst_sel:DWORD dst_unused:UNUSED_PAD src0_sel:BYTE_3 src1_sel:DWORD
	v_cndmask_b32_e32 v36, 3, v36, vcc_lo
	v_lshlrev_b32_e32 v37, 2, v37
	v_and_b32_e32 v50, 3, v36
	v_or_b32_e32 v18, v18, v36
	v_or3_b32 v21, v37, v21, v50
	v_cmp_ne_u32_e32 vcc_lo, 0, v18
	v_cndmask_b32_e32 v18, 0, v21, vcc_lo
.LBB4_7272:                             ;   in Loop: Header=BB4_6741 Depth=3
	s_or_b32 exec_lo, exec_lo, s23
.LBB4_7273:                             ;   in Loop: Header=BB4_6741 Depth=3
	s_or_b32 exec_lo, exec_lo, s19
	v_cmp_gt_i16_sdwa s19, v17, v100 src0_sel:BYTE_0 src1_sel:DWORD
	s_mov_b32 s16, 0
	s_and_saveexec_b32 s23, s19
	s_xor_b32 s19, exec_lo, s23
	s_cbranch_execz .LBB4_7383
; %bb.7274:                             ;   in Loop: Header=BB4_6741 Depth=3
	v_cmp_eq_u16_sdwa s72, v17, v101 src0_sel:BYTE_0 src1_sel:DWORD
	s_mov_b32 s16, -1
	s_and_saveexec_b32 s23, s72
; %bb.7275:                             ;   in Loop: Header=BB4_6741 Depth=3
	s_xor_b32 s16, exec_lo, -1
; %bb.7276:                             ;   in Loop: Header=BB4_6741 Depth=3
	s_or_b32 exec_lo, exec_lo, s23
	s_and_b32 s16, s16, exec_lo
	s_or_saveexec_b32 s19, s19
	v_mov_b32_e32 v21, 0x7f800001
	s_xor_b32 exec_lo, exec_lo, s19
	s_cbranch_execnz .LBB4_7384
.LBB4_7277:                             ;   in Loop: Header=BB4_6741 Depth=3
	s_or_b32 exec_lo, exec_lo, s19
	s_and_saveexec_b32 s19, s16
	s_cbranch_execz .LBB4_7279
.LBB4_7278:                             ;   in Loop: Header=BB4_6741 Depth=3
	v_and_b32_e32 v21, 3, v17
	v_lshrrev_b16 v37, 2, v17
	v_ffbh_u32_e32 v36, v21
	v_and_b32_e32 v37, 31, v37
	v_min_u32_e32 v36, 32, v36
	v_cmp_eq_u32_e32 vcc_lo, 0, v37
	v_subrev_nc_u32_e32 v50, 29, v36
	v_sub_nc_u32_e32 v36, 30, v36
	v_lshlrev_b32_e32 v50, v50, v17
	v_lshlrev_b32_e32 v17, 24, v17
	v_cndmask_b32_e32 v36, v37, v36, vcc_lo
	v_and_b32_e32 v50, 3, v50
	v_and_b32_e32 v17, 0x80000000, v17
	v_lshl_add_u32 v36, v36, 23, 0x37800000
	v_cndmask_b32_e32 v21, v21, v50, vcc_lo
	v_lshlrev_b32_e32 v21, 21, v21
	v_or3_b32 v21, v17, v36, v21
.LBB4_7279:                             ;   in Loop: Header=BB4_6741 Depth=3
	s_or_b32 exec_lo, exec_lo, s19
	s_waitcnt vmcnt(0) lgkmcnt(0)
	v_cmp_gt_i16_sdwa s19, v16, v100 src0_sel:BYTE_0 src1_sel:DWORD
	s_mov_b32 s16, 0
	s_and_saveexec_b32 s23, s19
	s_xor_b32 s19, exec_lo, s23
	s_cbranch_execz .LBB4_7385
; %bb.7280:                             ;   in Loop: Header=BB4_6741 Depth=3
	v_cmp_eq_u16_sdwa s72, v16, v101 src0_sel:BYTE_0 src1_sel:DWORD
	s_mov_b32 s16, -1
	s_and_saveexec_b32 s23, s72
; %bb.7281:                             ;   in Loop: Header=BB4_6741 Depth=3
	s_xor_b32 s16, exec_lo, -1
; %bb.7282:                             ;   in Loop: Header=BB4_6741 Depth=3
	s_or_b32 exec_lo, exec_lo, s23
	s_and_b32 s16, s16, exec_lo
	s_or_saveexec_b32 s19, s19
	v_mov_b32_e32 v17, 0x7f800001
	s_xor_b32 exec_lo, exec_lo, s19
	s_cbranch_execnz .LBB4_7386
.LBB4_7283:                             ;   in Loop: Header=BB4_6741 Depth=3
	s_or_b32 exec_lo, exec_lo, s19
	s_and_saveexec_b32 s19, s16
	s_cbranch_execz .LBB4_7285
.LBB4_7284:                             ;   in Loop: Header=BB4_6741 Depth=3
	v_and_b32_e32 v17, 3, v16
	v_lshrrev_b16 v37, 2, v16
	v_ffbh_u32_e32 v36, v17
	v_and_b32_e32 v37, 31, v37
	v_min_u32_e32 v36, 32, v36
	v_cmp_eq_u32_e32 vcc_lo, 0, v37
	v_subrev_nc_u32_e32 v50, 29, v36
	v_sub_nc_u32_e32 v36, 30, v36
	v_lshlrev_b32_e32 v50, v50, v16
	v_lshlrev_b32_e32 v16, 24, v16
	v_cndmask_b32_e32 v36, v37, v36, vcc_lo
	v_and_b32_e32 v50, 3, v50
	v_and_b32_e32 v16, 0x80000000, v16
	v_lshl_add_u32 v36, v36, 23, 0x37800000
	v_cndmask_b32_e32 v17, v17, v50, vcc_lo
	v_lshlrev_b32_e32 v17, 21, v17
	v_or3_b32 v17, v16, v36, v17
.LBB4_7285:                             ;   in Loop: Header=BB4_6741 Depth=3
	s_or_b32 exec_lo, exec_lo, s19
	v_add_f32_e32 v16, v21, v17
	v_and_b32_e32 v17, 0x7f800000, v16
	v_cmp_ne_u32_e32 vcc_lo, 0x7f800000, v17
	v_mov_b32_e32 v17, 0x80
	s_and_saveexec_b32 s19, vcc_lo
	s_cbranch_execz .LBB4_6740
; %bb.7286:                             ;   in Loop: Header=BB4_6741 Depth=3
	v_mov_b32_e32 v17, 0
	s_mov_b32 s23, exec_lo
	v_cmpx_ne_u32_e32 0, v16
	s_cbranch_execz .LBB4_6739
; %bb.7287:                             ;   in Loop: Header=BB4_6741 Depth=3
	v_bfe_u32 v17, v16, 23, 8
	v_and_b32_e32 v21, 0x7fffff, v16
	v_sub_nc_u32_e32 v36, 0x70, v17
	v_cmp_gt_u32_e32 vcc_lo, 0x71, v17
	v_or_b32_e32 v37, 0x800000, v21
	v_cndmask_b32_e32 v36, 0, v36, vcc_lo
	v_cmp_eq_u32_e32 vcc_lo, 0, v17
	v_add_nc_u32_e32 v17, 0xffffff91, v17
	v_cndmask_b32_e64 v36, v36, 0x6f, vcc_lo
	v_cndmask_b32_e32 v21, v37, v21, vcc_lo
	v_cndmask_b32_e64 v17, v17, 0xffffff92, vcc_lo
	v_lshl_add_u32 v37, 0x200000, v36, -1
	v_lshrrev_b32_e32 v50, v36, v21
	v_lshlrev_b32_e64 v67, v36, 0x100000
	v_add_nc_u32_e32 v36, v36, v17
	v_and_b32_e32 v21, v37, v21
	v_bfe_u32 v51, v50, 21, 1
	v_cmp_eq_u32_e64 s16, v21, v67
	v_add_nc_u32_e32 v37, -1, v51
	v_cndmask_b32_e64 v21, 0, v37, s16
	v_lshrrev_b32_e32 v37, 23, v50
	s_mov_b32 s16, exec_lo
	v_add_nc_u32_e32 v21, v21, v50
	v_xor_b32_e32 v37, 1, v37
	v_and_b32_e32 v17, 0x1fffff, v21
	v_add_nc_u32_e32 v21, v17, v50
                                        ; implicit-def: $vgpr17
	v_cmpx_ne_u32_e64 v36, v37
	s_xor_b32 s16, exec_lo, s16
; %bb.7288:                             ;   in Loop: Header=BB4_6741 Depth=3
	v_cmp_lt_u32_e32 vcc_lo, 0xffffff, v21
	v_sub_nc_u32_e32 v17, v36, v37
	v_cndmask_b32_e64 v36, 0, 1, vcc_lo
	v_add_co_ci_u32_e64 v17, null, 0, v17, vcc_lo
	v_lshrrev_b32_e32 v21, v36, v21
; %bb.7289:                             ;   in Loop: Header=BB4_6741 Depth=3
	s_andn2_saveexec_b32 s16, s16
	s_cbranch_execz .LBB4_6738
; %bb.7290:                             ;   in Loop: Header=BB4_6741 Depth=3
	v_bfe_u32 v17, v21, 23, 1
	s_branch .LBB4_6738
.LBB4_7291:                             ;   in Loop: Header=BB4_6741 Depth=3
	s_or_saveexec_b32 s19, s19
	v_mov_b32_e32 v4, 0x7f800001
	s_xor_b32 exec_lo, exec_lo, s19
	s_cbranch_execz .LBB4_6753
.LBB4_7292:                             ;   in Loop: Header=BB4_6741 Depth=3
	v_cmp_ne_u16_e32 vcc_lo, 0, v1
	v_mov_b32_e32 v4, 0
	s_andn2_b32 s16, s16, exec_lo
	s_and_b32 s23, vcc_lo, exec_lo
	s_or_b32 s16, s16, s23
	s_or_b32 exec_lo, exec_lo, s19
	s_and_saveexec_b32 s19, s16
	s_cbranch_execnz .LBB4_6754
	s_branch .LBB4_6755
.LBB4_7293:                             ;   in Loop: Header=BB4_6741 Depth=3
	s_or_saveexec_b32 s19, s19
	v_mov_b32_e32 v4, 0x7f800001
	s_xor_b32 exec_lo, exec_lo, s19
	s_cbranch_execz .LBB4_6767
.LBB4_7294:                             ;   in Loop: Header=BB4_6741 Depth=3
	v_cmp_ne_u16_e32 vcc_lo, 0, v1
	v_mov_b32_e32 v4, 0
	s_andn2_b32 s16, s16, exec_lo
	s_and_b32 s23, vcc_lo, exec_lo
	s_or_b32 s16, s16, s23
	s_or_b32 exec_lo, exec_lo, s19
	s_and_saveexec_b32 s19, s16
	s_cbranch_execnz .LBB4_6768
	s_branch .LBB4_6769
.LBB4_7295:                             ;   in Loop: Header=BB4_6741 Depth=3
	s_or_saveexec_b32 s19, s19
	v_mov_b32_e32 v4, 0x7f800001
	s_xor_b32 exec_lo, exec_lo, s19
	s_cbranch_execz .LBB4_6781
.LBB4_7296:                             ;   in Loop: Header=BB4_6741 Depth=3
	v_cmp_ne_u16_e32 vcc_lo, 0, v1
	v_mov_b32_e32 v4, 0
	s_andn2_b32 s16, s16, exec_lo
	s_and_b32 s23, vcc_lo, exec_lo
	s_or_b32 s16, s16, s23
	s_or_b32 exec_lo, exec_lo, s19
	s_and_saveexec_b32 s19, s16
	s_cbranch_execnz .LBB4_6782
	s_branch .LBB4_6783
.LBB4_7297:                             ;   in Loop: Header=BB4_6741 Depth=3
	s_or_saveexec_b32 s19, s19
	v_mov_b32_e32 v4, 0x7f800001
	s_xor_b32 exec_lo, exec_lo, s19
	s_cbranch_execz .LBB4_6795
.LBB4_7298:                             ;   in Loop: Header=BB4_6741 Depth=3
	v_cmp_ne_u16_e32 vcc_lo, 0, v1
	v_mov_b32_e32 v4, 0
	s_andn2_b32 s16, s16, exec_lo
	s_and_b32 s23, vcc_lo, exec_lo
	s_or_b32 s16, s16, s23
	s_or_b32 exec_lo, exec_lo, s19
	s_and_saveexec_b32 s19, s16
	s_cbranch_execnz .LBB4_6796
	s_branch .LBB4_6797
.LBB4_7299:                             ;   in Loop: Header=BB4_6741 Depth=3
	s_or_saveexec_b32 s19, s19
	v_mov_b32_e32 v4, 0x7f800001
	s_xor_b32 exec_lo, exec_lo, s19
	s_cbranch_execz .LBB4_6809
.LBB4_7300:                             ;   in Loop: Header=BB4_6741 Depth=3
	v_cmp_ne_u16_e32 vcc_lo, 0, v1
	v_mov_b32_e32 v4, 0
	s_andn2_b32 s16, s16, exec_lo
	s_and_b32 s23, vcc_lo, exec_lo
	s_or_b32 s16, s16, s23
	s_or_b32 exec_lo, exec_lo, s19
	s_and_saveexec_b32 s19, s16
	s_cbranch_execnz .LBB4_6810
	s_branch .LBB4_6811
.LBB4_7301:                             ;   in Loop: Header=BB4_6741 Depth=3
	s_or_saveexec_b32 s19, s19
	v_mov_b32_e32 v4, 0x7f800001
	s_xor_b32 exec_lo, exec_lo, s19
	s_cbranch_execz .LBB4_6823
.LBB4_7302:                             ;   in Loop: Header=BB4_6741 Depth=3
	v_cmp_ne_u16_e32 vcc_lo, 0, v1
	v_mov_b32_e32 v4, 0
	s_andn2_b32 s16, s16, exec_lo
	s_and_b32 s23, vcc_lo, exec_lo
	s_or_b32 s16, s16, s23
	s_or_b32 exec_lo, exec_lo, s19
	s_and_saveexec_b32 s19, s16
	s_cbranch_execnz .LBB4_6824
	s_branch .LBB4_6825
.LBB4_7303:                             ;   in Loop: Header=BB4_6741 Depth=3
	s_or_saveexec_b32 s19, s19
	v_mov_b32_e32 v4, 0x7f800001
	s_xor_b32 exec_lo, exec_lo, s19
	s_cbranch_execz .LBB4_6837
.LBB4_7304:                             ;   in Loop: Header=BB4_6741 Depth=3
	v_cmp_ne_u16_e32 vcc_lo, 0, v1
	v_mov_b32_e32 v4, 0
	s_andn2_b32 s16, s16, exec_lo
	s_and_b32 s23, vcc_lo, exec_lo
	s_or_b32 s16, s16, s23
	s_or_b32 exec_lo, exec_lo, s19
	s_and_saveexec_b32 s19, s16
	s_cbranch_execnz .LBB4_6838
	s_branch .LBB4_6839
.LBB4_7305:                             ;   in Loop: Header=BB4_6741 Depth=3
	s_or_saveexec_b32 s19, s19
	v_mov_b32_e32 v4, 0x7f800001
	s_xor_b32 exec_lo, exec_lo, s19
	s_cbranch_execz .LBB4_6851
.LBB4_7306:                             ;   in Loop: Header=BB4_6741 Depth=3
	v_cmp_ne_u16_e32 vcc_lo, 0, v1
	v_mov_b32_e32 v4, 0
	s_andn2_b32 s16, s16, exec_lo
	s_and_b32 s23, vcc_lo, exec_lo
	s_or_b32 s16, s16, s23
	s_or_b32 exec_lo, exec_lo, s19
	s_and_saveexec_b32 s19, s16
	s_cbranch_execnz .LBB4_6852
	s_branch .LBB4_6853
.LBB4_7307:                             ;   in Loop: Header=BB4_6741 Depth=3
	s_or_saveexec_b32 s19, s19
	v_mov_b32_e32 v4, 0x7f800001
	s_xor_b32 exec_lo, exec_lo, s19
	s_cbranch_execz .LBB4_6865
.LBB4_7308:                             ;   in Loop: Header=BB4_6741 Depth=3
	v_cmp_ne_u16_e32 vcc_lo, 0, v1
	v_mov_b32_e32 v4, 0
	s_andn2_b32 s16, s16, exec_lo
	s_and_b32 s23, vcc_lo, exec_lo
	s_or_b32 s16, s16, s23
	s_or_b32 exec_lo, exec_lo, s19
	s_and_saveexec_b32 s19, s16
	s_cbranch_execnz .LBB4_6866
	s_branch .LBB4_6867
.LBB4_7309:                             ;   in Loop: Header=BB4_6741 Depth=3
	s_or_saveexec_b32 s19, s19
	v_mov_b32_e32 v17, 0x7f800001
	s_xor_b32 exec_lo, exec_lo, s19
	s_cbranch_execz .LBB4_6879
.LBB4_7310:                             ;   in Loop: Header=BB4_6741 Depth=3
	v_cmp_ne_u16_e32 vcc_lo, 0, v1
	v_mov_b32_e32 v17, 0
	s_andn2_b32 s16, s16, exec_lo
	s_and_b32 s23, vcc_lo, exec_lo
	s_or_b32 s16, s16, s23
	s_or_b32 exec_lo, exec_lo, s19
	s_and_saveexec_b32 s19, s16
	s_cbranch_execnz .LBB4_6880
	s_branch .LBB4_6881
.LBB4_7311:                             ;   in Loop: Header=BB4_6741 Depth=3
	s_or_saveexec_b32 s19, s19
	v_mov_b32_e32 v17, 0x7f800001
	s_xor_b32 exec_lo, exec_lo, s19
	s_cbranch_execz .LBB4_6893
.LBB4_7312:                             ;   in Loop: Header=BB4_6741 Depth=3
	v_cmp_ne_u16_e32 vcc_lo, 0, v1
	v_mov_b32_e32 v17, 0
	s_andn2_b32 s16, s16, exec_lo
	s_and_b32 s23, vcc_lo, exec_lo
	s_or_b32 s16, s16, s23
	s_or_b32 exec_lo, exec_lo, s19
	s_and_saveexec_b32 s19, s16
	s_cbranch_execnz .LBB4_6894
	s_branch .LBB4_6895
.LBB4_7313:                             ;   in Loop: Header=BB4_6741 Depth=3
	s_or_saveexec_b32 s19, s19
	v_mov_b32_e32 v17, 0x7f800001
	s_xor_b32 exec_lo, exec_lo, s19
	s_cbranch_execz .LBB4_6907
.LBB4_7314:                             ;   in Loop: Header=BB4_6741 Depth=3
	v_cmp_ne_u16_e32 vcc_lo, 0, v1
	v_mov_b32_e32 v17, 0
	s_andn2_b32 s16, s16, exec_lo
	s_and_b32 s23, vcc_lo, exec_lo
	s_or_b32 s16, s16, s23
	s_or_b32 exec_lo, exec_lo, s19
	s_and_saveexec_b32 s19, s16
	s_cbranch_execnz .LBB4_6908
	s_branch .LBB4_6909
.LBB4_7315:                             ;   in Loop: Header=BB4_6741 Depth=3
	s_or_saveexec_b32 s19, s19
	v_mov_b32_e32 v17, 0x7f800001
	s_xor_b32 exec_lo, exec_lo, s19
	s_cbranch_execz .LBB4_6921
.LBB4_7316:                             ;   in Loop: Header=BB4_6741 Depth=3
	v_cmp_ne_u16_e32 vcc_lo, 0, v1
	v_mov_b32_e32 v17, 0
	s_andn2_b32 s16, s16, exec_lo
	s_and_b32 s23, vcc_lo, exec_lo
	s_or_b32 s16, s16, s23
	s_or_b32 exec_lo, exec_lo, s19
	s_and_saveexec_b32 s19, s16
	s_cbranch_execnz .LBB4_6922
	s_branch .LBB4_6923
.LBB4_7317:                             ;   in Loop: Header=BB4_6741 Depth=3
	s_or_saveexec_b32 s19, s19
	v_mov_b32_e32 v17, 0x7f800001
	s_xor_b32 exec_lo, exec_lo, s19
	s_cbranch_execz .LBB4_6935
.LBB4_7318:                             ;   in Loop: Header=BB4_6741 Depth=3
	v_cmp_ne_u16_e32 vcc_lo, 0, v1
	v_mov_b32_e32 v17, 0
	s_andn2_b32 s16, s16, exec_lo
	s_and_b32 s23, vcc_lo, exec_lo
	s_or_b32 s16, s16, s23
	s_or_b32 exec_lo, exec_lo, s19
	s_and_saveexec_b32 s19, s16
	s_cbranch_execnz .LBB4_6936
	s_branch .LBB4_6937
.LBB4_7319:                             ;   in Loop: Header=BB4_6741 Depth=3
	s_or_saveexec_b32 s19, s19
	v_mov_b32_e32 v17, 0x7f800001
	s_xor_b32 exec_lo, exec_lo, s19
	s_cbranch_execz .LBB4_6949
.LBB4_7320:                             ;   in Loop: Header=BB4_6741 Depth=3
	v_cmp_ne_u16_e32 vcc_lo, 0, v1
	v_mov_b32_e32 v17, 0
	s_andn2_b32 s16, s16, exec_lo
	s_and_b32 s23, vcc_lo, exec_lo
	s_or_b32 s16, s16, s23
	s_or_b32 exec_lo, exec_lo, s19
	s_and_saveexec_b32 s19, s16
	s_cbranch_execnz .LBB4_6950
	s_branch .LBB4_6951
.LBB4_7321:                             ;   in Loop: Header=BB4_6741 Depth=3
	s_or_saveexec_b32 s19, s19
	v_mov_b32_e32 v17, 0x7f800001
	s_xor_b32 exec_lo, exec_lo, s19
	s_cbranch_execz .LBB4_6963
.LBB4_7322:                             ;   in Loop: Header=BB4_6741 Depth=3
	v_cmp_ne_u16_e32 vcc_lo, 0, v1
	v_mov_b32_e32 v17, 0
	s_andn2_b32 s16, s16, exec_lo
	s_and_b32 s23, vcc_lo, exec_lo
	s_or_b32 s16, s16, s23
	s_or_b32 exec_lo, exec_lo, s19
	s_and_saveexec_b32 s19, s16
	s_cbranch_execnz .LBB4_6964
	s_branch .LBB4_6965
.LBB4_7323:                             ;   in Loop: Header=BB4_6741 Depth=3
	s_or_saveexec_b32 s19, s19
	v_mov_b32_e32 v51, 0x7f800001
	s_xor_b32 exec_lo, exec_lo, s19
	s_cbranch_execz .LBB4_6977
.LBB4_7324:                             ;   in Loop: Header=BB4_6741 Depth=3
	v_cmp_ne_u16_sdwa s23, v19, v2 src0_sel:BYTE_0 src1_sel:DWORD
	v_mov_b32_e32 v51, 0
	s_andn2_b32 s16, s16, exec_lo
	s_and_b32 s23, s23, exec_lo
	s_or_b32 s16, s16, s23
	s_or_b32 exec_lo, exec_lo, s19
	s_and_saveexec_b32 s19, s16
	s_cbranch_execnz .LBB4_6978
	s_branch .LBB4_6979
.LBB4_7325:                             ;   in Loop: Header=BB4_6741 Depth=3
	s_or_saveexec_b32 s19, s19
	v_mov_b32_e32 v19, 0x7f800001
	s_xor_b32 exec_lo, exec_lo, s19
	s_cbranch_execz .LBB4_6983
.LBB4_7326:                             ;   in Loop: Header=BB4_6741 Depth=3
	v_cmp_ne_u16_sdwa s23, v50, v2 src0_sel:BYTE_0 src1_sel:DWORD
	v_mov_b32_e32 v19, 0
	s_andn2_b32 s16, s16, exec_lo
	s_and_b32 s23, s23, exec_lo
	s_or_b32 s16, s16, s23
	s_or_b32 exec_lo, exec_lo, s19
	s_and_saveexec_b32 s19, s16
	s_cbranch_execnz .LBB4_6984
	s_branch .LBB4_6985
.LBB4_7327:                             ;   in Loop: Header=BB4_6741 Depth=3
	s_or_saveexec_b32 s19, s19
	v_mov_b32_e32 v50, 0x7f800001
	s_xor_b32 exec_lo, exec_lo, s19
	s_cbranch_execz .LBB4_6997
.LBB4_7328:                             ;   in Loop: Header=BB4_6741 Depth=3
	v_cmp_ne_u16_sdwa s23, v66, v2 src0_sel:BYTE_0 src1_sel:DWORD
	v_mov_b32_e32 v50, 0
	s_andn2_b32 s16, s16, exec_lo
	s_and_b32 s23, s23, exec_lo
	s_or_b32 s16, s16, s23
	s_or_b32 exec_lo, exec_lo, s19
	s_and_saveexec_b32 s19, s16
	s_cbranch_execnz .LBB4_6998
	s_branch .LBB4_6999
.LBB4_7329:                             ;   in Loop: Header=BB4_6741 Depth=3
	s_or_saveexec_b32 s19, s19
	v_mov_b32_e32 v51, 0x7f800001
	s_xor_b32 exec_lo, exec_lo, s19
	s_cbranch_execz .LBB4_7003
.LBB4_7330:                             ;   in Loop: Header=BB4_6741 Depth=3
	v_cmp_ne_u16_sdwa s23, v79, v2 src0_sel:BYTE_0 src1_sel:DWORD
	v_mov_b32_e32 v51, 0
	s_andn2_b32 s16, s16, exec_lo
	s_and_b32 s23, s23, exec_lo
	s_or_b32 s16, s16, s23
	s_or_b32 exec_lo, exec_lo, s19
	s_and_saveexec_b32 s19, s16
	s_cbranch_execnz .LBB4_7004
	s_branch .LBB4_7005
.LBB4_7331:                             ;   in Loop: Header=BB4_6741 Depth=3
	s_or_saveexec_b32 s19, s19
	v_mov_b32_e32 v50, 0x7f800001
	s_xor_b32 exec_lo, exec_lo, s19
	s_cbranch_execz .LBB4_7017
.LBB4_7332:                             ;   in Loop: Header=BB4_6741 Depth=3
	v_cmp_ne_u16_sdwa s23, v83, v2 src0_sel:BYTE_0 src1_sel:DWORD
	v_mov_b32_e32 v50, 0
	s_andn2_b32 s16, s16, exec_lo
	s_and_b32 s23, s23, exec_lo
	s_or_b32 s16, s16, s23
	s_or_b32 exec_lo, exec_lo, s19
	s_and_saveexec_b32 s19, s16
	s_cbranch_execnz .LBB4_7018
	s_branch .LBB4_7019
.LBB4_7333:                             ;   in Loop: Header=BB4_6741 Depth=3
	s_or_saveexec_b32 s19, s19
	v_mov_b32_e32 v51, 0x7f800001
	s_xor_b32 exec_lo, exec_lo, s19
	s_cbranch_execz .LBB4_7023
.LBB4_7334:                             ;   in Loop: Header=BB4_6741 Depth=3
	v_cmp_ne_u16_sdwa s23, v97, v2 src0_sel:BYTE_0 src1_sel:DWORD
	v_mov_b32_e32 v51, 0
	s_andn2_b32 s16, s16, exec_lo
	s_and_b32 s23, s23, exec_lo
	s_or_b32 s16, s16, s23
	s_or_b32 exec_lo, exec_lo, s19
	s_and_saveexec_b32 s19, s16
	s_cbranch_execnz .LBB4_7024
	s_branch .LBB4_7025
.LBB4_7335:                             ;   in Loop: Header=BB4_6741 Depth=3
	s_or_saveexec_b32 s19, s19
	v_mov_b32_e32 v50, 0x7f800001
	s_xor_b32 exec_lo, exec_lo, s19
	s_cbranch_execz .LBB4_7037
.LBB4_7336:                             ;   in Loop: Header=BB4_6741 Depth=3
	v_cmp_ne_u16_sdwa s23, v74, v2 src0_sel:BYTE_0 src1_sel:DWORD
	v_mov_b32_e32 v50, 0
	s_andn2_b32 s16, s16, exec_lo
	s_and_b32 s23, s23, exec_lo
	s_or_b32 s16, s16, s23
	s_or_b32 exec_lo, exec_lo, s19
	s_and_saveexec_b32 s19, s16
	s_cbranch_execnz .LBB4_7038
	s_branch .LBB4_7039
.LBB4_7337:                             ;   in Loop: Header=BB4_6741 Depth=3
	s_or_saveexec_b32 s19, s19
	v_mov_b32_e32 v51, 0x7f800001
	s_xor_b32 exec_lo, exec_lo, s19
	s_cbranch_execz .LBB4_7043
.LBB4_7338:                             ;   in Loop: Header=BB4_6741 Depth=3
	v_cmp_ne_u16_sdwa s23, v34, v2 src0_sel:BYTE_0 src1_sel:DWORD
	v_mov_b32_e32 v51, 0
	s_andn2_b32 s16, s16, exec_lo
	s_and_b32 s23, s23, exec_lo
	s_or_b32 s16, s16, s23
	s_or_b32 exec_lo, exec_lo, s19
	s_and_saveexec_b32 s19, s16
	s_cbranch_execnz .LBB4_7044
	s_branch .LBB4_7045
.LBB4_7339:                             ;   in Loop: Header=BB4_6741 Depth=3
	s_or_saveexec_b32 s19, s19
	v_mov_b32_e32 v34, 0x7f800001
	s_xor_b32 exec_lo, exec_lo, s19
	s_cbranch_execz .LBB4_7057
.LBB4_7340:                             ;   in Loop: Header=BB4_6741 Depth=3
	v_cmp_ne_u16_sdwa s23, v73, v2 src0_sel:BYTE_0 src1_sel:DWORD
	v_mov_b32_e32 v34, 0
	s_andn2_b32 s16, s16, exec_lo
	s_and_b32 s23, s23, exec_lo
	s_or_b32 s16, s16, s23
	s_or_b32 exec_lo, exec_lo, s19
	s_and_saveexec_b32 s19, s16
	s_cbranch_execnz .LBB4_7058
	s_branch .LBB4_7059
.LBB4_7341:                             ;   in Loop: Header=BB4_6741 Depth=3
	s_or_saveexec_b32 s19, s19
	v_mov_b32_e32 v50, 0x7f800001
	s_xor_b32 exec_lo, exec_lo, s19
	s_cbranch_execz .LBB4_7063
.LBB4_7342:                             ;   in Loop: Header=BB4_6741 Depth=3
	v_cmp_ne_u16_sdwa s23, v1, v2 src0_sel:BYTE_0 src1_sel:DWORD
	v_mov_b32_e32 v50, 0
	s_andn2_b32 s16, s16, exec_lo
	s_and_b32 s23, s23, exec_lo
	s_or_b32 s16, s16, s23
	s_or_b32 exec_lo, exec_lo, s19
	s_and_saveexec_b32 s19, s16
	s_cbranch_execnz .LBB4_7064
	s_branch .LBB4_7065
.LBB4_7343:                             ;   in Loop: Header=BB4_6741 Depth=3
	s_or_saveexec_b32 s19, s19
	v_mov_b32_e32 v1, 0x7f800001
	s_xor_b32 exec_lo, exec_lo, s19
	s_cbranch_execz .LBB4_7077
.LBB4_7344:                             ;   in Loop: Header=BB4_6741 Depth=3
	v_cmp_ne_u16_sdwa s23, v72, v2 src0_sel:BYTE_0 src1_sel:DWORD
	v_mov_b32_e32 v1, 0
	s_andn2_b32 s16, s16, exec_lo
	s_and_b32 s23, s23, exec_lo
	s_or_b32 s16, s16, s23
	s_or_b32 exec_lo, exec_lo, s19
	s_and_saveexec_b32 s19, s16
	s_cbranch_execnz .LBB4_7078
	s_branch .LBB4_7079
.LBB4_7345:                             ;   in Loop: Header=BB4_6741 Depth=3
	s_or_saveexec_b32 s19, s19
	v_mov_b32_e32 v34, 0x7f800001
	s_xor_b32 exec_lo, exec_lo, s19
	s_cbranch_execz .LBB4_7083
.LBB4_7346:                             ;   in Loop: Header=BB4_6741 Depth=3
	v_cmp_ne_u16_sdwa s23, v31, v2 src0_sel:BYTE_0 src1_sel:DWORD
	v_mov_b32_e32 v34, 0
	s_andn2_b32 s16, s16, exec_lo
	s_and_b32 s23, s23, exec_lo
	s_or_b32 s16, s16, s23
	s_or_b32 exec_lo, exec_lo, s19
	s_and_saveexec_b32 s19, s16
	s_cbranch_execnz .LBB4_7084
	s_branch .LBB4_7085
.LBB4_7347:                             ;   in Loop: Header=BB4_6741 Depth=3
	s_or_saveexec_b32 s19, s19
	v_mov_b32_e32 v1, 0x7f800001
	s_xor_b32 exec_lo, exec_lo, s19
	s_cbranch_execz .LBB4_7097
.LBB4_7348:                             ;   in Loop: Header=BB4_6741 Depth=3
	v_cmp_ne_u16_sdwa s23, v62, v2 src0_sel:BYTE_0 src1_sel:DWORD
	v_mov_b32_e32 v1, 0
	s_andn2_b32 s16, s16, exec_lo
	s_and_b32 s23, s23, exec_lo
	s_or_b32 s16, s16, s23
	s_or_b32 exec_lo, exec_lo, s19
	s_and_saveexec_b32 s19, s16
	s_cbranch_execnz .LBB4_7098
	s_branch .LBB4_7099
.LBB4_7349:                             ;   in Loop: Header=BB4_6741 Depth=3
	s_or_saveexec_b32 s19, s19
	v_mov_b32_e32 v31, 0x7f800001
	s_xor_b32 exec_lo, exec_lo, s19
	s_cbranch_execz .LBB4_7103
.LBB4_7350:                             ;   in Loop: Header=BB4_6741 Depth=3
	v_cmp_ne_u16_sdwa s23, v96, v2 src0_sel:BYTE_0 src1_sel:DWORD
	v_mov_b32_e32 v31, 0
	s_andn2_b32 s16, s16, exec_lo
	s_and_b32 s23, s23, exec_lo
	s_or_b32 s16, s16, s23
	s_or_b32 exec_lo, exec_lo, s19
	s_and_saveexec_b32 s19, s16
	s_cbranch_execnz .LBB4_7104
	s_branch .LBB4_7105
.LBB4_7351:                             ;   in Loop: Header=BB4_6741 Depth=3
	s_or_saveexec_b32 s19, s19
	v_mov_b32_e32 v1, 0x7f800001
	s_xor_b32 exec_lo, exec_lo, s19
	s_cbranch_execz .LBB4_7117
.LBB4_7352:                             ;   in Loop: Header=BB4_6741 Depth=3
	v_cmp_ne_u16_sdwa s23, v5, v2 src0_sel:BYTE_0 src1_sel:DWORD
	v_mov_b32_e32 v1, 0
	s_andn2_b32 s16, s16, exec_lo
	s_and_b32 s23, s23, exec_lo
	s_or_b32 s16, s16, s23
	s_or_b32 exec_lo, exec_lo, s19
	s_and_saveexec_b32 s19, s16
	s_cbranch_execnz .LBB4_7118
	s_branch .LBB4_7119
.LBB4_7353:                             ;   in Loop: Header=BB4_6741 Depth=3
	s_or_saveexec_b32 s19, s19
	v_mov_b32_e32 v5, 0x7f800001
	s_xor_b32 exec_lo, exec_lo, s19
	s_cbranch_execz .LBB4_7123
.LBB4_7354:                             ;   in Loop: Header=BB4_6741 Depth=3
	v_cmp_ne_u16_sdwa s23, v78, v2 src0_sel:BYTE_0 src1_sel:DWORD
	v_mov_b32_e32 v5, 0
	s_andn2_b32 s16, s16, exec_lo
	s_and_b32 s23, s23, exec_lo
	s_or_b32 s16, s16, s23
	s_or_b32 exec_lo, exec_lo, s19
	s_and_saveexec_b32 s19, s16
	s_cbranch_execnz .LBB4_7124
	s_branch .LBB4_7125
.LBB4_7355:                             ;   in Loop: Header=BB4_6741 Depth=3
	s_or_saveexec_b32 s19, s19
	v_mov_b32_e32 v1, 0x7f800001
	s_xor_b32 exec_lo, exec_lo, s19
	s_cbranch_execz .LBB4_7137
.LBB4_7356:                             ;   in Loop: Header=BB4_6741 Depth=3
	v_cmp_ne_u16_sdwa s23, v4, v2 src0_sel:BYTE_0 src1_sel:DWORD
	v_mov_b32_e32 v1, 0
	s_andn2_b32 s16, s16, exec_lo
	s_and_b32 s23, s23, exec_lo
	s_or_b32 s16, s16, s23
	s_or_b32 exec_lo, exec_lo, s19
	s_and_saveexec_b32 s19, s16
	s_cbranch_execnz .LBB4_7138
	s_branch .LBB4_7139
.LBB4_7357:                             ;   in Loop: Header=BB4_6741 Depth=3
	s_or_saveexec_b32 s19, s19
	v_mov_b32_e32 v4, 0x7f800001
	s_xor_b32 exec_lo, exec_lo, s19
	s_cbranch_execz .LBB4_7143
.LBB4_7358:                             ;   in Loop: Header=BB4_6741 Depth=3
	v_cmp_ne_u16_sdwa s23, v77, v2 src0_sel:BYTE_0 src1_sel:DWORD
	v_mov_b32_e32 v4, 0
	s_andn2_b32 s16, s16, exec_lo
	s_and_b32 s23, s23, exec_lo
	s_or_b32 s16, s16, s23
	s_or_b32 exec_lo, exec_lo, s19
	s_and_saveexec_b32 s19, s16
	s_cbranch_execnz .LBB4_7144
	s_branch .LBB4_7145
.LBB4_7359:                             ;   in Loop: Header=BB4_6741 Depth=3
	s_or_saveexec_b32 s19, s19
	v_mov_b32_e32 v1, 0x7f800001
	s_xor_b32 exec_lo, exec_lo, s19
	s_cbranch_execz .LBB4_7157
.LBB4_7360:                             ;   in Loop: Header=BB4_6741 Depth=3
	v_cmp_ne_u16_sdwa s23, v67, v2 src0_sel:BYTE_0 src1_sel:DWORD
	v_mov_b32_e32 v1, 0
	s_andn2_b32 s16, s16, exec_lo
	s_and_b32 s23, s23, exec_lo
	s_or_b32 s16, s16, s23
	s_or_b32 exec_lo, exec_lo, s19
	s_and_saveexec_b32 s19, s16
	s_cbranch_execnz .LBB4_7158
	s_branch .LBB4_7159
.LBB4_7361:                             ;   in Loop: Header=BB4_6741 Depth=3
	s_or_saveexec_b32 s19, s19
	v_mov_b32_e32 v31, 0x7f800001
	s_xor_b32 exec_lo, exec_lo, s19
	s_cbranch_execz .LBB4_7163
.LBB4_7362:                             ;   in Loop: Header=BB4_6741 Depth=3
	v_cmp_ne_u16_sdwa s23, v35, v2 src0_sel:BYTE_0 src1_sel:DWORD
	v_mov_b32_e32 v31, 0
	s_andn2_b32 s16, s16, exec_lo
	s_and_b32 s23, s23, exec_lo
	s_or_b32 s16, s16, s23
	s_or_b32 exec_lo, exec_lo, s19
	s_and_saveexec_b32 s19, s16
	s_cbranch_execnz .LBB4_7164
	s_branch .LBB4_7165
.LBB4_7363:                             ;   in Loop: Header=BB4_6741 Depth=3
	s_or_saveexec_b32 s19, s19
	v_mov_b32_e32 v1, 0x7f800001
	s_xor_b32 exec_lo, exec_lo, s19
	s_cbranch_execz .LBB4_7177
.LBB4_7364:                             ;   in Loop: Header=BB4_6741 Depth=3
	v_cmp_ne_u16_sdwa s23, v37, v2 src0_sel:BYTE_0 src1_sel:DWORD
	v_mov_b32_e32 v1, 0
	s_andn2_b32 s16, s16, exec_lo
	s_and_b32 s23, s23, exec_lo
	s_or_b32 s16, s16, s23
	s_or_b32 exec_lo, exec_lo, s19
	s_and_saveexec_b32 s19, s16
	s_cbranch_execnz .LBB4_7178
	s_branch .LBB4_7179
.LBB4_7365:                             ;   in Loop: Header=BB4_6741 Depth=3
	s_or_saveexec_b32 s19, s19
	v_mov_b32_e32 v35, 0x7f800001
	s_xor_b32 exec_lo, exec_lo, s19
	s_cbranch_execz .LBB4_7183
.LBB4_7366:                             ;   in Loop: Header=BB4_6741 Depth=3
	v_cmp_ne_u16_sdwa s23, v76, v2 src0_sel:BYTE_0 src1_sel:DWORD
	v_mov_b32_e32 v35, 0
	s_andn2_b32 s16, s16, exec_lo
	s_and_b32 s23, s23, exec_lo
	s_or_b32 s16, s16, s23
	s_or_b32 exec_lo, exec_lo, s19
	s_and_saveexec_b32 s19, s16
	s_cbranch_execnz .LBB4_7184
	s_branch .LBB4_7185
.LBB4_7367:                             ;   in Loop: Header=BB4_6741 Depth=3
	s_or_saveexec_b32 s19, s19
	v_mov_b32_e32 v35, 0x7f800001
	s_xor_b32 exec_lo, exec_lo, s19
	s_cbranch_execz .LBB4_7197
.LBB4_7368:                             ;   in Loop: Header=BB4_6741 Depth=3
	v_cmp_ne_u16_sdwa s23, v36, v2 src0_sel:BYTE_0 src1_sel:DWORD
	v_mov_b32_e32 v35, 0
	s_andn2_b32 s16, s16, exec_lo
	s_and_b32 s23, s23, exec_lo
	s_or_b32 s16, s16, s23
	s_or_b32 exec_lo, exec_lo, s19
	s_and_saveexec_b32 s19, s16
	s_cbranch_execnz .LBB4_7198
	s_branch .LBB4_7199
.LBB4_7369:                             ;   in Loop: Header=BB4_6741 Depth=3
	s_or_saveexec_b32 s19, s19
	v_mov_b32_e32 v36, 0x7f800001
	s_xor_b32 exec_lo, exec_lo, s19
	s_cbranch_execz .LBB4_7203
.LBB4_7370:                             ;   in Loop: Header=BB4_6741 Depth=3
	v_cmp_ne_u16_sdwa s23, v75, v2 src0_sel:BYTE_0 src1_sel:DWORD
	v_mov_b32_e32 v36, 0
	s_andn2_b32 s16, s16, exec_lo
	s_and_b32 s23, s23, exec_lo
	s_or_b32 s16, s16, s23
	s_or_b32 exec_lo, exec_lo, s19
	s_and_saveexec_b32 s19, s16
	s_cbranch_execnz .LBB4_7204
	s_branch .LBB4_7205
.LBB4_7371:                             ;   in Loop: Header=BB4_6741 Depth=3
	s_or_saveexec_b32 s19, s19
	v_mov_b32_e32 v36, 0x7f800001
	s_xor_b32 exec_lo, exec_lo, s19
	s_cbranch_execz .LBB4_7217
.LBB4_7372:                             ;   in Loop: Header=BB4_6741 Depth=3
	v_cmp_ne_u16_sdwa s23, v30, v2 src0_sel:BYTE_0 src1_sel:DWORD
	v_mov_b32_e32 v36, 0
	s_andn2_b32 s16, s16, exec_lo
	s_and_b32 s23, s23, exec_lo
	s_or_b32 s16, s16, s23
	s_or_b32 exec_lo, exec_lo, s19
	s_and_saveexec_b32 s19, s16
	s_cbranch_execnz .LBB4_7218
	s_branch .LBB4_7219
.LBB4_7373:                             ;   in Loop: Header=BB4_6741 Depth=3
	s_or_saveexec_b32 s19, s19
	v_mov_b32_e32 v30, 0x7f800001
	s_xor_b32 exec_lo, exec_lo, s19
	s_cbranch_execz .LBB4_7223
.LBB4_7374:                             ;   in Loop: Header=BB4_6741 Depth=3
	v_cmp_ne_u16_sdwa s23, v63, v2 src0_sel:BYTE_0 src1_sel:DWORD
	v_mov_b32_e32 v30, 0
	s_andn2_b32 s16, s16, exec_lo
	s_and_b32 s23, s23, exec_lo
	s_or_b32 s16, s16, s23
	s_or_b32 exec_lo, exec_lo, s19
	s_and_saveexec_b32 s19, s16
	s_cbranch_execnz .LBB4_7224
	s_branch .LBB4_7225
.LBB4_7375:                             ;   in Loop: Header=BB4_6741 Depth=3
	s_or_saveexec_b32 s19, s19
	v_mov_b32_e32 v36, 0x7f800001
	s_xor_b32 exec_lo, exec_lo, s19
	s_cbranch_execz .LBB4_7237
.LBB4_7376:                             ;   in Loop: Header=BB4_6741 Depth=3
	v_cmp_ne_u16_sdwa s23, v20, v2 src0_sel:BYTE_0 src1_sel:DWORD
	v_mov_b32_e32 v36, 0
	s_andn2_b32 s16, s16, exec_lo
	s_and_b32 s23, s23, exec_lo
	s_or_b32 s16, s16, s23
	s_or_b32 exec_lo, exec_lo, s19
	s_and_saveexec_b32 s19, s16
	s_cbranch_execnz .LBB4_7238
	s_branch .LBB4_7239
.LBB4_7377:                             ;   in Loop: Header=BB4_6741 Depth=3
	s_or_saveexec_b32 s19, s19
	v_mov_b32_e32 v20, 0x7f800001
	s_xor_b32 exec_lo, exec_lo, s19
	s_cbranch_execz .LBB4_7243
.LBB4_7378:                             ;   in Loop: Header=BB4_6741 Depth=3
	v_cmp_ne_u16_sdwa s23, v82, v2 src0_sel:BYTE_0 src1_sel:DWORD
	v_mov_b32_e32 v20, 0
	s_andn2_b32 s16, s16, exec_lo
	s_and_b32 s23, s23, exec_lo
	s_or_b32 s16, s16, s23
	s_or_b32 exec_lo, exec_lo, s19
	s_and_saveexec_b32 s19, s16
	s_cbranch_execnz .LBB4_7244
	s_branch .LBB4_7245
.LBB4_7379:                             ;   in Loop: Header=BB4_6741 Depth=3
	s_or_saveexec_b32 s19, s19
	v_mov_b32_e32 v36, 0x7f800001
	s_xor_b32 exec_lo, exec_lo, s19
	s_cbranch_execz .LBB4_7257
.LBB4_7380:                             ;   in Loop: Header=BB4_6741 Depth=3
	v_cmp_ne_u16_sdwa s23, v18, v2 src0_sel:BYTE_0 src1_sel:DWORD
	v_mov_b32_e32 v36, 0
	s_andn2_b32 s16, s16, exec_lo
	s_and_b32 s23, s23, exec_lo
	s_or_b32 s16, s16, s23
	s_or_b32 exec_lo, exec_lo, s19
	s_and_saveexec_b32 s19, s16
	s_cbranch_execnz .LBB4_7258
	s_branch .LBB4_7259
.LBB4_7381:                             ;   in Loop: Header=BB4_6741 Depth=3
	s_or_saveexec_b32 s19, s19
	v_mov_b32_e32 v18, 0x7f800001
	s_xor_b32 exec_lo, exec_lo, s19
	s_cbranch_execz .LBB4_7263
.LBB4_7382:                             ;   in Loop: Header=BB4_6741 Depth=3
	v_cmp_ne_u16_sdwa s23, v21, v2 src0_sel:BYTE_0 src1_sel:DWORD
	v_mov_b32_e32 v18, 0
	s_andn2_b32 s16, s16, exec_lo
	s_and_b32 s23, s23, exec_lo
	s_or_b32 s16, s16, s23
	s_or_b32 exec_lo, exec_lo, s19
	s_and_saveexec_b32 s19, s16
	s_cbranch_execnz .LBB4_7264
	s_branch .LBB4_7265
.LBB4_7383:                             ;   in Loop: Header=BB4_6741 Depth=3
	s_or_saveexec_b32 s19, s19
	v_mov_b32_e32 v21, 0x7f800001
	s_xor_b32 exec_lo, exec_lo, s19
	s_cbranch_execz .LBB4_7277
.LBB4_7384:                             ;   in Loop: Header=BB4_6741 Depth=3
	v_cmp_ne_u16_sdwa s23, v17, v2 src0_sel:BYTE_0 src1_sel:DWORD
	v_mov_b32_e32 v21, 0
	s_andn2_b32 s16, s16, exec_lo
	s_and_b32 s23, s23, exec_lo
	s_or_b32 s16, s16, s23
	s_or_b32 exec_lo, exec_lo, s19
	s_and_saveexec_b32 s19, s16
	s_cbranch_execnz .LBB4_7278
	s_branch .LBB4_7279
.LBB4_7385:                             ;   in Loop: Header=BB4_6741 Depth=3
	s_or_saveexec_b32 s19, s19
	v_mov_b32_e32 v17, 0x7f800001
	s_xor_b32 exec_lo, exec_lo, s19
	s_cbranch_execz .LBB4_7283
.LBB4_7386:                             ;   in Loop: Header=BB4_6741 Depth=3
	v_cmp_ne_u16_sdwa s23, v16, v2 src0_sel:BYTE_0 src1_sel:DWORD
	v_mov_b32_e32 v17, 0
	s_andn2_b32 s16, s16, exec_lo
	s_and_b32 s23, s23, exec_lo
	s_or_b32 s16, s16, s23
	s_or_b32 exec_lo, exec_lo, s19
	s_and_saveexec_b32 s19, s16
	s_cbranch_execnz .LBB4_7284
	s_branch .LBB4_7285
.LBB4_7387:                             ;   in Loop: Header=BB4_4707 Depth=2
	s_or_b32 exec_lo, exec_lo, s18
.LBB4_7388:                             ;   in Loop: Header=BB4_4707 Depth=2
	s_or_b32 exec_lo, exec_lo, s17
	v_lshlrev_b32_e32 v1, 9, v81
	v_cmp_ne_u32_e32 vcc_lo, v69, v1
	s_and_b32 exec_lo, exec_lo, vcc_lo
	s_cbranch_execz .LBB4_7442
; %bb.7389:                             ;   in Loop: Header=BB4_4707 Depth=2
	v_lshlrev_b32_e32 v4, 5, v71
	v_lshlrev_b32_e32 v5, 5, v80
	v_sub_nc_u32_e32 v4, v70, v4
	v_sub_nc_u32_e32 v4, v4, v5
	v_add_nc_u32_e32 v4, v1, v4
	v_sub_nc_u32_e32 v1, v69, v4
	v_cmp_lt_i32_e32 vcc_lo, 0, v1
	s_and_b32 exec_lo, exec_lo, vcc_lo
	s_cbranch_execz .LBB4_7442
; %bb.7390:                             ;   in Loop: Header=BB4_4707 Depth=2
	s_trap 2
	ds_read_b128 v[8:11], v0
	v_add_nc_u32_e32 v4, v4, v68
	s_mov_b32 s23, 0
	v_ashrrev_i32_e32 v5, 31, v4
	s_waitcnt lgkmcnt(0)
	v_add_co_u32 v8, vcc_lo, v8, v4
	v_add_co_ci_u32_e64 v9, null, v9, v5, vcc_lo
	v_add_co_u32 v10, vcc_lo, v10, v4
	v_add_co_ci_u32_e64 v11, null, v11, v5, vcc_lo
	v_mov_b32_e32 v13, v9
	v_mov_b32_e32 v12, v8
	;; [unrolled: 1-line block ×4, first 2 shown]
.LBB4_7391:                             ;   Parent Loop BB4_47 Depth=1
                                        ;     Parent Loop BB4_4707 Depth=2
                                        ; =>    This Loop Header: Depth=3
                                        ;         Child Loop BB4_7434 Depth 4
	s_trap 2
	ds_read_b64 v[66:67], v0
	s_waitcnt lgkmcnt(0)
	v_readfirstlane_b32 s16, v66
	s_and_b32 s17, s16, 0xff
	s_cmpk_lt_i32 s17, 0x80
	s_cbranch_scc1 .LBB4_7395
; %bb.7392:                             ;   in Loop: Header=BB4_7391 Depth=3
	s_and_b32 s18, 0xffff, s17
	s_cmpk_eq_i32 s18, 0x80
	s_mov_b32 s18, -1
	s_cbranch_scc0 .LBB4_7394
; %bb.7393:                             ;   in Loop: Header=BB4_7391 Depth=3
	s_mov_b32 s18, 0
.LBB4_7394:                             ;   in Loop: Header=BB4_7391 Depth=3
	s_mov_b32 s19, 0x7f800001
	s_branch .LBB4_7397
.LBB4_7395:                             ;   in Loop: Header=BB4_7391 Depth=3
	s_mov_b32 s18, 0
	s_mov_b32 s19, 0x7f800001
	s_cbranch_execz .LBB4_7397
; %bb.7396:                             ;   in Loop: Header=BB4_7391 Depth=3
	s_and_b32 s17, 0xffff, s17
	s_mov_b32 s19, 0
	s_cmp_lg_u32 s17, 0
	s_cselect_b32 s18, -1, 0
.LBB4_7397:                             ;   in Loop: Header=BB4_7391 Depth=3
	v_mov_b32_e32 v4, s19
	s_andn2_b32 vcc_lo, exec_lo, s18
	s_cbranch_vccnz .LBB4_7399
; %bb.7398:                             ;   in Loop: Header=BB4_7391 Depth=3
	s_and_b32 s17, s16, 3
	s_bfe_u32 s19, s16, 0x50002
	s_flbit_i32_b32 s18, s17
	v_lshlrev_b32_e32 v4, 24, v66
	s_min_u32 s18, s18, 32
	s_sub_i32 s72, s18, 29
	s_sub_i32 s18, 30, s18
	s_lshl_b32 s16, s16, s72
	v_and_b32_e32 v4, 0x80000000, v4
	s_and_b32 s16, s16, 3
	s_cmp_eq_u32 s19, 0
	s_cselect_b32 s18, s18, s19
	s_cselect_b32 s16, s16, s17
	s_lshl_b32 s17, s18, 23
	s_lshl_b32 s16, s16, 21
	s_add_i32 s17, s17, 0x37800000
	v_or_b32_e32 v4, s17, v4
	v_or_b32_e32 v4, s16, v4
.LBB4_7399:                             ;   in Loop: Header=BB4_7391 Depth=3
	flat_load_ubyte v5, v[12:13] slc
	s_mov_b32 s16, 0
	s_mov_b32 s17, exec_lo
	s_waitcnt vmcnt(0) lgkmcnt(0)
	v_cmpx_lt_i16_e32 0x7f, v5
	s_xor_b32 s17, exec_lo, s17
	s_cbranch_execz .LBB4_7436
; %bb.7400:                             ;   in Loop: Header=BB4_7391 Depth=3
	s_mov_b32 s16, -1
	s_mov_b32 s18, exec_lo
	v_cmpx_eq_u16_e32 0x80, v5
; %bb.7401:                             ;   in Loop: Header=BB4_7391 Depth=3
	s_xor_b32 s16, exec_lo, -1
; %bb.7402:                             ;   in Loop: Header=BB4_7391 Depth=3
	s_or_b32 exec_lo, exec_lo, s18
	s_and_b32 s16, s16, exec_lo
	s_or_saveexec_b32 s17, s17
	v_mov_b32_e32 v16, 0x7f800001
	s_xor_b32 exec_lo, exec_lo, s17
	s_cbranch_execnz .LBB4_7437
.LBB4_7403:                             ;   in Loop: Header=BB4_7391 Depth=3
	s_or_b32 exec_lo, exec_lo, s17
	s_and_saveexec_b32 s17, s16
	s_cbranch_execz .LBB4_7405
.LBB4_7404:                             ;   in Loop: Header=BB4_7391 Depth=3
	v_and_b32_e32 v16, 0xffff, v5
	v_lshlrev_b32_e32 v5, 24, v5
	v_and_b32_e32 v17, 3, v16
	v_bfe_u32 v20, v16, 2, 5
	v_and_b32_e32 v5, 0x80000000, v5
	v_ffbh_u32_e32 v18, v17
	v_cmp_eq_u32_e32 vcc_lo, 0, v20
	v_min_u32_e32 v18, 32, v18
	v_subrev_nc_u32_e32 v19, 29, v18
	v_sub_nc_u32_e32 v18, 30, v18
	v_lshlrev_b32_e32 v16, v19, v16
	v_cndmask_b32_e32 v18, v20, v18, vcc_lo
	v_and_b32_e32 v16, 3, v16
	v_cndmask_b32_e32 v16, v17, v16, vcc_lo
	v_lshl_add_u32 v17, v18, 23, 0x37800000
	v_lshlrev_b32_e32 v16, 21, v16
	v_or3_b32 v16, v5, v17, v16
.LBB4_7405:                             ;   in Loop: Header=BB4_7391 Depth=3
	s_or_b32 exec_lo, exec_lo, s17
	v_mul_f32_e32 v4, v4, v16
	v_mov_b32_e32 v16, 0x80
	s_mov_b32 s17, exec_lo
	v_and_b32_e32 v5, 0x7f800000, v4
	v_cmpx_ne_u32_e32 0x7f800000, v5
	s_cbranch_execz .LBB4_7413
; %bb.7406:                             ;   in Loop: Header=BB4_7391 Depth=3
	v_mov_b32_e32 v16, 0
	s_mov_b32 s18, exec_lo
	v_cmpx_ne_u32_e32 0, v4
	s_cbranch_execz .LBB4_7412
; %bb.7407:                             ;   in Loop: Header=BB4_7391 Depth=3
	v_bfe_u32 v5, v4, 23, 8
	v_and_b32_e32 v16, 0x7fffff, v4
	v_sub_nc_u32_e32 v17, 0x70, v5
	v_cmp_gt_u32_e32 vcc_lo, 0x71, v5
	v_or_b32_e32 v18, 0x800000, v16
	v_cndmask_b32_e32 v17, 0, v17, vcc_lo
	v_cmp_eq_u32_e32 vcc_lo, 0, v5
	v_add_nc_u32_e32 v5, 0xffffff91, v5
	v_cndmask_b32_e64 v17, v17, 0x6f, vcc_lo
	v_cndmask_b32_e32 v16, v18, v16, vcc_lo
	v_cndmask_b32_e64 v5, v5, 0xffffff92, vcc_lo
	v_lshl_add_u32 v18, 0x200000, v17, -1
	v_lshrrev_b32_e32 v19, v17, v16
	v_lshlrev_b32_e64 v21, v17, 0x100000
	v_add_nc_u32_e32 v17, v17, v5
	v_and_b32_e32 v16, v18, v16
	v_bfe_u32 v20, v19, 21, 1
	v_cmp_eq_u32_e64 s16, v16, v21
	v_add_nc_u32_e32 v18, -1, v20
	v_cndmask_b32_e64 v16, 0, v18, s16
	v_lshrrev_b32_e32 v18, 23, v19
	s_mov_b32 s16, exec_lo
	v_add_nc_u32_e32 v16, v16, v19
	v_xor_b32_e32 v18, 1, v18
	v_and_b32_e32 v5, 0x1fffff, v16
	v_add_nc_u32_e32 v16, v5, v19
                                        ; implicit-def: $vgpr5
	v_cmpx_ne_u32_e64 v17, v18
	s_xor_b32 s16, exec_lo, s16
; %bb.7408:                             ;   in Loop: Header=BB4_7391 Depth=3
	v_cmp_lt_u32_e32 vcc_lo, 0xffffff, v16
	v_sub_nc_u32_e32 v5, v17, v18
	v_cndmask_b32_e64 v17, 0, 1, vcc_lo
	v_add_co_ci_u32_e64 v5, null, 0, v5, vcc_lo
	v_lshrrev_b32_e32 v16, v17, v16
; %bb.7409:                             ;   in Loop: Header=BB4_7391 Depth=3
	s_andn2_saveexec_b32 s16, s16
; %bb.7410:                             ;   in Loop: Header=BB4_7391 Depth=3
	v_bfe_u32 v5, v16, 23, 1
; %bb.7411:                             ;   in Loop: Header=BB4_7391 Depth=3
	s_or_b32 exec_lo, exec_lo, s16
	v_lshrrev_b32_e32 v16, 21, v16
	v_cmp_gt_i32_e32 vcc_lo, 32, v5
	v_min_i32_e32 v17, 31, v5
	v_and_b32_sdwa v4, v4, v101 dst_sel:DWORD dst_unused:UNUSED_PAD src0_sel:BYTE_3 src1_sel:DWORD
	v_cndmask_b32_e32 v16, 3, v16, vcc_lo
	v_lshlrev_b32_e32 v17, 2, v17
	v_and_b32_e32 v18, 3, v16
	v_or_b32_e32 v5, v5, v16
	v_or3_b32 v4, v17, v4, v18
	v_cmp_ne_u32_e32 vcc_lo, 0, v5
	v_cndmask_b32_e32 v16, 0, v4, vcc_lo
.LBB4_7412:                             ;   in Loop: Header=BB4_7391 Depth=3
	s_or_b32 exec_lo, exec_lo, s18
.LBB4_7413:                             ;   in Loop: Header=BB4_7391 Depth=3
	s_or_b32 exec_lo, exec_lo, s17
	flat_load_ubyte v4, v[14:15] slc
	v_cmp_gt_i16_sdwa s17, v16, v100 src0_sel:BYTE_0 src1_sel:DWORD
	s_mov_b32 s16, 0
	s_and_saveexec_b32 s18, s17
	s_xor_b32 s17, exec_lo, s18
	s_cbranch_execz .LBB4_7438
; %bb.7414:                             ;   in Loop: Header=BB4_7391 Depth=3
	v_cmp_eq_u16_sdwa s19, v16, v101 src0_sel:BYTE_0 src1_sel:DWORD
	s_mov_b32 s16, -1
	s_and_saveexec_b32 s18, s19
; %bb.7415:                             ;   in Loop: Header=BB4_7391 Depth=3
	s_xor_b32 s16, exec_lo, -1
; %bb.7416:                             ;   in Loop: Header=BB4_7391 Depth=3
	s_or_b32 exec_lo, exec_lo, s18
	s_and_b32 s16, s16, exec_lo
	s_or_saveexec_b32 s17, s17
	v_mov_b32_e32 v5, 0x7f800001
	s_xor_b32 exec_lo, exec_lo, s17
	s_cbranch_execnz .LBB4_7439
.LBB4_7417:                             ;   in Loop: Header=BB4_7391 Depth=3
	s_or_b32 exec_lo, exec_lo, s17
	s_and_saveexec_b32 s17, s16
	s_cbranch_execz .LBB4_7419
.LBB4_7418:                             ;   in Loop: Header=BB4_7391 Depth=3
	v_and_b32_e32 v5, 3, v16
	v_lshrrev_b16 v18, 2, v16
	v_ffbh_u32_e32 v17, v5
	v_and_b32_e32 v18, 31, v18
	v_min_u32_e32 v17, 32, v17
	v_cmp_eq_u32_e32 vcc_lo, 0, v18
	v_subrev_nc_u32_e32 v19, 29, v17
	v_sub_nc_u32_e32 v17, 30, v17
	v_lshlrev_b32_e32 v19, v19, v16
	v_lshlrev_b32_e32 v16, 24, v16
	v_cndmask_b32_e32 v17, v18, v17, vcc_lo
	v_and_b32_e32 v19, 3, v19
	v_and_b32_e32 v16, 0x80000000, v16
	v_lshl_add_u32 v17, v17, 23, 0x37800000
	v_cndmask_b32_e32 v5, v5, v19, vcc_lo
	v_lshlrev_b32_e32 v5, 21, v5
	v_or3_b32 v5, v16, v17, v5
.LBB4_7419:                             ;   in Loop: Header=BB4_7391 Depth=3
	s_or_b32 exec_lo, exec_lo, s17
	s_waitcnt vmcnt(0) lgkmcnt(0)
	v_cmp_gt_i16_sdwa s17, v4, v100 src0_sel:BYTE_0 src1_sel:DWORD
	s_mov_b32 s16, 0
	s_and_saveexec_b32 s18, s17
	s_xor_b32 s17, exec_lo, s18
	s_cbranch_execz .LBB4_7440
; %bb.7420:                             ;   in Loop: Header=BB4_7391 Depth=3
	v_cmp_eq_u16_sdwa s19, v4, v101 src0_sel:BYTE_0 src1_sel:DWORD
	s_mov_b32 s16, -1
	s_and_saveexec_b32 s18, s19
; %bb.7421:                             ;   in Loop: Header=BB4_7391 Depth=3
	s_xor_b32 s16, exec_lo, -1
; %bb.7422:                             ;   in Loop: Header=BB4_7391 Depth=3
	s_or_b32 exec_lo, exec_lo, s18
	s_and_b32 s16, s16, exec_lo
	s_or_saveexec_b32 s17, s17
	v_mov_b32_e32 v16, 0x7f800001
	s_xor_b32 exec_lo, exec_lo, s17
	s_cbranch_execnz .LBB4_7441
.LBB4_7423:                             ;   in Loop: Header=BB4_7391 Depth=3
	s_or_b32 exec_lo, exec_lo, s17
	s_and_saveexec_b32 s17, s16
	s_cbranch_execz .LBB4_7425
.LBB4_7424:                             ;   in Loop: Header=BB4_7391 Depth=3
	v_and_b32_e32 v16, 3, v4
	v_lshrrev_b16 v18, 2, v4
	v_ffbh_u32_e32 v17, v16
	v_and_b32_e32 v18, 31, v18
	v_min_u32_e32 v17, 32, v17
	v_cmp_eq_u32_e32 vcc_lo, 0, v18
	v_subrev_nc_u32_e32 v19, 29, v17
	v_sub_nc_u32_e32 v17, 30, v17
	v_lshlrev_b32_e32 v19, v19, v4
	v_lshlrev_b32_e32 v4, 24, v4
	v_cndmask_b32_e32 v17, v18, v17, vcc_lo
	v_and_b32_e32 v19, 3, v19
	v_and_b32_e32 v4, 0x80000000, v4
	v_lshl_add_u32 v17, v17, 23, 0x37800000
	v_cndmask_b32_e32 v16, v16, v19, vcc_lo
	v_lshlrev_b32_e32 v16, 21, v16
	v_or3_b32 v16, v4, v17, v16
.LBB4_7425:                             ;   in Loop: Header=BB4_7391 Depth=3
	s_or_b32 exec_lo, exec_lo, s17
	v_add_f32_e32 v4, v5, v16
	v_and_b32_e32 v5, 0x7f800000, v4
	v_cmp_ne_u32_e32 vcc_lo, 0x7f800000, v5
	v_mov_b32_e32 v5, 0x80
	s_and_saveexec_b32 s17, vcc_lo
	s_cbranch_execz .LBB4_7433
; %bb.7426:                             ;   in Loop: Header=BB4_7391 Depth=3
	v_mov_b32_e32 v5, 0
	s_mov_b32 s18, exec_lo
	v_cmpx_ne_u32_e32 0, v4
	s_cbranch_execz .LBB4_7432
; %bb.7427:                             ;   in Loop: Header=BB4_7391 Depth=3
	v_bfe_u32 v5, v4, 23, 8
	v_and_b32_e32 v16, 0x7fffff, v4
	v_sub_nc_u32_e32 v17, 0x70, v5
	v_cmp_gt_u32_e32 vcc_lo, 0x71, v5
	v_or_b32_e32 v18, 0x800000, v16
	v_cndmask_b32_e32 v17, 0, v17, vcc_lo
	v_cmp_eq_u32_e32 vcc_lo, 0, v5
	v_add_nc_u32_e32 v5, 0xffffff91, v5
	v_cndmask_b32_e64 v17, v17, 0x6f, vcc_lo
	v_cndmask_b32_e32 v16, v18, v16, vcc_lo
	v_cndmask_b32_e64 v5, v5, 0xffffff92, vcc_lo
	v_lshl_add_u32 v18, 0x200000, v17, -1
	v_lshrrev_b32_e32 v19, v17, v16
	v_lshlrev_b32_e64 v21, v17, 0x100000
	v_add_nc_u32_e32 v17, v17, v5
	v_and_b32_e32 v16, v18, v16
	v_bfe_u32 v20, v19, 21, 1
	v_cmp_eq_u32_e64 s16, v16, v21
	v_add_nc_u32_e32 v18, -1, v20
	v_cndmask_b32_e64 v16, 0, v18, s16
	v_lshrrev_b32_e32 v18, 23, v19
	s_mov_b32 s16, exec_lo
	v_add_nc_u32_e32 v16, v16, v19
	v_xor_b32_e32 v18, 1, v18
	v_and_b32_e32 v5, 0x1fffff, v16
	v_add_nc_u32_e32 v16, v5, v19
                                        ; implicit-def: $vgpr5
	v_cmpx_ne_u32_e64 v17, v18
	s_xor_b32 s16, exec_lo, s16
; %bb.7428:                             ;   in Loop: Header=BB4_7391 Depth=3
	v_cmp_lt_u32_e32 vcc_lo, 0xffffff, v16
	v_sub_nc_u32_e32 v5, v17, v18
	v_cndmask_b32_e64 v17, 0, 1, vcc_lo
	v_add_co_ci_u32_e64 v5, null, 0, v5, vcc_lo
	v_lshrrev_b32_e32 v16, v17, v16
; %bb.7429:                             ;   in Loop: Header=BB4_7391 Depth=3
	s_andn2_saveexec_b32 s16, s16
; %bb.7430:                             ;   in Loop: Header=BB4_7391 Depth=3
	v_bfe_u32 v5, v16, 23, 1
; %bb.7431:                             ;   in Loop: Header=BB4_7391 Depth=3
	s_or_b32 exec_lo, exec_lo, s16
	v_lshrrev_b32_e32 v16, 21, v16
	v_cmp_gt_i32_e32 vcc_lo, 32, v5
	v_min_i32_e32 v17, 31, v5
	v_and_b32_sdwa v4, v4, v101 dst_sel:DWORD dst_unused:UNUSED_PAD src0_sel:BYTE_3 src1_sel:DWORD
	v_cndmask_b32_e32 v16, 3, v16, vcc_lo
	v_lshlrev_b32_e32 v17, 2, v17
	v_and_b32_e32 v18, 3, v16
	v_or_b32_e32 v5, v5, v16
	v_or3_b32 v4, v17, v4, v18
	v_cmp_ne_u32_e32 vcc_lo, 0, v5
	v_cndmask_b32_e32 v5, 0, v4, vcc_lo
.LBB4_7432:                             ;   in Loop: Header=BB4_7391 Depth=3
	s_or_b32 exec_lo, exec_lo, s18
.LBB4_7433:                             ;   in Loop: Header=BB4_7391 Depth=3
	s_or_b32 exec_lo, exec_lo, s17
	s_mov_b64 s[18:19], 0
	s_mov_b32 s72, -1
	.p2align	6
.LBB4_7434:                             ;   Parent Loop BB4_47 Depth=1
                                        ;     Parent Loop BB4_4707 Depth=2
                                        ;       Parent Loop BB4_7391 Depth=3
                                        ; =>      This Inner Loop Header: Depth=4
	s_cmp_eq_u32 s18, 1
	s_cselect_b32 vcc_lo, -1, 0
	s_cmp_eq_u32 s18, 0
	v_cndmask_b32_e32 v16, v8, v10, vcc_lo
	v_cndmask_b32_e32 v17, v9, v11, vcc_lo
	s_mov_b64 s[18:19], 1
	v_add_co_u32 v4, s16, v16, 32
	v_add_co_ci_u32_e64 v18, null, 0, v17, s16
	s_cselect_b32 s16, -1, 0
	v_cndmask_b32_e32 v10, v10, v4, vcc_lo
	v_cndmask_b32_e64 v8, v8, v4, s16
	v_cndmask_b32_e32 v11, v11, v18, vcc_lo
	v_cndmask_b32_e64 v9, v9, v18, s16
	s_and_b32 s17, exec_lo, s72
	s_mov_b32 s72, 0
	s_mov_b32 vcc_lo, s17
	flat_store_byte v[16:17], v5 glc slc
	s_cbranch_vccnz .LBB4_7434
; %bb.7435:                             ;   in Loop: Header=BB4_7391 Depth=3
	v_add_co_u32 v12, vcc_lo, v12, v45
	v_sub_nc_u32_e32 v1, v1, v98
	v_add_co_ci_u32_e64 v13, null, v13, v46, vcc_lo
	v_add_co_u32 v14, vcc_lo, v14, v45
	v_add_co_ci_u32_e64 v15, null, v15, v46, vcc_lo
	v_add_co_u32 v8, vcc_lo, v8, v119
	v_add_co_ci_u32_e64 v9, null, v9, v42, vcc_lo
	v_cmp_gt_i32_e32 vcc_lo, 1, v1
	v_add_co_u32 v10, s16, v10, v119
	v_add_co_ci_u32_e64 v11, null, v11, v42, s16
	s_or_b32 s23, vcc_lo, s23
	s_andn2_b32 exec_lo, exec_lo, s23
	s_cbranch_execnz .LBB4_7391
	s_branch .LBB4_7442
.LBB4_7436:                             ;   in Loop: Header=BB4_7391 Depth=3
	s_or_saveexec_b32 s17, s17
	v_mov_b32_e32 v16, 0x7f800001
	s_xor_b32 exec_lo, exec_lo, s17
	s_cbranch_execz .LBB4_7403
.LBB4_7437:                             ;   in Loop: Header=BB4_7391 Depth=3
	v_cmp_ne_u16_e32 vcc_lo, 0, v5
	v_mov_b32_e32 v16, 0
	s_andn2_b32 s16, s16, exec_lo
	s_and_b32 s18, vcc_lo, exec_lo
	s_or_b32 s16, s16, s18
	s_or_b32 exec_lo, exec_lo, s17
	s_and_saveexec_b32 s17, s16
	s_cbranch_execnz .LBB4_7404
	s_branch .LBB4_7405
.LBB4_7438:                             ;   in Loop: Header=BB4_7391 Depth=3
	s_or_saveexec_b32 s17, s17
	v_mov_b32_e32 v5, 0x7f800001
	s_xor_b32 exec_lo, exec_lo, s17
	s_cbranch_execz .LBB4_7417
.LBB4_7439:                             ;   in Loop: Header=BB4_7391 Depth=3
	v_cmp_ne_u16_sdwa s18, v16, v2 src0_sel:BYTE_0 src1_sel:DWORD
	v_mov_b32_e32 v5, 0
	s_andn2_b32 s16, s16, exec_lo
	s_and_b32 s18, s18, exec_lo
	s_or_b32 s16, s16, s18
	s_or_b32 exec_lo, exec_lo, s17
	s_and_saveexec_b32 s17, s16
	s_cbranch_execnz .LBB4_7418
	s_branch .LBB4_7419
.LBB4_7440:                             ;   in Loop: Header=BB4_7391 Depth=3
	s_or_saveexec_b32 s17, s17
	v_mov_b32_e32 v16, 0x7f800001
	s_xor_b32 exec_lo, exec_lo, s17
	s_cbranch_execz .LBB4_7423
.LBB4_7441:                             ;   in Loop: Header=BB4_7391 Depth=3
	v_cmp_ne_u16_sdwa s18, v4, v2 src0_sel:BYTE_0 src1_sel:DWORD
	v_mov_b32_e32 v16, 0
	s_andn2_b32 s16, s16, exec_lo
	s_and_b32 s18, s18, exec_lo
	s_or_b32 s16, s16, s18
	s_or_b32 exec_lo, exec_lo, s17
	s_and_saveexec_b32 s17, s16
	s_cbranch_execnz .LBB4_7424
	s_branch .LBB4_7425
.LBB4_7442:                             ;   in Loop: Header=BB4_4707 Depth=2
	s_or_b32 exec_lo, exec_lo, s22
	s_mov_b32 s16, 0
.LBB4_7443:                             ;   in Loop: Header=BB4_4707 Depth=2
	s_and_b32 vcc_lo, exec_lo, s16
	s_cbranch_vccz .LBB4_7450
; %bb.7444:                             ;   in Loop: Header=BB4_4707 Depth=2
	s_mov_b32 s16, -1
	s_and_saveexec_b32 s17, s14
	s_cbranch_execz .LBB4_7446
; %bb.7445:                             ;   in Loop: Header=BB4_4707 Depth=2
	ds_read_b32 v1, v0 offset:720
	s_waitcnt lgkmcnt(0)
	v_and_b32_e32 v1, 15, v1
	v_cmp_eq_u32_e32 vcc_lo, 0, v1
	s_orn2_b32 s16, vcc_lo, exec_lo
.LBB4_7446:                             ;   in Loop: Header=BB4_4707 Depth=2
	s_or_b32 exec_lo, exec_lo, s17
	s_and_saveexec_b32 s17, s12
	s_cbranch_execz .LBB4_7448
; %bb.7447:                             ;   in Loop: Header=BB4_4707 Depth=2
	ds_read_b32 v1, v0 offset:784
	s_waitcnt lgkmcnt(0)
	v_and_b32_e32 v1, 15, v1
	v_cmp_eq_u32_e32 vcc_lo, 0, v1
	s_and_b32 s18, s16, vcc_lo
	s_andn2_b32 s16, s16, exec_lo
	s_and_b32 s18, s18, exec_lo
	s_or_b32 s16, s16, s18
.LBB4_7448:                             ;   in Loop: Header=BB4_4707 Depth=2
	s_or_b32 exec_lo, exec_lo, s17
	s_xor_b32 s16, s16, -1
	v_mov_b32_e32 v66, 0
	v_cndmask_b32_e64 v1, 0, 1, s16
	v_mov_b32_e32 v67, v61
	v_mov_b32_e32 v68, v0
	s_mov_b32 s16, -1
	v_cmp_ne_u32_e32 vcc_lo, 0, v1
	s_cbranch_vccz .LBB4_7451
; %bb.7449:                             ;   in Loop: Header=BB4_4707 Depth=2
	s_and_saveexec_b32 s17, s16
	s_cbranch_execnz .LBB4_9398
	s_branch .LBB4_10102
.LBB4_7450:                             ;   in Loop: Header=BB4_4707 Depth=2
	v_cmp_lt_i32_e64 s16, 0, v61
	s_and_saveexec_b32 s17, s6
	s_cbranch_execnz .LBB4_10103
	s_branch .LBB4_4783
.LBB4_7451:                             ;   in Loop: Header=BB4_4707 Depth=2
	v_ashrrev_i32_e32 v1, 31, v61
	s_mov_b32 s17, exec_lo
	v_lshrrev_b32_e32 v1, 22, v1
	v_add_nc_u32_e32 v1, v61, v1
	v_ashrrev_i32_e32 v81, 10, v1
	v_lshrrev_b32_e32 v1, 5, v0
	v_sub_nc_u32_e32 v80, v81, v1
	v_cmpx_lt_i32_e32 0, v80
	s_cbranch_execz .LBB4_8743
; %bb.7452:                             ;   in Loop: Header=BB4_4707 Depth=2
	s_trap 2
	buffer_load_dword v1, off, s[0:3], s33 offset:196 ; 4-byte Folded Reload
	ds_read_b64 v[4:5], v0
	s_waitcnt lgkmcnt(0)
	v_readfirstlane_b32 s16, v4
	s_and_b32 s18, s16, 3
	s_bfe_u32 s23, s16, 0x50002
	s_flbit_i32_b32 s19, s18
	s_min_u32 s19, s19, 32
	s_sub_i32 s22, s19, 29
	s_sub_i32 s19, 30, s19
	s_lshl_b32 s22, s16, s22
	s_and_b32 s22, s22, 3
	s_cmp_eq_u32 s23, 0
	s_cselect_b32 s19, s19, s23
	s_cselect_b32 s18, s22, s18
	s_lshl_b32 s22, s16, 24
	s_lshl_b32 s19, s19, 23
	s_and_b32 s22, s22, 0x80000000
	s_add_i32 s19, s19, 0x37800000
	s_lshl_b32 s23, s18, 21
	s_or_b32 s19, s22, s19
	s_mov_b32 s18, 0
	s_or_b32 s19, s19, s23
	s_and_b32 s22, s16, 0xff
	s_waitcnt vmcnt(0)
	v_add_co_u32 v66, vcc_lo, v53, v1
	v_add_co_ci_u32_e64 v67, null, 0, v54, vcc_lo
	v_add_co_u32 v68, vcc_lo, v64, v1
	v_add_co_ci_u32_e64 v69, null, 0, v65, vcc_lo
	;; [unrolled: 2-line block ×3, first 2 shown]
	s_branch .LBB4_7456
.LBB4_7453:                             ;   in Loop: Header=BB4_7456 Depth=3
	s_or_b32 exec_lo, exec_lo, s16
	v_lshrrev_b32_e32 v82, 21, v82
	v_min_i32_e32 v96, 31, v51
	v_cmp_gt_i32_e32 vcc_lo, 32, v51
	v_and_b32_sdwa v11, v11, v101 dst_sel:DWORD dst_unused:UNUSED_PAD src0_sel:BYTE_3 src1_sel:DWORD
	v_lshlrev_b32_e32 v96, 2, v96
	v_cndmask_b32_e32 v82, 3, v82, vcc_lo
	v_and_b32_e32 v96, 0xfc, v96
	v_and_b32_e32 v115, 3, v82
	v_or_b32_e32 v51, v51, v82
	v_or3_b32 v11, v11, v96, v115
	v_cmp_ne_u32_e32 vcc_lo, 0, v51
	v_lshlrev_b32_e32 v11, 8, v11
	v_cndmask_b32_e32 v51, 0, v11, vcc_lo
.LBB4_7454:                             ;   in Loop: Header=BB4_7456 Depth=3
	s_or_b32 exec_lo, exec_lo, s72
.LBB4_7455:                             ;   in Loop: Header=BB4_7456 Depth=3
	s_or_b32 exec_lo, exec_lo, s23
	v_or_b32_sdwa v11, v13, v110 dst_sel:WORD_1 dst_unused:UNUSED_PAD src0_sel:DWORD src1_sel:DWORD
	v_or_b32_sdwa v13, v12, v79 dst_sel:WORD_1 dst_unused:UNUSED_PAD src0_sel:DWORD src1_sel:DWORD
	v_or_b32_sdwa v14, v14, v19 dst_sel:WORD_1 dst_unused:UNUSED_PAD src0_sel:DWORD src1_sel:DWORD
	v_or_b32_sdwa v9, v9, v35 dst_sel:WORD_1 dst_unused:UNUSED_PAD src0_sel:DWORD src1_sel:DWORD
	v_or_b32_sdwa v4, v5, v4 dst_sel:WORD_1 dst_unused:UNUSED_PAD src0_sel:DWORD src1_sel:DWORD
	v_or3_b32 v12, v107, v95, v11
	v_or3_b32 v11, v74, v83, v13
	;; [unrolled: 1-line block ×3, first 2 shown]
	v_or_b32_sdwa v14, v15, v17 dst_sel:WORD_1 dst_unused:UNUSED_PAD src0_sel:DWORD src1_sel:DWORD
	v_or_b32_sdwa v1, v10, v1 dst_sel:WORD_1 dst_unused:UNUSED_PAD src0_sel:DWORD src1_sel:DWORD
	;; [unrolled: 1-line block ×3, first 2 shown]
	v_sub_nc_u32_e32 v80, v80, v87
	v_or3_b32 v15, v30, v21, v4
	v_or3_b32 v14, v16, v20, v14
	;; [unrolled: 1-line block ×5, first 2 shown]
	v_add_co_u32 v66, vcc_lo, v66, v118
	v_add_co_ci_u32_e64 v67, null, 0, v67, vcc_lo
	v_add_co_u32 v70, vcc_lo, v70, v118
	global_store_dwordx4 v[68:69], v[11:14], off glc slc
	global_store_dwordx4 v[68:69], v[15:18], off offset:512 glc slc
	v_add_co_ci_u32_e64 v71, null, 0, v71, vcc_lo
	v_cmp_gt_i32_e32 vcc_lo, 1, v80
	v_add_co_u32 v68, s16, v68, v118
	v_add_co_ci_u32_e64 v69, null, 0, v69, s16
	s_or_b32 s18, vcc_lo, s18
	s_andn2_b32 exec_lo, exec_lo, s18
	s_cbranch_execz .LBB4_8742
.LBB4_7456:                             ;   Parent Loop BB4_47 Depth=1
                                        ;     Parent Loop BB4_4707 Depth=2
                                        ; =>    This Inner Loop Header: Depth=3
	s_cmpk_lt_i32 s22, 0x80
	s_cbranch_scc1 .LBB4_7460
; %bb.7457:                             ;   in Loop: Header=BB4_7456 Depth=3
	s_and_b32 s16, 0xffff, s22
	s_cmpk_eq_i32 s16, 0x80
	s_mov_b32 s16, -1
	s_cbranch_scc0 .LBB4_7459
; %bb.7458:                             ;   in Loop: Header=BB4_7456 Depth=3
	s_mov_b32 s16, 0
.LBB4_7459:                             ;   in Loop: Header=BB4_7456 Depth=3
	s_mov_b32 s23, 0x7f800001
	s_branch .LBB4_7462
.LBB4_7460:                             ;   in Loop: Header=BB4_7456 Depth=3
	s_mov_b32 s16, 0
	s_mov_b32 s23, 0x7f800001
	s_cbranch_execz .LBB4_7462
; %bb.7461:                             ;   in Loop: Header=BB4_7456 Depth=3
	s_and_b32 s16, 0xffff, s22
	s_mov_b32 s23, 0
	s_cmp_lg_u32 s16, 0
	s_cselect_b32 s16, -1, 0
.LBB4_7462:                             ;   in Loop: Header=BB4_7456 Depth=3
	s_andn2_b32 vcc_lo, exec_lo, s16
	s_cbranch_vccnz .LBB4_7464
; %bb.7463:                             ;   in Loop: Header=BB4_7456 Depth=3
	s_mov_b32 s23, s19
.LBB4_7464:                             ;   in Loop: Header=BB4_7456 Depth=3
	global_load_dwordx4 v[8:11], v[66:67], off slc
	s_mov_b32 s16, 0
	s_waitcnt vmcnt(0)
	v_cmp_gt_i16_sdwa s72, v8, v100 src0_sel:BYTE_0 src1_sel:DWORD
	s_and_saveexec_b32 s73, s72
	s_xor_b32 s72, exec_lo, s73
	s_cbranch_execz .LBB4_8550
; %bb.7465:                             ;   in Loop: Header=BB4_7456 Depth=3
	v_cmp_eq_u16_sdwa s74, v8, v101 src0_sel:BYTE_0 src1_sel:DWORD
	s_mov_b32 s16, -1
	s_and_saveexec_b32 s73, s74
; %bb.7466:                             ;   in Loop: Header=BB4_7456 Depth=3
	s_xor_b32 s16, exec_lo, -1
; %bb.7467:                             ;   in Loop: Header=BB4_7456 Depth=3
	s_or_b32 exec_lo, exec_lo, s73
	s_and_b32 s16, s16, exec_lo
	s_or_saveexec_b32 s72, s72
	v_mov_b32_e32 v1, 0x7f800001
	s_xor_b32 exec_lo, exec_lo, s72
	s_cbranch_execnz .LBB4_8551
.LBB4_7468:                             ;   in Loop: Header=BB4_7456 Depth=3
	s_or_b32 exec_lo, exec_lo, s72
	s_and_saveexec_b32 s72, s16
	s_cbranch_execz .LBB4_7470
.LBB4_7469:                             ;   in Loop: Header=BB4_7456 Depth=3
	v_and_b32_e32 v1, 3, v8
	v_bfe_u32 v12, v8, 2, 5
	v_lshlrev_b32_e32 v13, 24, v8
	v_ffbh_u32_e32 v4, v1
	v_cmp_eq_u32_e32 vcc_lo, 0, v12
	v_min_u32_e32 v4, 32, v4
	v_subrev_nc_u32_e32 v5, 29, v4
	v_sub_nc_u32_e32 v4, 30, v4
	v_lshlrev_b32_e32 v5, v5, v8
	v_cndmask_b32_e32 v4, v12, v4, vcc_lo
	v_and_b32_e32 v5, 3, v5
	v_lshl_add_u32 v4, v4, 23, 0x37800000
	v_cndmask_b32_e32 v1, v1, v5, vcc_lo
	v_and_b32_e32 v5, 0x80000000, v13
	v_lshlrev_b32_e32 v1, 21, v1
	v_or3_b32 v1, v5, v4, v1
.LBB4_7470:                             ;   in Loop: Header=BB4_7456 Depth=3
	s_or_b32 exec_lo, exec_lo, s72
	v_mul_f32_e32 v1, s23, v1
	v_mov_b32_e32 v83, 0x80
	s_mov_b32 s72, exec_lo
	v_and_b32_e32 v4, 0x7f800000, v1
	v_cmpx_ne_u32_e32 0x7f800000, v4
	s_cbranch_execz .LBB4_7478
; %bb.7471:                             ;   in Loop: Header=BB4_7456 Depth=3
	v_mov_b32_e32 v83, 0
	s_mov_b32 s73, exec_lo
	v_cmpx_ne_u32_e32 0, v1
	s_cbranch_execz .LBB4_7477
; %bb.7472:                             ;   in Loop: Header=BB4_7456 Depth=3
	v_bfe_u32 v4, v1, 23, 8
	v_and_b32_e32 v5, 0x7fffff, v1
	v_sub_nc_u32_e32 v12, 0x70, v4
	v_cmp_gt_u32_e32 vcc_lo, 0x71, v4
	v_or_b32_e32 v13, 0x800000, v5
	v_cndmask_b32_e32 v12, 0, v12, vcc_lo
	v_cmp_eq_u32_e32 vcc_lo, 0, v4
	v_add_nc_u32_e32 v4, 0xffffff91, v4
	v_cndmask_b32_e64 v12, v12, 0x6f, vcc_lo
	v_cndmask_b32_e32 v5, v13, v5, vcc_lo
	v_cndmask_b32_e64 v4, v4, 0xffffff92, vcc_lo
	v_lshl_add_u32 v13, 0x200000, v12, -1
	v_lshrrev_b32_e32 v14, v12, v5
	v_lshlrev_b32_e64 v16, v12, 0x100000
	v_add_nc_u32_e32 v12, v12, v4
	v_and_b32_e32 v5, v13, v5
	v_bfe_u32 v15, v14, 21, 1
	v_cmp_eq_u32_e64 s16, v5, v16
	v_add_nc_u32_e32 v13, -1, v15
	v_cndmask_b32_e64 v5, 0, v13, s16
	v_lshrrev_b32_e32 v13, 23, v14
	s_mov_b32 s16, exec_lo
	v_add_nc_u32_e32 v5, v5, v14
	v_xor_b32_e32 v13, 1, v13
	v_and_b32_e32 v4, 0x1fffff, v5
	v_add_nc_u32_e32 v5, v4, v14
                                        ; implicit-def: $vgpr4
	v_cmpx_ne_u32_e64 v12, v13
	s_xor_b32 s16, exec_lo, s16
; %bb.7473:                             ;   in Loop: Header=BB4_7456 Depth=3
	v_cmp_lt_u32_e32 vcc_lo, 0xffffff, v5
	v_sub_nc_u32_e32 v4, v12, v13
	v_cndmask_b32_e64 v12, 0, 1, vcc_lo
	v_add_co_ci_u32_e64 v4, null, 0, v4, vcc_lo
	v_lshrrev_b32_e32 v5, v12, v5
; %bb.7474:                             ;   in Loop: Header=BB4_7456 Depth=3
	s_andn2_saveexec_b32 s16, s16
; %bb.7475:                             ;   in Loop: Header=BB4_7456 Depth=3
	v_bfe_u32 v4, v5, 23, 1
; %bb.7476:                             ;   in Loop: Header=BB4_7456 Depth=3
	s_or_b32 exec_lo, exec_lo, s16
	v_lshrrev_b32_e32 v5, 21, v5
	v_min_i32_e32 v12, 31, v4
	v_cmp_gt_i32_e32 vcc_lo, 32, v4
	v_and_b32_sdwa v1, v1, v101 dst_sel:DWORD dst_unused:UNUSED_PAD src0_sel:BYTE_3 src1_sel:DWORD
	v_lshlrev_b32_e32 v12, 2, v12
	v_cndmask_b32_e32 v5, 3, v5, vcc_lo
	v_and_b32_e32 v12, 0xfc, v12
	v_and_b32_e32 v13, 3, v5
	v_or_b32_e32 v4, v4, v5
	v_or3_b32 v1, v12, v1, v13
	v_cmp_ne_u32_e32 vcc_lo, 0, v4
	v_cndmask_b32_e32 v83, 0, v1, vcc_lo
.LBB4_7477:                             ;   in Loop: Header=BB4_7456 Depth=3
	s_or_b32 exec_lo, exec_lo, s73
.LBB4_7478:                             ;   in Loop: Header=BB4_7456 Depth=3
	s_or_b32 exec_lo, exec_lo, s72
	v_cmp_gt_i16_sdwa s72, v8, v100 src0_sel:BYTE_1 src1_sel:DWORD
	s_mov_b32 s16, 0
	s_and_saveexec_b32 s73, s72
	s_xor_b32 s72, exec_lo, s73
	s_cbranch_execz .LBB4_8552
; %bb.7479:                             ;   in Loop: Header=BB4_7456 Depth=3
	v_cmp_eq_u16_sdwa s74, v8, v101 src0_sel:BYTE_1 src1_sel:DWORD
	s_mov_b32 s16, -1
	s_and_saveexec_b32 s73, s74
; %bb.7480:                             ;   in Loop: Header=BB4_7456 Depth=3
	s_xor_b32 s16, exec_lo, -1
; %bb.7481:                             ;   in Loop: Header=BB4_7456 Depth=3
	s_or_b32 exec_lo, exec_lo, s73
	s_and_b32 s16, s16, exec_lo
	s_or_saveexec_b32 s72, s72
	v_mov_b32_e32 v1, 0x7f800001
	s_xor_b32 exec_lo, exec_lo, s72
	s_cbranch_execnz .LBB4_8553
.LBB4_7482:                             ;   in Loop: Header=BB4_7456 Depth=3
	s_or_b32 exec_lo, exec_lo, s72
	s_and_saveexec_b32 s72, s16
	s_cbranch_execz .LBB4_7484
.LBB4_7483:                             ;   in Loop: Header=BB4_7456 Depth=3
	v_and_b32_sdwa v1, v102, v8 dst_sel:DWORD dst_unused:UNUSED_PAD src0_sel:DWORD src1_sel:BYTE_1
	v_and_b32_e32 v4, 3, v1
	v_bfe_u32 v13, v1, 2, 5
	v_ffbh_u32_e32 v5, v4
	v_cmp_eq_u32_e32 vcc_lo, 0, v13
	v_min_u32_e32 v5, 32, v5
	v_subrev_nc_u32_e32 v12, 29, v5
	v_sub_nc_u32_e32 v5, 30, v5
	v_lshlrev_b32_e32 v1, v12, v1
	v_lshlrev_b32_sdwa v12, v103, v8 dst_sel:DWORD dst_unused:UNUSED_PAD src0_sel:DWORD src1_sel:BYTE_1
	v_cndmask_b32_e32 v5, v13, v5, vcc_lo
	v_and_b32_e32 v1, 3, v1
	v_lshl_add_u32 v5, v5, 23, 0x37800000
	v_cndmask_b32_e32 v1, v4, v1, vcc_lo
	v_and_b32_e32 v4, 0x80000000, v12
	v_lshlrev_b32_e32 v1, 21, v1
	v_or3_b32 v1, v4, v5, v1
.LBB4_7484:                             ;   in Loop: Header=BB4_7456 Depth=3
	s_or_b32 exec_lo, exec_lo, s72
	v_mul_f32_e32 v1, s23, v1
	v_mov_b32_e32 v20, 0x8000
	s_mov_b32 s72, exec_lo
	v_and_b32_e32 v4, 0x7f800000, v1
	v_cmpx_ne_u32_e32 0x7f800000, v4
	s_cbranch_execz .LBB4_7492
; %bb.7485:                             ;   in Loop: Header=BB4_7456 Depth=3
	v_mov_b32_e32 v20, 0
	s_mov_b32 s73, exec_lo
	v_cmpx_ne_u32_e32 0, v1
	s_cbranch_execz .LBB4_7491
; %bb.7486:                             ;   in Loop: Header=BB4_7456 Depth=3
	v_bfe_u32 v4, v1, 23, 8
	v_and_b32_e32 v5, 0x7fffff, v1
	v_sub_nc_u32_e32 v12, 0x70, v4
	v_cmp_gt_u32_e32 vcc_lo, 0x71, v4
	v_or_b32_e32 v13, 0x800000, v5
	v_cndmask_b32_e32 v12, 0, v12, vcc_lo
	v_cmp_eq_u32_e32 vcc_lo, 0, v4
	v_add_nc_u32_e32 v4, 0xffffff91, v4
	v_cndmask_b32_e64 v12, v12, 0x6f, vcc_lo
	v_cndmask_b32_e32 v5, v13, v5, vcc_lo
	v_cndmask_b32_e64 v4, v4, 0xffffff92, vcc_lo
	v_lshl_add_u32 v13, 0x200000, v12, -1
	v_lshrrev_b32_e32 v14, v12, v5
	v_lshlrev_b32_e64 v16, v12, 0x100000
	v_add_nc_u32_e32 v12, v12, v4
	v_and_b32_e32 v5, v13, v5
	v_bfe_u32 v15, v14, 21, 1
	v_cmp_eq_u32_e64 s16, v5, v16
	v_add_nc_u32_e32 v13, -1, v15
	v_cndmask_b32_e64 v5, 0, v13, s16
	v_lshrrev_b32_e32 v13, 23, v14
	s_mov_b32 s16, exec_lo
	v_add_nc_u32_e32 v5, v5, v14
	v_xor_b32_e32 v13, 1, v13
	v_and_b32_e32 v4, 0x1fffff, v5
	v_add_nc_u32_e32 v5, v4, v14
                                        ; implicit-def: $vgpr4
	v_cmpx_ne_u32_e64 v12, v13
	s_xor_b32 s16, exec_lo, s16
; %bb.7487:                             ;   in Loop: Header=BB4_7456 Depth=3
	v_cmp_lt_u32_e32 vcc_lo, 0xffffff, v5
	v_sub_nc_u32_e32 v4, v12, v13
	v_cndmask_b32_e64 v12, 0, 1, vcc_lo
	v_add_co_ci_u32_e64 v4, null, 0, v4, vcc_lo
	v_lshrrev_b32_e32 v5, v12, v5
; %bb.7488:                             ;   in Loop: Header=BB4_7456 Depth=3
	s_andn2_saveexec_b32 s16, s16
; %bb.7489:                             ;   in Loop: Header=BB4_7456 Depth=3
	v_bfe_u32 v4, v5, 23, 1
; %bb.7490:                             ;   in Loop: Header=BB4_7456 Depth=3
	s_or_b32 exec_lo, exec_lo, s16
	v_lshrrev_b32_e32 v5, 21, v5
	v_min_i32_e32 v12, 31, v4
	v_cmp_gt_i32_e32 vcc_lo, 32, v4
	v_and_b32_sdwa v1, v1, v101 dst_sel:DWORD dst_unused:UNUSED_PAD src0_sel:BYTE_3 src1_sel:DWORD
	v_lshlrev_b32_e32 v12, 2, v12
	v_cndmask_b32_e32 v5, 3, v5, vcc_lo
	v_and_b32_e32 v12, 0xfc, v12
	v_and_b32_e32 v13, 3, v5
	v_or_b32_e32 v4, v4, v5
	v_or3_b32 v1, v1, v12, v13
	v_cmp_ne_u32_e32 vcc_lo, 0, v4
	v_lshlrev_b32_e32 v1, 8, v1
	v_cndmask_b32_e32 v20, 0, v1, vcc_lo
.LBB4_7491:                             ;   in Loop: Header=BB4_7456 Depth=3
	s_or_b32 exec_lo, exec_lo, s73
.LBB4_7492:                             ;   in Loop: Header=BB4_7456 Depth=3
	s_or_b32 exec_lo, exec_lo, s72
	v_and_b32_sdwa v4, v8, v112 dst_sel:DWORD dst_unused:UNUSED_PAD src0_sel:WORD_1 src1_sel:DWORD
	s_mov_b32 s16, 0
	s_mov_b32 s72, exec_lo
	v_cmpx_lt_i16_e32 0x7f, v4
	s_xor_b32 s72, exec_lo, s72
	s_cbranch_execz .LBB4_8554
; %bb.7493:                             ;   in Loop: Header=BB4_7456 Depth=3
	s_mov_b32 s16, -1
	s_mov_b32 s73, exec_lo
	v_cmpx_eq_u16_e32 0x80, v4
; %bb.7494:                             ;   in Loop: Header=BB4_7456 Depth=3
	s_xor_b32 s16, exec_lo, -1
; %bb.7495:                             ;   in Loop: Header=BB4_7456 Depth=3
	s_or_b32 exec_lo, exec_lo, s73
	s_and_b32 s16, s16, exec_lo
                                        ; implicit-def: $vgpr4
	s_or_saveexec_b32 s72, s72
	v_mov_b32_e32 v1, 0x7f800001
	s_xor_b32 exec_lo, exec_lo, s72
	s_cbranch_execnz .LBB4_8555
.LBB4_7496:                             ;   in Loop: Header=BB4_7456 Depth=3
	s_or_b32 exec_lo, exec_lo, s72
	s_and_saveexec_b32 s72, s16
	s_cbranch_execz .LBB4_7498
.LBB4_7497:                             ;   in Loop: Header=BB4_7456 Depth=3
	v_bfe_u32 v1, v8, 16, 2
	v_bfe_u32 v12, v8, 18, 5
	v_lshlrev_b32_e32 v13, 8, v8
	v_ffbh_u32_e32 v4, v1
	v_cmp_eq_u32_e32 vcc_lo, 0, v12
	v_min_u32_e32 v4, 32, v4
	v_subrev_nc_u32_e32 v5, 29, v4
	v_sub_nc_u32_e32 v4, 30, v4
	v_lshlrev_b32_sdwa v5, v5, v8 dst_sel:DWORD dst_unused:UNUSED_PAD src0_sel:DWORD src1_sel:WORD_1
	v_cndmask_b32_e32 v4, v12, v4, vcc_lo
	v_and_b32_e32 v5, 3, v5
	v_lshl_add_u32 v4, v4, 23, 0x37800000
	v_cndmask_b32_e32 v1, v1, v5, vcc_lo
	v_and_b32_e32 v5, 0x80000000, v13
	v_lshlrev_b32_e32 v1, 21, v1
	v_or3_b32 v1, v5, v4, v1
.LBB4_7498:                             ;   in Loop: Header=BB4_7456 Depth=3
	s_or_b32 exec_lo, exec_lo, s72
	v_mul_f32_e32 v1, s23, v1
	v_mov_b32_e32 v79, 0x80
	s_mov_b32 s72, exec_lo
	v_and_b32_e32 v4, 0x7f800000, v1
	v_cmpx_ne_u32_e32 0x7f800000, v4
	s_cbranch_execz .LBB4_7506
; %bb.7499:                             ;   in Loop: Header=BB4_7456 Depth=3
	v_mov_b32_e32 v79, 0
	s_mov_b32 s73, exec_lo
	v_cmpx_ne_u32_e32 0, v1
	s_cbranch_execz .LBB4_7505
; %bb.7500:                             ;   in Loop: Header=BB4_7456 Depth=3
	v_bfe_u32 v4, v1, 23, 8
	v_and_b32_e32 v5, 0x7fffff, v1
	v_sub_nc_u32_e32 v12, 0x70, v4
	v_cmp_gt_u32_e32 vcc_lo, 0x71, v4
	v_or_b32_e32 v13, 0x800000, v5
	v_cndmask_b32_e32 v12, 0, v12, vcc_lo
	v_cmp_eq_u32_e32 vcc_lo, 0, v4
	v_add_nc_u32_e32 v4, 0xffffff91, v4
	v_cndmask_b32_e64 v12, v12, 0x6f, vcc_lo
	v_cndmask_b32_e32 v5, v13, v5, vcc_lo
	v_cndmask_b32_e64 v4, v4, 0xffffff92, vcc_lo
	v_lshl_add_u32 v13, 0x200000, v12, -1
	v_lshrrev_b32_e32 v14, v12, v5
	v_lshlrev_b32_e64 v16, v12, 0x100000
	v_add_nc_u32_e32 v12, v12, v4
	v_and_b32_e32 v5, v13, v5
	v_bfe_u32 v15, v14, 21, 1
	v_cmp_eq_u32_e64 s16, v5, v16
	v_add_nc_u32_e32 v13, -1, v15
	v_cndmask_b32_e64 v5, 0, v13, s16
	v_lshrrev_b32_e32 v13, 23, v14
	s_mov_b32 s16, exec_lo
	v_add_nc_u32_e32 v5, v5, v14
	v_xor_b32_e32 v13, 1, v13
	v_and_b32_e32 v4, 0x1fffff, v5
	v_add_nc_u32_e32 v5, v4, v14
                                        ; implicit-def: $vgpr4
	v_cmpx_ne_u32_e64 v12, v13
	s_xor_b32 s16, exec_lo, s16
; %bb.7501:                             ;   in Loop: Header=BB4_7456 Depth=3
	v_cmp_lt_u32_e32 vcc_lo, 0xffffff, v5
	v_sub_nc_u32_e32 v4, v12, v13
	v_cndmask_b32_e64 v12, 0, 1, vcc_lo
	v_add_co_ci_u32_e64 v4, null, 0, v4, vcc_lo
	v_lshrrev_b32_e32 v5, v12, v5
; %bb.7502:                             ;   in Loop: Header=BB4_7456 Depth=3
	s_andn2_saveexec_b32 s16, s16
; %bb.7503:                             ;   in Loop: Header=BB4_7456 Depth=3
	v_bfe_u32 v4, v5, 23, 1
; %bb.7504:                             ;   in Loop: Header=BB4_7456 Depth=3
	s_or_b32 exec_lo, exec_lo, s16
	v_lshrrev_b32_e32 v5, 21, v5
	v_min_i32_e32 v12, 31, v4
	v_cmp_gt_i32_e32 vcc_lo, 32, v4
	v_and_b32_sdwa v1, v1, v101 dst_sel:DWORD dst_unused:UNUSED_PAD src0_sel:BYTE_3 src1_sel:DWORD
	v_lshlrev_b32_e32 v12, 2, v12
	v_cndmask_b32_e32 v5, 3, v5, vcc_lo
	v_and_b32_e32 v12, 0xfc, v12
	v_and_b32_e32 v13, 3, v5
	v_or_b32_e32 v4, v4, v5
	v_or3_b32 v1, v12, v1, v13
	v_cmp_ne_u32_e32 vcc_lo, 0, v4
	v_cndmask_b32_e32 v79, 0, v1, vcc_lo
.LBB4_7505:                             ;   in Loop: Header=BB4_7456 Depth=3
	s_or_b32 exec_lo, exec_lo, s73
.LBB4_7506:                             ;   in Loop: Header=BB4_7456 Depth=3
	s_or_b32 exec_lo, exec_lo, s72
	v_cmp_gt_i16_sdwa s72, v8, v100 src0_sel:BYTE_3 src1_sel:DWORD
	s_mov_b32 s16, 0
	s_and_saveexec_b32 s73, s72
	s_xor_b32 s72, exec_lo, s73
	s_cbranch_execz .LBB4_8556
; %bb.7507:                             ;   in Loop: Header=BB4_7456 Depth=3
	v_cmp_eq_u16_sdwa s74, v8, v101 src0_sel:BYTE_3 src1_sel:DWORD
	s_mov_b32 s16, -1
	s_and_saveexec_b32 s73, s74
; %bb.7508:                             ;   in Loop: Header=BB4_7456 Depth=3
	s_xor_b32 s16, exec_lo, -1
; %bb.7509:                             ;   in Loop: Header=BB4_7456 Depth=3
	s_or_b32 exec_lo, exec_lo, s73
	s_and_b32 s16, s16, exec_lo
	s_or_saveexec_b32 s72, s72
	v_mov_b32_e32 v1, 0x7f800001
	s_xor_b32 exec_lo, exec_lo, s72
	s_cbranch_execnz .LBB4_8557
.LBB4_7510:                             ;   in Loop: Header=BB4_7456 Depth=3
	s_or_b32 exec_lo, exec_lo, s72
	s_and_saveexec_b32 s72, s16
	s_cbranch_execz .LBB4_7512
.LBB4_7511:                             ;   in Loop: Header=BB4_7456 Depth=3
	v_bfe_u32 v1, v8, 24, 2
	v_bfe_u32 v12, v8, 26, 5
	v_ffbh_u32_e32 v4, v1
	v_cmp_eq_u32_e32 vcc_lo, 0, v12
	v_min_u32_e32 v4, 32, v4
	v_subrev_nc_u32_e32 v5, 29, v4
	v_sub_nc_u32_e32 v4, 30, v4
	v_lshlrev_b32_sdwa v5, v5, v8 dst_sel:DWORD dst_unused:UNUSED_PAD src0_sel:DWORD src1_sel:BYTE_3
	v_cndmask_b32_e32 v4, v12, v4, vcc_lo
	v_and_b32_e32 v5, 3, v5
	v_lshl_add_u32 v4, v4, 23, 0x37800000
	v_cndmask_b32_e32 v1, v1, v5, vcc_lo
	v_and_b32_e32 v5, 0x80000000, v8
	v_lshlrev_b32_e32 v1, 21, v1
	v_or3_b32 v1, v5, v4, v1
.LBB4_7512:                             ;   in Loop: Header=BB4_7456 Depth=3
	s_or_b32 exec_lo, exec_lo, s72
	v_mul_f32_e32 v1, s23, v1
	v_mov_b32_e32 v30, 0x8000
	s_mov_b32 s72, exec_lo
	v_and_b32_e32 v4, 0x7f800000, v1
	v_cmpx_ne_u32_e32 0x7f800000, v4
	s_cbranch_execz .LBB4_7520
; %bb.7513:                             ;   in Loop: Header=BB4_7456 Depth=3
	v_mov_b32_e32 v30, 0
	s_mov_b32 s73, exec_lo
	v_cmpx_ne_u32_e32 0, v1
	s_cbranch_execz .LBB4_7519
; %bb.7514:                             ;   in Loop: Header=BB4_7456 Depth=3
	v_bfe_u32 v4, v1, 23, 8
	v_and_b32_e32 v5, 0x7fffff, v1
	v_sub_nc_u32_e32 v8, 0x70, v4
	v_cmp_gt_u32_e32 vcc_lo, 0x71, v4
	v_or_b32_e32 v12, 0x800000, v5
	v_cndmask_b32_e32 v8, 0, v8, vcc_lo
	v_cmp_eq_u32_e32 vcc_lo, 0, v4
	v_add_nc_u32_e32 v4, 0xffffff91, v4
	v_cndmask_b32_e64 v8, v8, 0x6f, vcc_lo
	v_cndmask_b32_e32 v5, v12, v5, vcc_lo
	v_cndmask_b32_e64 v4, v4, 0xffffff92, vcc_lo
	v_lshl_add_u32 v12, 0x200000, v8, -1
	v_lshrrev_b32_e32 v13, v8, v5
	v_lshlrev_b32_e64 v15, v8, 0x100000
	v_add_nc_u32_e32 v8, v8, v4
	v_and_b32_e32 v5, v12, v5
	v_bfe_u32 v14, v13, 21, 1
	v_cmp_eq_u32_e64 s16, v5, v15
	v_add_nc_u32_e32 v12, -1, v14
	v_cndmask_b32_e64 v5, 0, v12, s16
	v_lshrrev_b32_e32 v12, 23, v13
	s_mov_b32 s16, exec_lo
	v_add_nc_u32_e32 v5, v5, v13
	v_xor_b32_e32 v12, 1, v12
	v_and_b32_e32 v4, 0x1fffff, v5
	v_add_nc_u32_e32 v5, v4, v13
                                        ; implicit-def: $vgpr4
	v_cmpx_ne_u32_e64 v8, v12
	s_xor_b32 s16, exec_lo, s16
; %bb.7515:                             ;   in Loop: Header=BB4_7456 Depth=3
	v_cmp_lt_u32_e32 vcc_lo, 0xffffff, v5
	v_sub_nc_u32_e32 v4, v8, v12
	v_cndmask_b32_e64 v8, 0, 1, vcc_lo
	v_add_co_ci_u32_e64 v4, null, 0, v4, vcc_lo
	v_lshrrev_b32_e32 v5, v8, v5
; %bb.7516:                             ;   in Loop: Header=BB4_7456 Depth=3
	s_andn2_saveexec_b32 s16, s16
; %bb.7517:                             ;   in Loop: Header=BB4_7456 Depth=3
	v_bfe_u32 v4, v5, 23, 1
; %bb.7518:                             ;   in Loop: Header=BB4_7456 Depth=3
	s_or_b32 exec_lo, exec_lo, s16
	v_lshrrev_b32_e32 v5, 21, v5
	v_min_i32_e32 v8, 31, v4
	v_cmp_gt_i32_e32 vcc_lo, 32, v4
	v_and_b32_sdwa v1, v1, v101 dst_sel:DWORD dst_unused:UNUSED_PAD src0_sel:BYTE_3 src1_sel:DWORD
	v_lshlrev_b32_e32 v8, 2, v8
	v_cndmask_b32_e32 v5, 3, v5, vcc_lo
	v_and_b32_e32 v8, 0xfc, v8
	v_and_b32_e32 v12, 3, v5
	v_or_b32_e32 v4, v4, v5
	v_or3_b32 v1, v1, v8, v12
	v_cmp_ne_u32_e32 vcc_lo, 0, v4
	v_lshlrev_b32_e32 v1, 8, v1
	v_cndmask_b32_e32 v30, 0, v1, vcc_lo
.LBB4_7519:                             ;   in Loop: Header=BB4_7456 Depth=3
	s_or_b32 exec_lo, exec_lo, s73
.LBB4_7520:                             ;   in Loop: Header=BB4_7456 Depth=3
	s_or_b32 exec_lo, exec_lo, s72
	v_cmp_gt_i16_sdwa s72, v9, v100 src0_sel:BYTE_0 src1_sel:DWORD
	s_mov_b32 s16, 0
	s_and_saveexec_b32 s73, s72
	s_xor_b32 s72, exec_lo, s73
	s_cbranch_execz .LBB4_8558
; %bb.7521:                             ;   in Loop: Header=BB4_7456 Depth=3
	v_cmp_eq_u16_sdwa s74, v9, v101 src0_sel:BYTE_0 src1_sel:DWORD
	s_mov_b32 s16, -1
	s_and_saveexec_b32 s73, s74
; %bb.7522:                             ;   in Loop: Header=BB4_7456 Depth=3
	s_xor_b32 s16, exec_lo, -1
; %bb.7523:                             ;   in Loop: Header=BB4_7456 Depth=3
	s_or_b32 exec_lo, exec_lo, s73
	s_and_b32 s16, s16, exec_lo
	s_or_saveexec_b32 s72, s72
	v_mov_b32_e32 v1, 0x7f800001
	s_xor_b32 exec_lo, exec_lo, s72
	s_cbranch_execnz .LBB4_8559
.LBB4_7524:                             ;   in Loop: Header=BB4_7456 Depth=3
	s_or_b32 exec_lo, exec_lo, s72
	s_and_saveexec_b32 s72, s16
	s_cbranch_execz .LBB4_7526
.LBB4_7525:                             ;   in Loop: Header=BB4_7456 Depth=3
	v_and_b32_e32 v1, 3, v9
	v_bfe_u32 v8, v9, 2, 5
	v_lshlrev_b32_e32 v12, 24, v9
	v_ffbh_u32_e32 v4, v1
	v_cmp_eq_u32_e32 vcc_lo, 0, v8
	v_min_u32_e32 v4, 32, v4
	v_subrev_nc_u32_e32 v5, 29, v4
	v_sub_nc_u32_e32 v4, 30, v4
	v_lshlrev_b32_e32 v5, v5, v9
	v_cndmask_b32_e32 v4, v8, v4, vcc_lo
	v_and_b32_e32 v5, 3, v5
	v_lshl_add_u32 v4, v4, 23, 0x37800000
	v_cndmask_b32_e32 v1, v1, v5, vcc_lo
	v_and_b32_e32 v5, 0x80000000, v12
	v_lshlrev_b32_e32 v1, 21, v1
	v_or3_b32 v1, v5, v4, v1
.LBB4_7526:                             ;   in Loop: Header=BB4_7456 Depth=3
	s_or_b32 exec_lo, exec_lo, s72
	v_mul_f32_e32 v1, s23, v1
	v_mov_b32_e32 v18, 0x80
	s_mov_b32 s72, exec_lo
	v_and_b32_e32 v4, 0x7f800000, v1
	v_cmpx_ne_u32_e32 0x7f800000, v4
	s_cbranch_execz .LBB4_7534
; %bb.7527:                             ;   in Loop: Header=BB4_7456 Depth=3
	v_mov_b32_e32 v18, 0
	s_mov_b32 s73, exec_lo
	v_cmpx_ne_u32_e32 0, v1
	s_cbranch_execz .LBB4_7533
; %bb.7528:                             ;   in Loop: Header=BB4_7456 Depth=3
	v_bfe_u32 v4, v1, 23, 8
	v_and_b32_e32 v5, 0x7fffff, v1
	v_sub_nc_u32_e32 v8, 0x70, v4
	v_cmp_gt_u32_e32 vcc_lo, 0x71, v4
	v_or_b32_e32 v12, 0x800000, v5
	v_cndmask_b32_e32 v8, 0, v8, vcc_lo
	v_cmp_eq_u32_e32 vcc_lo, 0, v4
	v_add_nc_u32_e32 v4, 0xffffff91, v4
	v_cndmask_b32_e64 v8, v8, 0x6f, vcc_lo
	v_cndmask_b32_e32 v5, v12, v5, vcc_lo
	v_cndmask_b32_e64 v4, v4, 0xffffff92, vcc_lo
	v_lshl_add_u32 v12, 0x200000, v8, -1
	v_lshrrev_b32_e32 v13, v8, v5
	v_lshlrev_b32_e64 v15, v8, 0x100000
	v_add_nc_u32_e32 v8, v8, v4
	v_and_b32_e32 v5, v12, v5
	v_bfe_u32 v14, v13, 21, 1
	v_cmp_eq_u32_e64 s16, v5, v15
	v_add_nc_u32_e32 v12, -1, v14
	v_cndmask_b32_e64 v5, 0, v12, s16
	v_lshrrev_b32_e32 v12, 23, v13
	s_mov_b32 s16, exec_lo
	v_add_nc_u32_e32 v5, v5, v13
	v_xor_b32_e32 v12, 1, v12
	v_and_b32_e32 v4, 0x1fffff, v5
	v_add_nc_u32_e32 v5, v4, v13
                                        ; implicit-def: $vgpr4
	v_cmpx_ne_u32_e64 v8, v12
	s_xor_b32 s16, exec_lo, s16
; %bb.7529:                             ;   in Loop: Header=BB4_7456 Depth=3
	v_cmp_lt_u32_e32 vcc_lo, 0xffffff, v5
	v_sub_nc_u32_e32 v4, v8, v12
	v_cndmask_b32_e64 v8, 0, 1, vcc_lo
	v_add_co_ci_u32_e64 v4, null, 0, v4, vcc_lo
	v_lshrrev_b32_e32 v5, v8, v5
; %bb.7530:                             ;   in Loop: Header=BB4_7456 Depth=3
	s_andn2_saveexec_b32 s16, s16
; %bb.7531:                             ;   in Loop: Header=BB4_7456 Depth=3
	v_bfe_u32 v4, v5, 23, 1
; %bb.7532:                             ;   in Loop: Header=BB4_7456 Depth=3
	s_or_b32 exec_lo, exec_lo, s16
	v_lshrrev_b32_e32 v5, 21, v5
	v_min_i32_e32 v8, 31, v4
	v_cmp_gt_i32_e32 vcc_lo, 32, v4
	v_and_b32_sdwa v1, v1, v101 dst_sel:DWORD dst_unused:UNUSED_PAD src0_sel:BYTE_3 src1_sel:DWORD
	v_lshlrev_b32_e32 v8, 2, v8
	v_cndmask_b32_e32 v5, 3, v5, vcc_lo
	v_and_b32_e32 v8, 0xfc, v8
	v_and_b32_e32 v12, 3, v5
	v_or_b32_e32 v4, v4, v5
	v_or3_b32 v1, v8, v1, v12
	v_cmp_ne_u32_e32 vcc_lo, 0, v4
	v_cndmask_b32_e32 v18, 0, v1, vcc_lo
.LBB4_7533:                             ;   in Loop: Header=BB4_7456 Depth=3
	s_or_b32 exec_lo, exec_lo, s73
.LBB4_7534:                             ;   in Loop: Header=BB4_7456 Depth=3
	s_or_b32 exec_lo, exec_lo, s72
	v_cmp_gt_i16_sdwa s72, v9, v100 src0_sel:BYTE_1 src1_sel:DWORD
	s_mov_b32 s16, 0
	s_and_saveexec_b32 s73, s72
	s_xor_b32 s72, exec_lo, s73
	s_cbranch_execz .LBB4_8560
; %bb.7535:                             ;   in Loop: Header=BB4_7456 Depth=3
	v_cmp_eq_u16_sdwa s74, v9, v101 src0_sel:BYTE_1 src1_sel:DWORD
	s_mov_b32 s16, -1
	s_and_saveexec_b32 s73, s74
; %bb.7536:                             ;   in Loop: Header=BB4_7456 Depth=3
	s_xor_b32 s16, exec_lo, -1
; %bb.7537:                             ;   in Loop: Header=BB4_7456 Depth=3
	s_or_b32 exec_lo, exec_lo, s73
	s_and_b32 s16, s16, exec_lo
	s_or_saveexec_b32 s72, s72
	v_mov_b32_e32 v1, 0x7f800001
	s_xor_b32 exec_lo, exec_lo, s72
	s_cbranch_execnz .LBB4_8561
.LBB4_7538:                             ;   in Loop: Header=BB4_7456 Depth=3
	s_or_b32 exec_lo, exec_lo, s72
	s_and_saveexec_b32 s72, s16
	s_cbranch_execz .LBB4_7540
.LBB4_7539:                             ;   in Loop: Header=BB4_7456 Depth=3
	v_and_b32_sdwa v1, v102, v9 dst_sel:DWORD dst_unused:UNUSED_PAD src0_sel:DWORD src1_sel:BYTE_1
	v_and_b32_e32 v4, 3, v1
	v_bfe_u32 v12, v1, 2, 5
	v_ffbh_u32_e32 v5, v4
	v_cmp_eq_u32_e32 vcc_lo, 0, v12
	v_min_u32_e32 v5, 32, v5
	v_subrev_nc_u32_e32 v8, 29, v5
	v_sub_nc_u32_e32 v5, 30, v5
	v_lshlrev_b32_e32 v1, v8, v1
	v_lshlrev_b32_sdwa v8, v103, v9 dst_sel:DWORD dst_unused:UNUSED_PAD src0_sel:DWORD src1_sel:BYTE_1
	v_cndmask_b32_e32 v5, v12, v5, vcc_lo
	v_and_b32_e32 v1, 3, v1
	v_lshl_add_u32 v5, v5, 23, 0x37800000
	v_cndmask_b32_e32 v1, v4, v1, vcc_lo
	v_and_b32_e32 v4, 0x80000000, v8
	v_lshlrev_b32_e32 v1, 21, v1
	v_or3_b32 v1, v4, v5, v1
.LBB4_7540:                             ;   in Loop: Header=BB4_7456 Depth=3
	s_or_b32 exec_lo, exec_lo, s72
	v_mul_f32_e32 v1, s23, v1
	v_mov_b32_e32 v19, 0x8000
	s_mov_b32 s72, exec_lo
	v_and_b32_e32 v4, 0x7f800000, v1
	v_cmpx_ne_u32_e32 0x7f800000, v4
	s_cbranch_execz .LBB4_7548
; %bb.7541:                             ;   in Loop: Header=BB4_7456 Depth=3
	v_mov_b32_e32 v19, 0
	s_mov_b32 s73, exec_lo
	v_cmpx_ne_u32_e32 0, v1
	s_cbranch_execz .LBB4_7547
; %bb.7542:                             ;   in Loop: Header=BB4_7456 Depth=3
	v_bfe_u32 v4, v1, 23, 8
	v_and_b32_e32 v5, 0x7fffff, v1
	v_sub_nc_u32_e32 v8, 0x70, v4
	v_cmp_gt_u32_e32 vcc_lo, 0x71, v4
	v_or_b32_e32 v12, 0x800000, v5
	v_cndmask_b32_e32 v8, 0, v8, vcc_lo
	v_cmp_eq_u32_e32 vcc_lo, 0, v4
	v_add_nc_u32_e32 v4, 0xffffff91, v4
	v_cndmask_b32_e64 v8, v8, 0x6f, vcc_lo
	v_cndmask_b32_e32 v5, v12, v5, vcc_lo
	v_cndmask_b32_e64 v4, v4, 0xffffff92, vcc_lo
	v_lshl_add_u32 v12, 0x200000, v8, -1
	v_lshrrev_b32_e32 v13, v8, v5
	v_lshlrev_b32_e64 v15, v8, 0x100000
	v_add_nc_u32_e32 v8, v8, v4
	v_and_b32_e32 v5, v12, v5
	v_bfe_u32 v14, v13, 21, 1
	v_cmp_eq_u32_e64 s16, v5, v15
	v_add_nc_u32_e32 v12, -1, v14
	v_cndmask_b32_e64 v5, 0, v12, s16
	v_lshrrev_b32_e32 v12, 23, v13
	s_mov_b32 s16, exec_lo
	v_add_nc_u32_e32 v5, v5, v13
	v_xor_b32_e32 v12, 1, v12
	v_and_b32_e32 v4, 0x1fffff, v5
	v_add_nc_u32_e32 v5, v4, v13
                                        ; implicit-def: $vgpr4
	v_cmpx_ne_u32_e64 v8, v12
	s_xor_b32 s16, exec_lo, s16
; %bb.7543:                             ;   in Loop: Header=BB4_7456 Depth=3
	v_cmp_lt_u32_e32 vcc_lo, 0xffffff, v5
	v_sub_nc_u32_e32 v4, v8, v12
	v_cndmask_b32_e64 v8, 0, 1, vcc_lo
	v_add_co_ci_u32_e64 v4, null, 0, v4, vcc_lo
	v_lshrrev_b32_e32 v5, v8, v5
; %bb.7544:                             ;   in Loop: Header=BB4_7456 Depth=3
	s_andn2_saveexec_b32 s16, s16
; %bb.7545:                             ;   in Loop: Header=BB4_7456 Depth=3
	v_bfe_u32 v4, v5, 23, 1
; %bb.7546:                             ;   in Loop: Header=BB4_7456 Depth=3
	s_or_b32 exec_lo, exec_lo, s16
	v_lshrrev_b32_e32 v5, 21, v5
	v_min_i32_e32 v8, 31, v4
	v_cmp_gt_i32_e32 vcc_lo, 32, v4
	v_and_b32_sdwa v1, v1, v101 dst_sel:DWORD dst_unused:UNUSED_PAD src0_sel:BYTE_3 src1_sel:DWORD
	v_lshlrev_b32_e32 v8, 2, v8
	v_cndmask_b32_e32 v5, 3, v5, vcc_lo
	v_and_b32_e32 v8, 0xfc, v8
	v_and_b32_e32 v12, 3, v5
	v_or_b32_e32 v4, v4, v5
	v_or3_b32 v1, v1, v8, v12
	v_cmp_ne_u32_e32 vcc_lo, 0, v4
	v_lshlrev_b32_e32 v1, 8, v1
	v_cndmask_b32_e32 v19, 0, v1, vcc_lo
.LBB4_7547:                             ;   in Loop: Header=BB4_7456 Depth=3
	s_or_b32 exec_lo, exec_lo, s73
.LBB4_7548:                             ;   in Loop: Header=BB4_7456 Depth=3
	s_or_b32 exec_lo, exec_lo, s72
	v_and_b32_sdwa v4, v9, v112 dst_sel:DWORD dst_unused:UNUSED_PAD src0_sel:WORD_1 src1_sel:DWORD
	s_mov_b32 s16, 0
	s_mov_b32 s72, exec_lo
	v_cmpx_lt_i16_e32 0x7f, v4
	s_xor_b32 s72, exec_lo, s72
	s_cbranch_execz .LBB4_8562
; %bb.7549:                             ;   in Loop: Header=BB4_7456 Depth=3
	s_mov_b32 s16, -1
	s_mov_b32 s73, exec_lo
	v_cmpx_eq_u16_e32 0x80, v4
; %bb.7550:                             ;   in Loop: Header=BB4_7456 Depth=3
	s_xor_b32 s16, exec_lo, -1
; %bb.7551:                             ;   in Loop: Header=BB4_7456 Depth=3
	s_or_b32 exec_lo, exec_lo, s73
	s_and_b32 s16, s16, exec_lo
                                        ; implicit-def: $vgpr4
	s_or_saveexec_b32 s72, s72
	v_mov_b32_e32 v1, 0x7f800001
	s_xor_b32 exec_lo, exec_lo, s72
	s_cbranch_execnz .LBB4_8563
.LBB4_7552:                             ;   in Loop: Header=BB4_7456 Depth=3
	s_or_b32 exec_lo, exec_lo, s72
	s_and_saveexec_b32 s72, s16
	s_cbranch_execz .LBB4_7554
.LBB4_7553:                             ;   in Loop: Header=BB4_7456 Depth=3
	v_bfe_u32 v1, v9, 16, 2
	v_bfe_u32 v8, v9, 18, 5
	v_lshlrev_b32_e32 v12, 8, v9
	v_ffbh_u32_e32 v4, v1
	v_cmp_eq_u32_e32 vcc_lo, 0, v8
	v_min_u32_e32 v4, 32, v4
	v_subrev_nc_u32_e32 v5, 29, v4
	v_sub_nc_u32_e32 v4, 30, v4
	v_lshlrev_b32_sdwa v5, v5, v9 dst_sel:DWORD dst_unused:UNUSED_PAD src0_sel:DWORD src1_sel:WORD_1
	v_cndmask_b32_e32 v4, v8, v4, vcc_lo
	v_and_b32_e32 v5, 3, v5
	v_lshl_add_u32 v4, v4, 23, 0x37800000
	v_cndmask_b32_e32 v1, v1, v5, vcc_lo
	v_and_b32_e32 v5, 0x80000000, v12
	v_lshlrev_b32_e32 v1, 21, v1
	v_or3_b32 v1, v5, v4, v1
.LBB4_7554:                             ;   in Loop: Header=BB4_7456 Depth=3
	s_or_b32 exec_lo, exec_lo, s72
	v_mul_f32_e32 v1, s23, v1
	v_mov_b32_e32 v110, 0x80
	s_mov_b32 s72, exec_lo
	v_and_b32_e32 v4, 0x7f800000, v1
	v_cmpx_ne_u32_e32 0x7f800000, v4
	s_cbranch_execz .LBB4_7562
; %bb.7555:                             ;   in Loop: Header=BB4_7456 Depth=3
	v_mov_b32_e32 v110, 0
	s_mov_b32 s73, exec_lo
	v_cmpx_ne_u32_e32 0, v1
	s_cbranch_execz .LBB4_7561
; %bb.7556:                             ;   in Loop: Header=BB4_7456 Depth=3
	v_bfe_u32 v4, v1, 23, 8
	v_and_b32_e32 v5, 0x7fffff, v1
	v_sub_nc_u32_e32 v8, 0x70, v4
	v_cmp_gt_u32_e32 vcc_lo, 0x71, v4
	v_or_b32_e32 v12, 0x800000, v5
	v_cndmask_b32_e32 v8, 0, v8, vcc_lo
	v_cmp_eq_u32_e32 vcc_lo, 0, v4
	v_add_nc_u32_e32 v4, 0xffffff91, v4
	v_cndmask_b32_e64 v8, v8, 0x6f, vcc_lo
	v_cndmask_b32_e32 v5, v12, v5, vcc_lo
	v_cndmask_b32_e64 v4, v4, 0xffffff92, vcc_lo
	v_lshl_add_u32 v12, 0x200000, v8, -1
	v_lshrrev_b32_e32 v13, v8, v5
	v_lshlrev_b32_e64 v15, v8, 0x100000
	v_add_nc_u32_e32 v8, v8, v4
	v_and_b32_e32 v5, v12, v5
	v_bfe_u32 v14, v13, 21, 1
	v_cmp_eq_u32_e64 s16, v5, v15
	v_add_nc_u32_e32 v12, -1, v14
	v_cndmask_b32_e64 v5, 0, v12, s16
	v_lshrrev_b32_e32 v12, 23, v13
	s_mov_b32 s16, exec_lo
	v_add_nc_u32_e32 v5, v5, v13
	v_xor_b32_e32 v12, 1, v12
	v_and_b32_e32 v4, 0x1fffff, v5
	v_add_nc_u32_e32 v5, v4, v13
                                        ; implicit-def: $vgpr4
	v_cmpx_ne_u32_e64 v8, v12
	s_xor_b32 s16, exec_lo, s16
; %bb.7557:                             ;   in Loop: Header=BB4_7456 Depth=3
	v_cmp_lt_u32_e32 vcc_lo, 0xffffff, v5
	v_sub_nc_u32_e32 v4, v8, v12
	v_cndmask_b32_e64 v8, 0, 1, vcc_lo
	v_add_co_ci_u32_e64 v4, null, 0, v4, vcc_lo
	v_lshrrev_b32_e32 v5, v8, v5
; %bb.7558:                             ;   in Loop: Header=BB4_7456 Depth=3
	s_andn2_saveexec_b32 s16, s16
; %bb.7559:                             ;   in Loop: Header=BB4_7456 Depth=3
	v_bfe_u32 v4, v5, 23, 1
; %bb.7560:                             ;   in Loop: Header=BB4_7456 Depth=3
	s_or_b32 exec_lo, exec_lo, s16
	v_lshrrev_b32_e32 v5, 21, v5
	v_min_i32_e32 v8, 31, v4
	v_cmp_gt_i32_e32 vcc_lo, 32, v4
	v_and_b32_sdwa v1, v1, v101 dst_sel:DWORD dst_unused:UNUSED_PAD src0_sel:BYTE_3 src1_sel:DWORD
	v_lshlrev_b32_e32 v8, 2, v8
	v_cndmask_b32_e32 v5, 3, v5, vcc_lo
	v_and_b32_e32 v8, 0xfc, v8
	v_and_b32_e32 v12, 3, v5
	v_or_b32_e32 v4, v4, v5
	v_or3_b32 v1, v8, v1, v12
	v_cmp_ne_u32_e32 vcc_lo, 0, v4
	v_cndmask_b32_e32 v110, 0, v1, vcc_lo
.LBB4_7561:                             ;   in Loop: Header=BB4_7456 Depth=3
	s_or_b32 exec_lo, exec_lo, s73
.LBB4_7562:                             ;   in Loop: Header=BB4_7456 Depth=3
	s_or_b32 exec_lo, exec_lo, s72
	v_cmp_gt_i16_sdwa s72, v9, v100 src0_sel:BYTE_3 src1_sel:DWORD
	s_mov_b32 s16, 0
	s_and_saveexec_b32 s73, s72
	s_xor_b32 s72, exec_lo, s73
	s_cbranch_execz .LBB4_8564
; %bb.7563:                             ;   in Loop: Header=BB4_7456 Depth=3
	v_cmp_eq_u16_sdwa s74, v9, v101 src0_sel:BYTE_3 src1_sel:DWORD
	s_mov_b32 s16, -1
	s_and_saveexec_b32 s73, s74
; %bb.7564:                             ;   in Loop: Header=BB4_7456 Depth=3
	s_xor_b32 s16, exec_lo, -1
; %bb.7565:                             ;   in Loop: Header=BB4_7456 Depth=3
	s_or_b32 exec_lo, exec_lo, s73
	s_and_b32 s16, s16, exec_lo
	s_or_saveexec_b32 s72, s72
	v_mov_b32_e32 v1, 0x7f800001
	s_xor_b32 exec_lo, exec_lo, s72
	s_cbranch_execnz .LBB4_8565
.LBB4_7566:                             ;   in Loop: Header=BB4_7456 Depth=3
	s_or_b32 exec_lo, exec_lo, s72
	s_and_saveexec_b32 s72, s16
	s_cbranch_execz .LBB4_7568
.LBB4_7567:                             ;   in Loop: Header=BB4_7456 Depth=3
	v_bfe_u32 v1, v9, 24, 2
	v_bfe_u32 v8, v9, 26, 5
	v_ffbh_u32_e32 v4, v1
	v_cmp_eq_u32_e32 vcc_lo, 0, v8
	v_min_u32_e32 v4, 32, v4
	v_subrev_nc_u32_e32 v5, 29, v4
	v_sub_nc_u32_e32 v4, 30, v4
	v_lshlrev_b32_sdwa v5, v5, v9 dst_sel:DWORD dst_unused:UNUSED_PAD src0_sel:DWORD src1_sel:BYTE_3
	v_cndmask_b32_e32 v4, v8, v4, vcc_lo
	v_and_b32_e32 v5, 3, v5
	v_lshl_add_u32 v4, v4, 23, 0x37800000
	v_cndmask_b32_e32 v1, v1, v5, vcc_lo
	v_and_b32_e32 v5, 0x80000000, v9
	v_lshlrev_b32_e32 v1, 21, v1
	v_or3_b32 v1, v5, v4, v1
.LBB4_7568:                             ;   in Loop: Header=BB4_7456 Depth=3
	s_or_b32 exec_lo, exec_lo, s72
	v_mul_f32_e32 v1, s23, v1
	v_mov_b32_e32 v122, 0x8000
	s_mov_b32 s72, exec_lo
	v_and_b32_e32 v4, 0x7f800000, v1
	v_cmpx_ne_u32_e32 0x7f800000, v4
	s_cbranch_execz .LBB4_7576
; %bb.7569:                             ;   in Loop: Header=BB4_7456 Depth=3
	v_mov_b32_e32 v122, 0
	s_mov_b32 s73, exec_lo
	v_cmpx_ne_u32_e32 0, v1
	s_cbranch_execz .LBB4_7575
; %bb.7570:                             ;   in Loop: Header=BB4_7456 Depth=3
	v_bfe_u32 v4, v1, 23, 8
	v_and_b32_e32 v5, 0x7fffff, v1
	v_sub_nc_u32_e32 v8, 0x70, v4
	v_cmp_gt_u32_e32 vcc_lo, 0x71, v4
	v_or_b32_e32 v9, 0x800000, v5
	v_cndmask_b32_e32 v8, 0, v8, vcc_lo
	v_cmp_eq_u32_e32 vcc_lo, 0, v4
	v_add_nc_u32_e32 v4, 0xffffff91, v4
	v_cndmask_b32_e64 v8, v8, 0x6f, vcc_lo
	v_cndmask_b32_e32 v5, v9, v5, vcc_lo
	v_cndmask_b32_e64 v4, v4, 0xffffff92, vcc_lo
	v_lshl_add_u32 v9, 0x200000, v8, -1
	v_lshrrev_b32_e32 v12, v8, v5
	v_lshlrev_b32_e64 v14, v8, 0x100000
	v_add_nc_u32_e32 v8, v8, v4
	v_and_b32_e32 v5, v9, v5
	v_bfe_u32 v13, v12, 21, 1
	v_cmp_eq_u32_e64 s16, v5, v14
	v_add_nc_u32_e32 v9, -1, v13
	v_cndmask_b32_e64 v5, 0, v9, s16
	v_lshrrev_b32_e32 v9, 23, v12
	s_mov_b32 s16, exec_lo
	v_add_nc_u32_e32 v5, v5, v12
	v_xor_b32_e32 v9, 1, v9
	v_and_b32_e32 v4, 0x1fffff, v5
	v_add_nc_u32_e32 v5, v4, v12
                                        ; implicit-def: $vgpr4
	v_cmpx_ne_u32_e64 v8, v9
	s_xor_b32 s16, exec_lo, s16
; %bb.7571:                             ;   in Loop: Header=BB4_7456 Depth=3
	v_cmp_lt_u32_e32 vcc_lo, 0xffffff, v5
	v_sub_nc_u32_e32 v4, v8, v9
	v_cndmask_b32_e64 v8, 0, 1, vcc_lo
	v_add_co_ci_u32_e64 v4, null, 0, v4, vcc_lo
	v_lshrrev_b32_e32 v5, v8, v5
; %bb.7572:                             ;   in Loop: Header=BB4_7456 Depth=3
	s_andn2_saveexec_b32 s16, s16
; %bb.7573:                             ;   in Loop: Header=BB4_7456 Depth=3
	v_bfe_u32 v4, v5, 23, 1
; %bb.7574:                             ;   in Loop: Header=BB4_7456 Depth=3
	s_or_b32 exec_lo, exec_lo, s16
	v_lshrrev_b32_e32 v5, 21, v5
	v_min_i32_e32 v8, 31, v4
	v_cmp_gt_i32_e32 vcc_lo, 32, v4
	v_and_b32_sdwa v1, v1, v101 dst_sel:DWORD dst_unused:UNUSED_PAD src0_sel:BYTE_3 src1_sel:DWORD
	v_lshlrev_b32_e32 v8, 2, v8
	v_cndmask_b32_e32 v5, 3, v5, vcc_lo
	v_and_b32_e32 v8, 0xfc, v8
	v_and_b32_e32 v9, 3, v5
	v_or_b32_e32 v4, v4, v5
	v_or3_b32 v1, v1, v8, v9
	v_cmp_ne_u32_e32 vcc_lo, 0, v4
	v_lshlrev_b32_e32 v1, 8, v1
	v_cndmask_b32_e32 v122, 0, v1, vcc_lo
.LBB4_7575:                             ;   in Loop: Header=BB4_7456 Depth=3
	s_or_b32 exec_lo, exec_lo, s73
.LBB4_7576:                             ;   in Loop: Header=BB4_7456 Depth=3
	s_or_b32 exec_lo, exec_lo, s72
	v_cmp_gt_i16_sdwa s72, v10, v100 src0_sel:BYTE_0 src1_sel:DWORD
	s_mov_b32 s16, 0
	s_and_saveexec_b32 s73, s72
	s_xor_b32 s72, exec_lo, s73
	s_cbranch_execz .LBB4_8566
; %bb.7577:                             ;   in Loop: Header=BB4_7456 Depth=3
	v_cmp_eq_u16_sdwa s74, v10, v101 src0_sel:BYTE_0 src1_sel:DWORD
	s_mov_b32 s16, -1
	s_and_saveexec_b32 s73, s74
; %bb.7578:                             ;   in Loop: Header=BB4_7456 Depth=3
	s_xor_b32 s16, exec_lo, -1
; %bb.7579:                             ;   in Loop: Header=BB4_7456 Depth=3
	s_or_b32 exec_lo, exec_lo, s73
	s_and_b32 s16, s16, exec_lo
	s_or_saveexec_b32 s72, s72
	v_mov_b32_e32 v1, 0x7f800001
	s_xor_b32 exec_lo, exec_lo, s72
	s_cbranch_execnz .LBB4_8567
.LBB4_7580:                             ;   in Loop: Header=BB4_7456 Depth=3
	s_or_b32 exec_lo, exec_lo, s72
	s_and_saveexec_b32 s72, s16
	s_cbranch_execz .LBB4_7582
.LBB4_7581:                             ;   in Loop: Header=BB4_7456 Depth=3
	v_and_b32_e32 v1, 3, v10
	v_bfe_u32 v8, v10, 2, 5
	v_lshlrev_b32_e32 v9, 24, v10
	v_ffbh_u32_e32 v4, v1
	v_cmp_eq_u32_e32 vcc_lo, 0, v8
	v_min_u32_e32 v4, 32, v4
	v_subrev_nc_u32_e32 v5, 29, v4
	v_sub_nc_u32_e32 v4, 30, v4
	v_lshlrev_b32_e32 v5, v5, v10
	v_cndmask_b32_e32 v4, v8, v4, vcc_lo
	v_and_b32_e32 v5, 3, v5
	v_lshl_add_u32 v4, v4, 23, 0x37800000
	v_cndmask_b32_e32 v1, v1, v5, vcc_lo
	v_and_b32_e32 v5, 0x80000000, v9
	v_lshlrev_b32_e32 v1, 21, v1
	v_or3_b32 v1, v5, v4, v1
.LBB4_7582:                             ;   in Loop: Header=BB4_7456 Depth=3
	s_or_b32 exec_lo, exec_lo, s72
	v_mul_f32_e32 v1, s23, v1
	v_mov_b32_e32 v120, 0x80
	s_mov_b32 s72, exec_lo
	v_and_b32_e32 v4, 0x7f800000, v1
	v_cmpx_ne_u32_e32 0x7f800000, v4
	s_cbranch_execz .LBB4_7590
; %bb.7583:                             ;   in Loop: Header=BB4_7456 Depth=3
	v_mov_b32_e32 v120, 0
	s_mov_b32 s73, exec_lo
	v_cmpx_ne_u32_e32 0, v1
	s_cbranch_execz .LBB4_7589
; %bb.7584:                             ;   in Loop: Header=BB4_7456 Depth=3
	v_bfe_u32 v4, v1, 23, 8
	v_and_b32_e32 v5, 0x7fffff, v1
	v_sub_nc_u32_e32 v8, 0x70, v4
	v_cmp_gt_u32_e32 vcc_lo, 0x71, v4
	v_or_b32_e32 v9, 0x800000, v5
	v_cndmask_b32_e32 v8, 0, v8, vcc_lo
	v_cmp_eq_u32_e32 vcc_lo, 0, v4
	v_add_nc_u32_e32 v4, 0xffffff91, v4
	v_cndmask_b32_e64 v8, v8, 0x6f, vcc_lo
	v_cndmask_b32_e32 v5, v9, v5, vcc_lo
	v_cndmask_b32_e64 v4, v4, 0xffffff92, vcc_lo
	v_lshl_add_u32 v9, 0x200000, v8, -1
	v_lshrrev_b32_e32 v12, v8, v5
	v_lshlrev_b32_e64 v14, v8, 0x100000
	v_add_nc_u32_e32 v8, v8, v4
	v_and_b32_e32 v5, v9, v5
	v_bfe_u32 v13, v12, 21, 1
	v_cmp_eq_u32_e64 s16, v5, v14
	v_add_nc_u32_e32 v9, -1, v13
	v_cndmask_b32_e64 v5, 0, v9, s16
	v_lshrrev_b32_e32 v9, 23, v12
	s_mov_b32 s16, exec_lo
	v_add_nc_u32_e32 v5, v5, v12
	v_xor_b32_e32 v9, 1, v9
	v_and_b32_e32 v4, 0x1fffff, v5
	v_add_nc_u32_e32 v5, v4, v12
                                        ; implicit-def: $vgpr4
	v_cmpx_ne_u32_e64 v8, v9
	s_xor_b32 s16, exec_lo, s16
; %bb.7585:                             ;   in Loop: Header=BB4_7456 Depth=3
	v_cmp_lt_u32_e32 vcc_lo, 0xffffff, v5
	v_sub_nc_u32_e32 v4, v8, v9
	v_cndmask_b32_e64 v8, 0, 1, vcc_lo
	v_add_co_ci_u32_e64 v4, null, 0, v4, vcc_lo
	v_lshrrev_b32_e32 v5, v8, v5
; %bb.7586:                             ;   in Loop: Header=BB4_7456 Depth=3
	s_andn2_saveexec_b32 s16, s16
; %bb.7587:                             ;   in Loop: Header=BB4_7456 Depth=3
	v_bfe_u32 v4, v5, 23, 1
; %bb.7588:                             ;   in Loop: Header=BB4_7456 Depth=3
	s_or_b32 exec_lo, exec_lo, s16
	v_lshrrev_b32_e32 v5, 21, v5
	v_min_i32_e32 v8, 31, v4
	v_cmp_gt_i32_e32 vcc_lo, 32, v4
	v_and_b32_sdwa v1, v1, v101 dst_sel:DWORD dst_unused:UNUSED_PAD src0_sel:BYTE_3 src1_sel:DWORD
	v_lshlrev_b32_e32 v8, 2, v8
	v_cndmask_b32_e32 v5, 3, v5, vcc_lo
	v_and_b32_e32 v8, 0xfc, v8
	v_and_b32_e32 v9, 3, v5
	v_or_b32_e32 v4, v4, v5
	v_or3_b32 v1, v8, v1, v9
	v_cmp_ne_u32_e32 vcc_lo, 0, v4
	v_cndmask_b32_e32 v120, 0, v1, vcc_lo
.LBB4_7589:                             ;   in Loop: Header=BB4_7456 Depth=3
	s_or_b32 exec_lo, exec_lo, s73
.LBB4_7590:                             ;   in Loop: Header=BB4_7456 Depth=3
	s_or_b32 exec_lo, exec_lo, s72
	v_cmp_gt_i16_sdwa s72, v10, v100 src0_sel:BYTE_1 src1_sel:DWORD
	s_mov_b32 s16, 0
	s_and_saveexec_b32 s73, s72
	s_xor_b32 s72, exec_lo, s73
	s_cbranch_execz .LBB4_8568
; %bb.7591:                             ;   in Loop: Header=BB4_7456 Depth=3
	v_cmp_eq_u16_sdwa s74, v10, v101 src0_sel:BYTE_1 src1_sel:DWORD
	s_mov_b32 s16, -1
	s_and_saveexec_b32 s73, s74
; %bb.7592:                             ;   in Loop: Header=BB4_7456 Depth=3
	s_xor_b32 s16, exec_lo, -1
; %bb.7593:                             ;   in Loop: Header=BB4_7456 Depth=3
	s_or_b32 exec_lo, exec_lo, s73
	s_and_b32 s16, s16, exec_lo
	s_or_saveexec_b32 s72, s72
	v_mov_b32_e32 v1, 0x7f800001
	s_xor_b32 exec_lo, exec_lo, s72
	s_cbranch_execnz .LBB4_8569
.LBB4_7594:                             ;   in Loop: Header=BB4_7456 Depth=3
	s_or_b32 exec_lo, exec_lo, s72
	s_and_saveexec_b32 s72, s16
	s_cbranch_execz .LBB4_7596
.LBB4_7595:                             ;   in Loop: Header=BB4_7456 Depth=3
	v_and_b32_sdwa v1, v102, v10 dst_sel:DWORD dst_unused:UNUSED_PAD src0_sel:DWORD src1_sel:BYTE_1
	v_and_b32_e32 v4, 3, v1
	v_bfe_u32 v9, v1, 2, 5
	v_ffbh_u32_e32 v5, v4
	v_cmp_eq_u32_e32 vcc_lo, 0, v9
	v_min_u32_e32 v5, 32, v5
	v_subrev_nc_u32_e32 v8, 29, v5
	v_sub_nc_u32_e32 v5, 30, v5
	v_lshlrev_b32_e32 v1, v8, v1
	v_lshlrev_b32_sdwa v8, v103, v10 dst_sel:DWORD dst_unused:UNUSED_PAD src0_sel:DWORD src1_sel:BYTE_1
	v_cndmask_b32_e32 v5, v9, v5, vcc_lo
	v_and_b32_e32 v1, 3, v1
	v_lshl_add_u32 v5, v5, 23, 0x37800000
	v_cndmask_b32_e32 v1, v4, v1, vcc_lo
	v_and_b32_e32 v4, 0x80000000, v8
	v_lshlrev_b32_e32 v1, 21, v1
	v_or3_b32 v1, v4, v5, v1
.LBB4_7596:                             ;   in Loop: Header=BB4_7456 Depth=3
	s_or_b32 exec_lo, exec_lo, s72
	v_mul_f32_e32 v1, s23, v1
	v_mov_b32_e32 v121, 0x8000
	s_mov_b32 s72, exec_lo
	v_and_b32_e32 v4, 0x7f800000, v1
	v_cmpx_ne_u32_e32 0x7f800000, v4
	s_cbranch_execz .LBB4_7604
; %bb.7597:                             ;   in Loop: Header=BB4_7456 Depth=3
	v_mov_b32_e32 v121, 0
	s_mov_b32 s73, exec_lo
	v_cmpx_ne_u32_e32 0, v1
	s_cbranch_execz .LBB4_7603
; %bb.7598:                             ;   in Loop: Header=BB4_7456 Depth=3
	v_bfe_u32 v4, v1, 23, 8
	v_and_b32_e32 v5, 0x7fffff, v1
	v_sub_nc_u32_e32 v8, 0x70, v4
	v_cmp_gt_u32_e32 vcc_lo, 0x71, v4
	v_or_b32_e32 v9, 0x800000, v5
	v_cndmask_b32_e32 v8, 0, v8, vcc_lo
	v_cmp_eq_u32_e32 vcc_lo, 0, v4
	v_add_nc_u32_e32 v4, 0xffffff91, v4
	v_cndmask_b32_e64 v8, v8, 0x6f, vcc_lo
	v_cndmask_b32_e32 v5, v9, v5, vcc_lo
	v_cndmask_b32_e64 v4, v4, 0xffffff92, vcc_lo
	v_lshl_add_u32 v9, 0x200000, v8, -1
	v_lshrrev_b32_e32 v12, v8, v5
	v_lshlrev_b32_e64 v14, v8, 0x100000
	v_add_nc_u32_e32 v8, v8, v4
	v_and_b32_e32 v5, v9, v5
	v_bfe_u32 v13, v12, 21, 1
	v_cmp_eq_u32_e64 s16, v5, v14
	v_add_nc_u32_e32 v9, -1, v13
	v_cndmask_b32_e64 v5, 0, v9, s16
	v_lshrrev_b32_e32 v9, 23, v12
	s_mov_b32 s16, exec_lo
	v_add_nc_u32_e32 v5, v5, v12
	v_xor_b32_e32 v9, 1, v9
	v_and_b32_e32 v4, 0x1fffff, v5
	v_add_nc_u32_e32 v5, v4, v12
                                        ; implicit-def: $vgpr4
	v_cmpx_ne_u32_e64 v8, v9
	s_xor_b32 s16, exec_lo, s16
; %bb.7599:                             ;   in Loop: Header=BB4_7456 Depth=3
	v_cmp_lt_u32_e32 vcc_lo, 0xffffff, v5
	v_sub_nc_u32_e32 v4, v8, v9
	v_cndmask_b32_e64 v8, 0, 1, vcc_lo
	v_add_co_ci_u32_e64 v4, null, 0, v4, vcc_lo
	v_lshrrev_b32_e32 v5, v8, v5
; %bb.7600:                             ;   in Loop: Header=BB4_7456 Depth=3
	s_andn2_saveexec_b32 s16, s16
; %bb.7601:                             ;   in Loop: Header=BB4_7456 Depth=3
	v_bfe_u32 v4, v5, 23, 1
; %bb.7602:                             ;   in Loop: Header=BB4_7456 Depth=3
	s_or_b32 exec_lo, exec_lo, s16
	v_lshrrev_b32_e32 v5, 21, v5
	v_min_i32_e32 v8, 31, v4
	v_cmp_gt_i32_e32 vcc_lo, 32, v4
	v_and_b32_sdwa v1, v1, v101 dst_sel:DWORD dst_unused:UNUSED_PAD src0_sel:BYTE_3 src1_sel:DWORD
	v_lshlrev_b32_e32 v8, 2, v8
	v_cndmask_b32_e32 v5, 3, v5, vcc_lo
	v_and_b32_e32 v8, 0xfc, v8
	v_and_b32_e32 v9, 3, v5
	v_or_b32_e32 v4, v4, v5
	v_or3_b32 v1, v1, v8, v9
	v_cmp_ne_u32_e32 vcc_lo, 0, v4
	v_lshlrev_b32_e32 v1, 8, v1
	v_cndmask_b32_e32 v121, 0, v1, vcc_lo
.LBB4_7603:                             ;   in Loop: Header=BB4_7456 Depth=3
	s_or_b32 exec_lo, exec_lo, s73
.LBB4_7604:                             ;   in Loop: Header=BB4_7456 Depth=3
	s_or_b32 exec_lo, exec_lo, s72
	v_and_b32_sdwa v4, v10, v112 dst_sel:DWORD dst_unused:UNUSED_PAD src0_sel:WORD_1 src1_sel:DWORD
	s_mov_b32 s16, 0
	s_mov_b32 s72, exec_lo
	v_cmpx_lt_i16_e32 0x7f, v4
	s_xor_b32 s72, exec_lo, s72
	s_cbranch_execz .LBB4_8570
; %bb.7605:                             ;   in Loop: Header=BB4_7456 Depth=3
	s_mov_b32 s16, -1
	s_mov_b32 s73, exec_lo
	v_cmpx_eq_u16_e32 0x80, v4
; %bb.7606:                             ;   in Loop: Header=BB4_7456 Depth=3
	s_xor_b32 s16, exec_lo, -1
; %bb.7607:                             ;   in Loop: Header=BB4_7456 Depth=3
	s_or_b32 exec_lo, exec_lo, s73
	s_and_b32 s16, s16, exec_lo
                                        ; implicit-def: $vgpr4
	s_or_saveexec_b32 s72, s72
	v_mov_b32_e32 v1, 0x7f800001
	s_xor_b32 exec_lo, exec_lo, s72
	s_cbranch_execnz .LBB4_8571
.LBB4_7608:                             ;   in Loop: Header=BB4_7456 Depth=3
	s_or_b32 exec_lo, exec_lo, s72
	s_and_saveexec_b32 s72, s16
	s_cbranch_execz .LBB4_7610
.LBB4_7609:                             ;   in Loop: Header=BB4_7456 Depth=3
	v_bfe_u32 v1, v10, 16, 2
	v_bfe_u32 v8, v10, 18, 5
	v_lshlrev_b32_e32 v9, 8, v10
	v_ffbh_u32_e32 v4, v1
	v_cmp_eq_u32_e32 vcc_lo, 0, v8
	v_min_u32_e32 v4, 32, v4
	v_subrev_nc_u32_e32 v5, 29, v4
	v_sub_nc_u32_e32 v4, 30, v4
	v_lshlrev_b32_sdwa v5, v5, v10 dst_sel:DWORD dst_unused:UNUSED_PAD src0_sel:DWORD src1_sel:WORD_1
	v_cndmask_b32_e32 v4, v8, v4, vcc_lo
	v_and_b32_e32 v5, 3, v5
	v_lshl_add_u32 v4, v4, 23, 0x37800000
	v_cndmask_b32_e32 v1, v1, v5, vcc_lo
	v_and_b32_e32 v5, 0x80000000, v9
	v_lshlrev_b32_e32 v1, 21, v1
	v_or3_b32 v1, v5, v4, v1
.LBB4_7610:                             ;   in Loop: Header=BB4_7456 Depth=3
	s_or_b32 exec_lo, exec_lo, s72
	v_mul_f32_e32 v1, s23, v1
	v_mov_b32_e32 v109, 0x80
	s_mov_b32 s72, exec_lo
	v_and_b32_e32 v4, 0x7f800000, v1
	v_cmpx_ne_u32_e32 0x7f800000, v4
	s_cbranch_execz .LBB4_7618
; %bb.7611:                             ;   in Loop: Header=BB4_7456 Depth=3
	v_mov_b32_e32 v109, 0
	s_mov_b32 s73, exec_lo
	v_cmpx_ne_u32_e32 0, v1
	s_cbranch_execz .LBB4_7617
; %bb.7612:                             ;   in Loop: Header=BB4_7456 Depth=3
	v_bfe_u32 v4, v1, 23, 8
	v_and_b32_e32 v5, 0x7fffff, v1
	v_sub_nc_u32_e32 v8, 0x70, v4
	v_cmp_gt_u32_e32 vcc_lo, 0x71, v4
	v_or_b32_e32 v9, 0x800000, v5
	v_cndmask_b32_e32 v8, 0, v8, vcc_lo
	v_cmp_eq_u32_e32 vcc_lo, 0, v4
	v_add_nc_u32_e32 v4, 0xffffff91, v4
	v_cndmask_b32_e64 v8, v8, 0x6f, vcc_lo
	v_cndmask_b32_e32 v5, v9, v5, vcc_lo
	v_cndmask_b32_e64 v4, v4, 0xffffff92, vcc_lo
	v_lshl_add_u32 v9, 0x200000, v8, -1
	v_lshrrev_b32_e32 v12, v8, v5
	v_lshlrev_b32_e64 v14, v8, 0x100000
	v_add_nc_u32_e32 v8, v8, v4
	v_and_b32_e32 v5, v9, v5
	v_bfe_u32 v13, v12, 21, 1
	v_cmp_eq_u32_e64 s16, v5, v14
	v_add_nc_u32_e32 v9, -1, v13
	v_cndmask_b32_e64 v5, 0, v9, s16
	v_lshrrev_b32_e32 v9, 23, v12
	s_mov_b32 s16, exec_lo
	v_add_nc_u32_e32 v5, v5, v12
	v_xor_b32_e32 v9, 1, v9
	v_and_b32_e32 v4, 0x1fffff, v5
	v_add_nc_u32_e32 v5, v4, v12
                                        ; implicit-def: $vgpr4
	v_cmpx_ne_u32_e64 v8, v9
	s_xor_b32 s16, exec_lo, s16
; %bb.7613:                             ;   in Loop: Header=BB4_7456 Depth=3
	v_cmp_lt_u32_e32 vcc_lo, 0xffffff, v5
	v_sub_nc_u32_e32 v4, v8, v9
	v_cndmask_b32_e64 v8, 0, 1, vcc_lo
	v_add_co_ci_u32_e64 v4, null, 0, v4, vcc_lo
	v_lshrrev_b32_e32 v5, v8, v5
; %bb.7614:                             ;   in Loop: Header=BB4_7456 Depth=3
	s_andn2_saveexec_b32 s16, s16
; %bb.7615:                             ;   in Loop: Header=BB4_7456 Depth=3
	v_bfe_u32 v4, v5, 23, 1
; %bb.7616:                             ;   in Loop: Header=BB4_7456 Depth=3
	s_or_b32 exec_lo, exec_lo, s16
	v_lshrrev_b32_e32 v5, 21, v5
	v_min_i32_e32 v8, 31, v4
	v_cmp_gt_i32_e32 vcc_lo, 32, v4
	v_and_b32_sdwa v1, v1, v101 dst_sel:DWORD dst_unused:UNUSED_PAD src0_sel:BYTE_3 src1_sel:DWORD
	v_lshlrev_b32_e32 v8, 2, v8
	v_cndmask_b32_e32 v5, 3, v5, vcc_lo
	v_and_b32_e32 v8, 0xfc, v8
	v_and_b32_e32 v9, 3, v5
	v_or_b32_e32 v4, v4, v5
	v_or3_b32 v1, v8, v1, v9
	v_cmp_ne_u32_e32 vcc_lo, 0, v4
	v_cndmask_b32_e32 v109, 0, v1, vcc_lo
.LBB4_7617:                             ;   in Loop: Header=BB4_7456 Depth=3
	s_or_b32 exec_lo, exec_lo, s73
.LBB4_7618:                             ;   in Loop: Header=BB4_7456 Depth=3
	s_or_b32 exec_lo, exec_lo, s72
	v_cmp_gt_i16_sdwa s72, v10, v100 src0_sel:BYTE_3 src1_sel:DWORD
	s_mov_b32 s16, 0
	s_and_saveexec_b32 s73, s72
	s_xor_b32 s72, exec_lo, s73
	s_cbranch_execz .LBB4_8572
; %bb.7619:                             ;   in Loop: Header=BB4_7456 Depth=3
	v_cmp_eq_u16_sdwa s74, v10, v101 src0_sel:BYTE_3 src1_sel:DWORD
	s_mov_b32 s16, -1
	s_and_saveexec_b32 s73, s74
; %bb.7620:                             ;   in Loop: Header=BB4_7456 Depth=3
	s_xor_b32 s16, exec_lo, -1
; %bb.7621:                             ;   in Loop: Header=BB4_7456 Depth=3
	s_or_b32 exec_lo, exec_lo, s73
	s_and_b32 s16, s16, exec_lo
	s_or_saveexec_b32 s72, s72
	v_mov_b32_e32 v1, 0x7f800001
	s_xor_b32 exec_lo, exec_lo, s72
	s_cbranch_execnz .LBB4_8573
.LBB4_7622:                             ;   in Loop: Header=BB4_7456 Depth=3
	s_or_b32 exec_lo, exec_lo, s72
	s_and_saveexec_b32 s72, s16
	s_cbranch_execz .LBB4_7624
.LBB4_7623:                             ;   in Loop: Header=BB4_7456 Depth=3
	v_bfe_u32 v1, v10, 24, 2
	v_bfe_u32 v8, v10, 26, 5
	v_ffbh_u32_e32 v4, v1
	v_cmp_eq_u32_e32 vcc_lo, 0, v8
	v_min_u32_e32 v4, 32, v4
	v_subrev_nc_u32_e32 v5, 29, v4
	v_sub_nc_u32_e32 v4, 30, v4
	v_lshlrev_b32_sdwa v5, v5, v10 dst_sel:DWORD dst_unused:UNUSED_PAD src0_sel:DWORD src1_sel:BYTE_3
	v_cndmask_b32_e32 v4, v8, v4, vcc_lo
	v_and_b32_e32 v5, 3, v5
	v_lshl_add_u32 v4, v4, 23, 0x37800000
	v_cndmask_b32_e32 v1, v1, v5, vcc_lo
	v_and_b32_e32 v5, 0x80000000, v10
	v_lshlrev_b32_e32 v1, 21, v1
	v_or3_b32 v1, v5, v4, v1
.LBB4_7624:                             ;   in Loop: Header=BB4_7456 Depth=3
	s_or_b32 exec_lo, exec_lo, s72
	v_mul_f32_e32 v1, s23, v1
	v_mov_b32_e32 v111, 0x8000
	s_mov_b32 s72, exec_lo
	v_and_b32_e32 v4, 0x7f800000, v1
	v_cmpx_ne_u32_e32 0x7f800000, v4
	s_cbranch_execz .LBB4_7632
; %bb.7625:                             ;   in Loop: Header=BB4_7456 Depth=3
	v_mov_b32_e32 v111, 0
	s_mov_b32 s73, exec_lo
	v_cmpx_ne_u32_e32 0, v1
	s_cbranch_execz .LBB4_7631
; %bb.7626:                             ;   in Loop: Header=BB4_7456 Depth=3
	v_bfe_u32 v4, v1, 23, 8
	v_and_b32_e32 v5, 0x7fffff, v1
	v_sub_nc_u32_e32 v8, 0x70, v4
	v_cmp_gt_u32_e32 vcc_lo, 0x71, v4
	v_or_b32_e32 v9, 0x800000, v5
	v_cndmask_b32_e32 v8, 0, v8, vcc_lo
	v_cmp_eq_u32_e32 vcc_lo, 0, v4
	v_add_nc_u32_e32 v4, 0xffffff91, v4
	v_cndmask_b32_e64 v8, v8, 0x6f, vcc_lo
	v_cndmask_b32_e32 v5, v9, v5, vcc_lo
	v_cndmask_b32_e64 v4, v4, 0xffffff92, vcc_lo
	v_lshl_add_u32 v9, 0x200000, v8, -1
	v_lshrrev_b32_e32 v10, v8, v5
	v_lshlrev_b32_e64 v13, v8, 0x100000
	v_add_nc_u32_e32 v8, v8, v4
	v_and_b32_e32 v5, v9, v5
	v_bfe_u32 v12, v10, 21, 1
	v_cmp_eq_u32_e64 s16, v5, v13
	v_add_nc_u32_e32 v9, -1, v12
	v_cndmask_b32_e64 v5, 0, v9, s16
	v_lshrrev_b32_e32 v9, 23, v10
	s_mov_b32 s16, exec_lo
	v_add_nc_u32_e32 v5, v5, v10
	v_xor_b32_e32 v9, 1, v9
	v_and_b32_e32 v4, 0x1fffff, v5
	v_add_nc_u32_e32 v5, v4, v10
                                        ; implicit-def: $vgpr4
	v_cmpx_ne_u32_e64 v8, v9
	s_xor_b32 s16, exec_lo, s16
; %bb.7627:                             ;   in Loop: Header=BB4_7456 Depth=3
	v_cmp_lt_u32_e32 vcc_lo, 0xffffff, v5
	v_sub_nc_u32_e32 v4, v8, v9
	v_cndmask_b32_e64 v8, 0, 1, vcc_lo
	v_add_co_ci_u32_e64 v4, null, 0, v4, vcc_lo
	v_lshrrev_b32_e32 v5, v8, v5
; %bb.7628:                             ;   in Loop: Header=BB4_7456 Depth=3
	s_andn2_saveexec_b32 s16, s16
; %bb.7629:                             ;   in Loop: Header=BB4_7456 Depth=3
	v_bfe_u32 v4, v5, 23, 1
; %bb.7630:                             ;   in Loop: Header=BB4_7456 Depth=3
	s_or_b32 exec_lo, exec_lo, s16
	v_lshrrev_b32_e32 v5, 21, v5
	v_min_i32_e32 v8, 31, v4
	v_cmp_gt_i32_e32 vcc_lo, 32, v4
	v_and_b32_sdwa v1, v1, v101 dst_sel:DWORD dst_unused:UNUSED_PAD src0_sel:BYTE_3 src1_sel:DWORD
	v_lshlrev_b32_e32 v8, 2, v8
	v_cndmask_b32_e32 v5, 3, v5, vcc_lo
	v_and_b32_e32 v8, 0xfc, v8
	v_and_b32_e32 v9, 3, v5
	v_or_b32_e32 v4, v4, v5
	v_or3_b32 v1, v1, v8, v9
	v_cmp_ne_u32_e32 vcc_lo, 0, v4
	v_lshlrev_b32_e32 v1, 8, v1
	v_cndmask_b32_e32 v111, 0, v1, vcc_lo
.LBB4_7631:                             ;   in Loop: Header=BB4_7456 Depth=3
	s_or_b32 exec_lo, exec_lo, s73
.LBB4_7632:                             ;   in Loop: Header=BB4_7456 Depth=3
	s_or_b32 exec_lo, exec_lo, s72
	v_cmp_gt_i16_sdwa s72, v11, v100 src0_sel:BYTE_0 src1_sel:DWORD
	s_mov_b32 s16, 0
	s_and_saveexec_b32 s73, s72
	s_xor_b32 s72, exec_lo, s73
	s_cbranch_execz .LBB4_8574
; %bb.7633:                             ;   in Loop: Header=BB4_7456 Depth=3
	v_cmp_eq_u16_sdwa s74, v11, v101 src0_sel:BYTE_0 src1_sel:DWORD
	s_mov_b32 s16, -1
	s_and_saveexec_b32 s73, s74
; %bb.7634:                             ;   in Loop: Header=BB4_7456 Depth=3
	s_xor_b32 s16, exec_lo, -1
; %bb.7635:                             ;   in Loop: Header=BB4_7456 Depth=3
	s_or_b32 exec_lo, exec_lo, s73
	s_and_b32 s16, s16, exec_lo
	s_or_saveexec_b32 s72, s72
	v_mov_b32_e32 v1, 0x7f800001
	s_xor_b32 exec_lo, exec_lo, s72
	s_cbranch_execnz .LBB4_8575
.LBB4_7636:                             ;   in Loop: Header=BB4_7456 Depth=3
	s_or_b32 exec_lo, exec_lo, s72
	s_and_saveexec_b32 s72, s16
	s_cbranch_execz .LBB4_7638
.LBB4_7637:                             ;   in Loop: Header=BB4_7456 Depth=3
	v_and_b32_e32 v1, 3, v11
	v_bfe_u32 v8, v11, 2, 5
	v_lshlrev_b32_e32 v9, 24, v11
	v_ffbh_u32_e32 v4, v1
	v_cmp_eq_u32_e32 vcc_lo, 0, v8
	v_min_u32_e32 v4, 32, v4
	v_subrev_nc_u32_e32 v5, 29, v4
	v_sub_nc_u32_e32 v4, 30, v4
	v_lshlrev_b32_e32 v5, v5, v11
	v_cndmask_b32_e32 v4, v8, v4, vcc_lo
	v_and_b32_e32 v5, 3, v5
	v_lshl_add_u32 v4, v4, 23, 0x37800000
	v_cndmask_b32_e32 v1, v1, v5, vcc_lo
	v_and_b32_e32 v5, 0x80000000, v9
	v_lshlrev_b32_e32 v1, 21, v1
	v_or3_b32 v1, v5, v4, v1
.LBB4_7638:                             ;   in Loop: Header=BB4_7456 Depth=3
	s_or_b32 exec_lo, exec_lo, s72
	v_mul_f32_e32 v1, s23, v1
	v_mov_b32_e32 v106, 0x80
	s_mov_b32 s72, exec_lo
	v_and_b32_e32 v4, 0x7f800000, v1
	v_cmpx_ne_u32_e32 0x7f800000, v4
	s_cbranch_execz .LBB4_7646
; %bb.7639:                             ;   in Loop: Header=BB4_7456 Depth=3
	v_mov_b32_e32 v106, 0
	s_mov_b32 s73, exec_lo
	v_cmpx_ne_u32_e32 0, v1
	s_cbranch_execz .LBB4_7645
; %bb.7640:                             ;   in Loop: Header=BB4_7456 Depth=3
	v_bfe_u32 v4, v1, 23, 8
	v_and_b32_e32 v5, 0x7fffff, v1
	v_sub_nc_u32_e32 v8, 0x70, v4
	v_cmp_gt_u32_e32 vcc_lo, 0x71, v4
	v_or_b32_e32 v9, 0x800000, v5
	v_cndmask_b32_e32 v8, 0, v8, vcc_lo
	v_cmp_eq_u32_e32 vcc_lo, 0, v4
	v_add_nc_u32_e32 v4, 0xffffff91, v4
	v_cndmask_b32_e64 v8, v8, 0x6f, vcc_lo
	v_cndmask_b32_e32 v5, v9, v5, vcc_lo
	v_cndmask_b32_e64 v4, v4, 0xffffff92, vcc_lo
	v_lshl_add_u32 v9, 0x200000, v8, -1
	v_lshrrev_b32_e32 v10, v8, v5
	v_lshlrev_b32_e64 v13, v8, 0x100000
	v_add_nc_u32_e32 v8, v8, v4
	v_and_b32_e32 v5, v9, v5
	v_bfe_u32 v12, v10, 21, 1
	v_cmp_eq_u32_e64 s16, v5, v13
	v_add_nc_u32_e32 v9, -1, v12
	v_cndmask_b32_e64 v5, 0, v9, s16
	v_lshrrev_b32_e32 v9, 23, v10
	s_mov_b32 s16, exec_lo
	v_add_nc_u32_e32 v5, v5, v10
	v_xor_b32_e32 v9, 1, v9
	v_and_b32_e32 v4, 0x1fffff, v5
	v_add_nc_u32_e32 v5, v4, v10
                                        ; implicit-def: $vgpr4
	v_cmpx_ne_u32_e64 v8, v9
	s_xor_b32 s16, exec_lo, s16
; %bb.7641:                             ;   in Loop: Header=BB4_7456 Depth=3
	v_cmp_lt_u32_e32 vcc_lo, 0xffffff, v5
	v_sub_nc_u32_e32 v4, v8, v9
	v_cndmask_b32_e64 v8, 0, 1, vcc_lo
	v_add_co_ci_u32_e64 v4, null, 0, v4, vcc_lo
	v_lshrrev_b32_e32 v5, v8, v5
; %bb.7642:                             ;   in Loop: Header=BB4_7456 Depth=3
	s_andn2_saveexec_b32 s16, s16
; %bb.7643:                             ;   in Loop: Header=BB4_7456 Depth=3
	v_bfe_u32 v4, v5, 23, 1
; %bb.7644:                             ;   in Loop: Header=BB4_7456 Depth=3
	s_or_b32 exec_lo, exec_lo, s16
	v_lshrrev_b32_e32 v5, 21, v5
	v_min_i32_e32 v8, 31, v4
	v_cmp_gt_i32_e32 vcc_lo, 32, v4
	v_and_b32_sdwa v1, v1, v101 dst_sel:DWORD dst_unused:UNUSED_PAD src0_sel:BYTE_3 src1_sel:DWORD
	v_lshlrev_b32_e32 v8, 2, v8
	v_cndmask_b32_e32 v5, 3, v5, vcc_lo
	v_and_b32_e32 v8, 0xfc, v8
	v_and_b32_e32 v9, 3, v5
	v_or_b32_e32 v4, v4, v5
	v_or3_b32 v1, v8, v1, v9
	v_cmp_ne_u32_e32 vcc_lo, 0, v4
	v_cndmask_b32_e32 v106, 0, v1, vcc_lo
.LBB4_7645:                             ;   in Loop: Header=BB4_7456 Depth=3
	s_or_b32 exec_lo, exec_lo, s73
.LBB4_7646:                             ;   in Loop: Header=BB4_7456 Depth=3
	s_or_b32 exec_lo, exec_lo, s72
	v_cmp_gt_i16_sdwa s72, v11, v100 src0_sel:BYTE_1 src1_sel:DWORD
	s_mov_b32 s16, 0
	s_and_saveexec_b32 s73, s72
	s_xor_b32 s72, exec_lo, s73
	s_cbranch_execz .LBB4_8576
; %bb.7647:                             ;   in Loop: Header=BB4_7456 Depth=3
	v_cmp_eq_u16_sdwa s74, v11, v101 src0_sel:BYTE_1 src1_sel:DWORD
	s_mov_b32 s16, -1
	s_and_saveexec_b32 s73, s74
; %bb.7648:                             ;   in Loop: Header=BB4_7456 Depth=3
	s_xor_b32 s16, exec_lo, -1
; %bb.7649:                             ;   in Loop: Header=BB4_7456 Depth=3
	s_or_b32 exec_lo, exec_lo, s73
	s_and_b32 s16, s16, exec_lo
	s_or_saveexec_b32 s72, s72
	v_mov_b32_e32 v1, 0x7f800001
	s_xor_b32 exec_lo, exec_lo, s72
	s_cbranch_execnz .LBB4_8577
.LBB4_7650:                             ;   in Loop: Header=BB4_7456 Depth=3
	s_or_b32 exec_lo, exec_lo, s72
	s_and_saveexec_b32 s72, s16
	s_cbranch_execz .LBB4_7652
.LBB4_7651:                             ;   in Loop: Header=BB4_7456 Depth=3
	v_and_b32_sdwa v1, v102, v11 dst_sel:DWORD dst_unused:UNUSED_PAD src0_sel:DWORD src1_sel:BYTE_1
	v_and_b32_e32 v4, 3, v1
	v_bfe_u32 v9, v1, 2, 5
	v_ffbh_u32_e32 v5, v4
	v_cmp_eq_u32_e32 vcc_lo, 0, v9
	v_min_u32_e32 v5, 32, v5
	v_subrev_nc_u32_e32 v8, 29, v5
	v_sub_nc_u32_e32 v5, 30, v5
	v_lshlrev_b32_e32 v1, v8, v1
	v_lshlrev_b32_sdwa v8, v103, v11 dst_sel:DWORD dst_unused:UNUSED_PAD src0_sel:DWORD src1_sel:BYTE_1
	v_cndmask_b32_e32 v5, v9, v5, vcc_lo
	v_and_b32_e32 v1, 3, v1
	v_lshl_add_u32 v5, v5, 23, 0x37800000
	v_cndmask_b32_e32 v1, v4, v1, vcc_lo
	v_and_b32_e32 v4, 0x80000000, v8
	v_lshlrev_b32_e32 v1, 21, v1
	v_or3_b32 v1, v4, v5, v1
.LBB4_7652:                             ;   in Loop: Header=BB4_7456 Depth=3
	s_or_b32 exec_lo, exec_lo, s72
	v_mul_f32_e32 v1, s23, v1
	v_mov_b32_e32 v108, 0x8000
	s_mov_b32 s72, exec_lo
	v_and_b32_e32 v4, 0x7f800000, v1
	v_cmpx_ne_u32_e32 0x7f800000, v4
	s_cbranch_execz .LBB4_7660
; %bb.7653:                             ;   in Loop: Header=BB4_7456 Depth=3
	v_mov_b32_e32 v108, 0
	s_mov_b32 s73, exec_lo
	v_cmpx_ne_u32_e32 0, v1
	s_cbranch_execz .LBB4_7659
; %bb.7654:                             ;   in Loop: Header=BB4_7456 Depth=3
	v_bfe_u32 v4, v1, 23, 8
	v_and_b32_e32 v5, 0x7fffff, v1
	v_sub_nc_u32_e32 v8, 0x70, v4
	v_cmp_gt_u32_e32 vcc_lo, 0x71, v4
	v_or_b32_e32 v9, 0x800000, v5
	v_cndmask_b32_e32 v8, 0, v8, vcc_lo
	v_cmp_eq_u32_e32 vcc_lo, 0, v4
	v_add_nc_u32_e32 v4, 0xffffff91, v4
	v_cndmask_b32_e64 v8, v8, 0x6f, vcc_lo
	v_cndmask_b32_e32 v5, v9, v5, vcc_lo
	v_cndmask_b32_e64 v4, v4, 0xffffff92, vcc_lo
	v_lshl_add_u32 v9, 0x200000, v8, -1
	v_lshrrev_b32_e32 v10, v8, v5
	v_lshlrev_b32_e64 v13, v8, 0x100000
	v_add_nc_u32_e32 v8, v8, v4
	v_and_b32_e32 v5, v9, v5
	v_bfe_u32 v12, v10, 21, 1
	v_cmp_eq_u32_e64 s16, v5, v13
	v_add_nc_u32_e32 v9, -1, v12
	v_cndmask_b32_e64 v5, 0, v9, s16
	v_lshrrev_b32_e32 v9, 23, v10
	s_mov_b32 s16, exec_lo
	v_add_nc_u32_e32 v5, v5, v10
	v_xor_b32_e32 v9, 1, v9
	v_and_b32_e32 v4, 0x1fffff, v5
	v_add_nc_u32_e32 v5, v4, v10
                                        ; implicit-def: $vgpr4
	v_cmpx_ne_u32_e64 v8, v9
	s_xor_b32 s16, exec_lo, s16
; %bb.7655:                             ;   in Loop: Header=BB4_7456 Depth=3
	v_cmp_lt_u32_e32 vcc_lo, 0xffffff, v5
	v_sub_nc_u32_e32 v4, v8, v9
	v_cndmask_b32_e64 v8, 0, 1, vcc_lo
	v_add_co_ci_u32_e64 v4, null, 0, v4, vcc_lo
	v_lshrrev_b32_e32 v5, v8, v5
; %bb.7656:                             ;   in Loop: Header=BB4_7456 Depth=3
	s_andn2_saveexec_b32 s16, s16
; %bb.7657:                             ;   in Loop: Header=BB4_7456 Depth=3
	v_bfe_u32 v4, v5, 23, 1
; %bb.7658:                             ;   in Loop: Header=BB4_7456 Depth=3
	s_or_b32 exec_lo, exec_lo, s16
	v_lshrrev_b32_e32 v5, 21, v5
	v_min_i32_e32 v8, 31, v4
	v_cmp_gt_i32_e32 vcc_lo, 32, v4
	v_and_b32_sdwa v1, v1, v101 dst_sel:DWORD dst_unused:UNUSED_PAD src0_sel:BYTE_3 src1_sel:DWORD
	v_lshlrev_b32_e32 v8, 2, v8
	v_cndmask_b32_e32 v5, 3, v5, vcc_lo
	v_and_b32_e32 v8, 0xfc, v8
	v_and_b32_e32 v9, 3, v5
	v_or_b32_e32 v4, v4, v5
	v_or3_b32 v1, v1, v8, v9
	v_cmp_ne_u32_e32 vcc_lo, 0, v4
	v_lshlrev_b32_e32 v1, 8, v1
	v_cndmask_b32_e32 v108, 0, v1, vcc_lo
.LBB4_7659:                             ;   in Loop: Header=BB4_7456 Depth=3
	s_or_b32 exec_lo, exec_lo, s73
.LBB4_7660:                             ;   in Loop: Header=BB4_7456 Depth=3
	s_or_b32 exec_lo, exec_lo, s72
	v_and_b32_sdwa v4, v11, v112 dst_sel:DWORD dst_unused:UNUSED_PAD src0_sel:WORD_1 src1_sel:DWORD
	s_mov_b32 s16, 0
	s_mov_b32 s72, exec_lo
	v_cmpx_lt_i16_e32 0x7f, v4
	s_xor_b32 s72, exec_lo, s72
	s_cbranch_execz .LBB4_8578
; %bb.7661:                             ;   in Loop: Header=BB4_7456 Depth=3
	s_mov_b32 s16, -1
	s_mov_b32 s73, exec_lo
	v_cmpx_eq_u16_e32 0x80, v4
; %bb.7662:                             ;   in Loop: Header=BB4_7456 Depth=3
	s_xor_b32 s16, exec_lo, -1
; %bb.7663:                             ;   in Loop: Header=BB4_7456 Depth=3
	s_or_b32 exec_lo, exec_lo, s73
	s_and_b32 s16, s16, exec_lo
                                        ; implicit-def: $vgpr4
	s_or_saveexec_b32 s72, s72
	v_mov_b32_e32 v1, 0x7f800001
	s_xor_b32 exec_lo, exec_lo, s72
	s_cbranch_execnz .LBB4_8579
.LBB4_7664:                             ;   in Loop: Header=BB4_7456 Depth=3
	s_or_b32 exec_lo, exec_lo, s72
	s_and_saveexec_b32 s72, s16
	s_cbranch_execz .LBB4_7666
.LBB4_7665:                             ;   in Loop: Header=BB4_7456 Depth=3
	v_bfe_u32 v1, v11, 16, 2
	v_bfe_u32 v8, v11, 18, 5
	v_lshlrev_b32_e32 v9, 8, v11
	v_ffbh_u32_e32 v4, v1
	v_cmp_eq_u32_e32 vcc_lo, 0, v8
	v_min_u32_e32 v4, 32, v4
	v_subrev_nc_u32_e32 v5, 29, v4
	v_sub_nc_u32_e32 v4, 30, v4
	v_lshlrev_b32_sdwa v5, v5, v11 dst_sel:DWORD dst_unused:UNUSED_PAD src0_sel:DWORD src1_sel:WORD_1
	v_cndmask_b32_e32 v4, v8, v4, vcc_lo
	v_and_b32_e32 v5, 3, v5
	v_lshl_add_u32 v4, v4, 23, 0x37800000
	v_cndmask_b32_e32 v1, v1, v5, vcc_lo
	v_and_b32_e32 v5, 0x80000000, v9
	v_lshlrev_b32_e32 v1, 21, v1
	v_or3_b32 v1, v5, v4, v1
.LBB4_7666:                             ;   in Loop: Header=BB4_7456 Depth=3
	s_or_b32 exec_lo, exec_lo, s72
	v_mul_f32_e32 v1, s23, v1
	v_mov_b32_e32 v104, 0x80
	s_mov_b32 s72, exec_lo
	v_and_b32_e32 v4, 0x7f800000, v1
	v_cmpx_ne_u32_e32 0x7f800000, v4
	s_cbranch_execz .LBB4_7674
; %bb.7667:                             ;   in Loop: Header=BB4_7456 Depth=3
	v_mov_b32_e32 v104, 0
	s_mov_b32 s73, exec_lo
	v_cmpx_ne_u32_e32 0, v1
	s_cbranch_execz .LBB4_7673
; %bb.7668:                             ;   in Loop: Header=BB4_7456 Depth=3
	v_bfe_u32 v4, v1, 23, 8
	v_and_b32_e32 v5, 0x7fffff, v1
	v_sub_nc_u32_e32 v8, 0x70, v4
	v_cmp_gt_u32_e32 vcc_lo, 0x71, v4
	v_or_b32_e32 v9, 0x800000, v5
	v_cndmask_b32_e32 v8, 0, v8, vcc_lo
	v_cmp_eq_u32_e32 vcc_lo, 0, v4
	v_add_nc_u32_e32 v4, 0xffffff91, v4
	v_cndmask_b32_e64 v8, v8, 0x6f, vcc_lo
	v_cndmask_b32_e32 v5, v9, v5, vcc_lo
	v_cndmask_b32_e64 v4, v4, 0xffffff92, vcc_lo
	v_lshl_add_u32 v9, 0x200000, v8, -1
	v_lshrrev_b32_e32 v10, v8, v5
	v_lshlrev_b32_e64 v13, v8, 0x100000
	v_add_nc_u32_e32 v8, v8, v4
	v_and_b32_e32 v5, v9, v5
	v_bfe_u32 v12, v10, 21, 1
	v_cmp_eq_u32_e64 s16, v5, v13
	v_add_nc_u32_e32 v9, -1, v12
	v_cndmask_b32_e64 v5, 0, v9, s16
	v_lshrrev_b32_e32 v9, 23, v10
	s_mov_b32 s16, exec_lo
	v_add_nc_u32_e32 v5, v5, v10
	v_xor_b32_e32 v9, 1, v9
	v_and_b32_e32 v4, 0x1fffff, v5
	v_add_nc_u32_e32 v5, v4, v10
                                        ; implicit-def: $vgpr4
	v_cmpx_ne_u32_e64 v8, v9
	s_xor_b32 s16, exec_lo, s16
; %bb.7669:                             ;   in Loop: Header=BB4_7456 Depth=3
	v_cmp_lt_u32_e32 vcc_lo, 0xffffff, v5
	v_sub_nc_u32_e32 v4, v8, v9
	v_cndmask_b32_e64 v8, 0, 1, vcc_lo
	v_add_co_ci_u32_e64 v4, null, 0, v4, vcc_lo
	v_lshrrev_b32_e32 v5, v8, v5
; %bb.7670:                             ;   in Loop: Header=BB4_7456 Depth=3
	s_andn2_saveexec_b32 s16, s16
; %bb.7671:                             ;   in Loop: Header=BB4_7456 Depth=3
	v_bfe_u32 v4, v5, 23, 1
; %bb.7672:                             ;   in Loop: Header=BB4_7456 Depth=3
	s_or_b32 exec_lo, exec_lo, s16
	v_lshrrev_b32_e32 v5, 21, v5
	v_min_i32_e32 v8, 31, v4
	v_cmp_gt_i32_e32 vcc_lo, 32, v4
	v_and_b32_sdwa v1, v1, v101 dst_sel:DWORD dst_unused:UNUSED_PAD src0_sel:BYTE_3 src1_sel:DWORD
	v_lshlrev_b32_e32 v8, 2, v8
	v_cndmask_b32_e32 v5, 3, v5, vcc_lo
	v_and_b32_e32 v8, 0xfc, v8
	v_and_b32_e32 v9, 3, v5
	v_or_b32_e32 v4, v4, v5
	v_or3_b32 v1, v8, v1, v9
	v_cmp_ne_u32_e32 vcc_lo, 0, v4
	v_cndmask_b32_e32 v104, 0, v1, vcc_lo
.LBB4_7673:                             ;   in Loop: Header=BB4_7456 Depth=3
	s_or_b32 exec_lo, exec_lo, s73
.LBB4_7674:                             ;   in Loop: Header=BB4_7456 Depth=3
	s_or_b32 exec_lo, exec_lo, s72
	v_cmp_gt_i16_sdwa s72, v11, v100 src0_sel:BYTE_3 src1_sel:DWORD
	s_mov_b32 s16, 0
	s_and_saveexec_b32 s73, s72
	s_xor_b32 s72, exec_lo, s73
	s_cbranch_execz .LBB4_8580
; %bb.7675:                             ;   in Loop: Header=BB4_7456 Depth=3
	v_cmp_eq_u16_sdwa s74, v11, v101 src0_sel:BYTE_3 src1_sel:DWORD
	s_mov_b32 s16, -1
	s_and_saveexec_b32 s73, s74
; %bb.7676:                             ;   in Loop: Header=BB4_7456 Depth=3
	s_xor_b32 s16, exec_lo, -1
; %bb.7677:                             ;   in Loop: Header=BB4_7456 Depth=3
	s_or_b32 exec_lo, exec_lo, s73
	s_and_b32 s16, s16, exec_lo
	s_or_saveexec_b32 s72, s72
	v_mov_b32_e32 v1, 0x7f800001
	s_xor_b32 exec_lo, exec_lo, s72
	s_cbranch_execnz .LBB4_8581
.LBB4_7678:                             ;   in Loop: Header=BB4_7456 Depth=3
	s_or_b32 exec_lo, exec_lo, s72
	s_and_saveexec_b32 s72, s16
	s_cbranch_execz .LBB4_7680
.LBB4_7679:                             ;   in Loop: Header=BB4_7456 Depth=3
	v_bfe_u32 v1, v11, 24, 2
	v_bfe_u32 v8, v11, 26, 5
	v_ffbh_u32_e32 v4, v1
	v_cmp_eq_u32_e32 vcc_lo, 0, v8
	v_min_u32_e32 v4, 32, v4
	v_subrev_nc_u32_e32 v5, 29, v4
	v_sub_nc_u32_e32 v4, 30, v4
	v_lshlrev_b32_sdwa v5, v5, v11 dst_sel:DWORD dst_unused:UNUSED_PAD src0_sel:DWORD src1_sel:BYTE_3
	v_cndmask_b32_e32 v4, v8, v4, vcc_lo
	v_and_b32_e32 v5, 3, v5
	v_lshl_add_u32 v4, v4, 23, 0x37800000
	v_cndmask_b32_e32 v1, v1, v5, vcc_lo
	v_and_b32_e32 v5, 0x80000000, v11
	v_lshlrev_b32_e32 v1, 21, v1
	v_or3_b32 v1, v5, v4, v1
.LBB4_7680:                             ;   in Loop: Header=BB4_7456 Depth=3
	s_or_b32 exec_lo, exec_lo, s72
	v_mul_f32_e32 v1, s23, v1
	v_mov_b32_e32 v105, 0x8000
	s_mov_b32 s72, exec_lo
	v_and_b32_e32 v4, 0x7f800000, v1
	v_cmpx_ne_u32_e32 0x7f800000, v4
	s_cbranch_execz .LBB4_7688
; %bb.7681:                             ;   in Loop: Header=BB4_7456 Depth=3
	v_mov_b32_e32 v105, 0
	s_mov_b32 s73, exec_lo
	v_cmpx_ne_u32_e32 0, v1
	s_cbranch_execz .LBB4_7687
; %bb.7682:                             ;   in Loop: Header=BB4_7456 Depth=3
	v_bfe_u32 v4, v1, 23, 8
	v_and_b32_e32 v5, 0x7fffff, v1
	v_sub_nc_u32_e32 v8, 0x70, v4
	v_cmp_gt_u32_e32 vcc_lo, 0x71, v4
	v_or_b32_e32 v9, 0x800000, v5
	v_cndmask_b32_e32 v8, 0, v8, vcc_lo
	v_cmp_eq_u32_e32 vcc_lo, 0, v4
	v_add_nc_u32_e32 v4, 0xffffff91, v4
	v_cndmask_b32_e64 v8, v8, 0x6f, vcc_lo
	v_cndmask_b32_e32 v5, v9, v5, vcc_lo
	v_cndmask_b32_e64 v4, v4, 0xffffff92, vcc_lo
	v_lshl_add_u32 v9, 0x200000, v8, -1
	v_lshrrev_b32_e32 v10, v8, v5
	v_lshlrev_b32_e64 v12, v8, 0x100000
	v_add_nc_u32_e32 v8, v8, v4
	v_and_b32_e32 v5, v9, v5
	v_bfe_u32 v11, v10, 21, 1
	v_cmp_eq_u32_e64 s16, v5, v12
	v_add_nc_u32_e32 v9, -1, v11
	v_cndmask_b32_e64 v5, 0, v9, s16
	v_lshrrev_b32_e32 v9, 23, v10
	s_mov_b32 s16, exec_lo
	v_add_nc_u32_e32 v5, v5, v10
	v_xor_b32_e32 v9, 1, v9
	v_and_b32_e32 v4, 0x1fffff, v5
	v_add_nc_u32_e32 v5, v4, v10
                                        ; implicit-def: $vgpr4
	v_cmpx_ne_u32_e64 v8, v9
	s_xor_b32 s16, exec_lo, s16
; %bb.7683:                             ;   in Loop: Header=BB4_7456 Depth=3
	v_cmp_lt_u32_e32 vcc_lo, 0xffffff, v5
	v_sub_nc_u32_e32 v4, v8, v9
	v_cndmask_b32_e64 v8, 0, 1, vcc_lo
	v_add_co_ci_u32_e64 v4, null, 0, v4, vcc_lo
	v_lshrrev_b32_e32 v5, v8, v5
; %bb.7684:                             ;   in Loop: Header=BB4_7456 Depth=3
	s_andn2_saveexec_b32 s16, s16
; %bb.7685:                             ;   in Loop: Header=BB4_7456 Depth=3
	v_bfe_u32 v4, v5, 23, 1
; %bb.7686:                             ;   in Loop: Header=BB4_7456 Depth=3
	s_or_b32 exec_lo, exec_lo, s16
	v_lshrrev_b32_e32 v5, 21, v5
	v_min_i32_e32 v8, 31, v4
	v_cmp_gt_i32_e32 vcc_lo, 32, v4
	v_and_b32_sdwa v1, v1, v101 dst_sel:DWORD dst_unused:UNUSED_PAD src0_sel:BYTE_3 src1_sel:DWORD
	v_lshlrev_b32_e32 v8, 2, v8
	v_cndmask_b32_e32 v5, 3, v5, vcc_lo
	v_and_b32_e32 v8, 0xfc, v8
	v_and_b32_e32 v9, 3, v5
	v_or_b32_e32 v4, v4, v5
	v_or3_b32 v1, v1, v8, v9
	v_cmp_ne_u32_e32 vcc_lo, 0, v4
	v_lshlrev_b32_e32 v1, 8, v1
	v_cndmask_b32_e32 v105, 0, v1, vcc_lo
.LBB4_7687:                             ;   in Loop: Header=BB4_7456 Depth=3
	s_or_b32 exec_lo, exec_lo, s73
.LBB4_7688:                             ;   in Loop: Header=BB4_7456 Depth=3
	s_or_b32 exec_lo, exec_lo, s72
	global_load_dwordx4 v[8:11], v[66:67], off offset:512 slc
	s_mov_b32 s16, 0
	s_waitcnt vmcnt(0)
	v_cmp_gt_i16_sdwa s72, v8, v100 src0_sel:BYTE_0 src1_sel:DWORD
	s_and_saveexec_b32 s73, s72
	s_xor_b32 s72, exec_lo, s73
	s_cbranch_execz .LBB4_8582
; %bb.7689:                             ;   in Loop: Header=BB4_7456 Depth=3
	v_cmp_eq_u16_sdwa s74, v8, v101 src0_sel:BYTE_0 src1_sel:DWORD
	s_mov_b32 s16, -1
	s_and_saveexec_b32 s73, s74
; %bb.7690:                             ;   in Loop: Header=BB4_7456 Depth=3
	s_xor_b32 s16, exec_lo, -1
; %bb.7691:                             ;   in Loop: Header=BB4_7456 Depth=3
	s_or_b32 exec_lo, exec_lo, s73
	s_and_b32 s16, s16, exec_lo
	s_or_saveexec_b32 s72, s72
	v_mov_b32_e32 v1, 0x7f800001
	s_xor_b32 exec_lo, exec_lo, s72
	s_cbranch_execnz .LBB4_8583
.LBB4_7692:                             ;   in Loop: Header=BB4_7456 Depth=3
	s_or_b32 exec_lo, exec_lo, s72
	s_and_saveexec_b32 s72, s16
	s_cbranch_execz .LBB4_7694
.LBB4_7693:                             ;   in Loop: Header=BB4_7456 Depth=3
	v_and_b32_e32 v1, 3, v8
	v_bfe_u32 v12, v8, 2, 5
	v_lshlrev_b32_e32 v13, 24, v8
	v_ffbh_u32_e32 v4, v1
	v_cmp_eq_u32_e32 vcc_lo, 0, v12
	v_min_u32_e32 v4, 32, v4
	v_subrev_nc_u32_e32 v5, 29, v4
	v_sub_nc_u32_e32 v4, 30, v4
	v_lshlrev_b32_e32 v5, v5, v8
	v_cndmask_b32_e32 v4, v12, v4, vcc_lo
	v_and_b32_e32 v5, 3, v5
	v_lshl_add_u32 v4, v4, 23, 0x37800000
	v_cndmask_b32_e32 v1, v1, v5, vcc_lo
	v_and_b32_e32 v5, 0x80000000, v13
	v_lshlrev_b32_e32 v1, 21, v1
	v_or3_b32 v1, v5, v4, v1
.LBB4_7694:                             ;   in Loop: Header=BB4_7456 Depth=3
	s_or_b32 exec_lo, exec_lo, s72
	v_mul_f32_e32 v1, s23, v1
	v_mov_b32_e32 v93, 0x80
	s_mov_b32 s72, exec_lo
	v_and_b32_e32 v4, 0x7f800000, v1
	v_cmpx_ne_u32_e32 0x7f800000, v4
	s_cbranch_execz .LBB4_7702
; %bb.7695:                             ;   in Loop: Header=BB4_7456 Depth=3
	v_mov_b32_e32 v93, 0
	s_mov_b32 s73, exec_lo
	v_cmpx_ne_u32_e32 0, v1
	s_cbranch_execz .LBB4_7701
; %bb.7696:                             ;   in Loop: Header=BB4_7456 Depth=3
	v_bfe_u32 v4, v1, 23, 8
	v_and_b32_e32 v5, 0x7fffff, v1
	v_sub_nc_u32_e32 v12, 0x70, v4
	v_cmp_gt_u32_e32 vcc_lo, 0x71, v4
	v_or_b32_e32 v13, 0x800000, v5
	v_cndmask_b32_e32 v12, 0, v12, vcc_lo
	v_cmp_eq_u32_e32 vcc_lo, 0, v4
	v_add_nc_u32_e32 v4, 0xffffff91, v4
	v_cndmask_b32_e64 v12, v12, 0x6f, vcc_lo
	v_cndmask_b32_e32 v5, v13, v5, vcc_lo
	v_cndmask_b32_e64 v4, v4, 0xffffff92, vcc_lo
	v_lshl_add_u32 v13, 0x200000, v12, -1
	v_lshrrev_b32_e32 v14, v12, v5
	v_lshlrev_b32_e64 v16, v12, 0x100000
	v_add_nc_u32_e32 v12, v12, v4
	v_and_b32_e32 v5, v13, v5
	v_bfe_u32 v15, v14, 21, 1
	v_cmp_eq_u32_e64 s16, v5, v16
	v_add_nc_u32_e32 v13, -1, v15
	v_cndmask_b32_e64 v5, 0, v13, s16
	v_lshrrev_b32_e32 v13, 23, v14
	s_mov_b32 s16, exec_lo
	v_add_nc_u32_e32 v5, v5, v14
	v_xor_b32_e32 v13, 1, v13
	v_and_b32_e32 v4, 0x1fffff, v5
	v_add_nc_u32_e32 v5, v4, v14
                                        ; implicit-def: $vgpr4
	v_cmpx_ne_u32_e64 v12, v13
	s_xor_b32 s16, exec_lo, s16
; %bb.7697:                             ;   in Loop: Header=BB4_7456 Depth=3
	v_cmp_lt_u32_e32 vcc_lo, 0xffffff, v5
	v_sub_nc_u32_e32 v4, v12, v13
	v_cndmask_b32_e64 v12, 0, 1, vcc_lo
	v_add_co_ci_u32_e64 v4, null, 0, v4, vcc_lo
	v_lshrrev_b32_e32 v5, v12, v5
; %bb.7698:                             ;   in Loop: Header=BB4_7456 Depth=3
	s_andn2_saveexec_b32 s16, s16
; %bb.7699:                             ;   in Loop: Header=BB4_7456 Depth=3
	v_bfe_u32 v4, v5, 23, 1
; %bb.7700:                             ;   in Loop: Header=BB4_7456 Depth=3
	s_or_b32 exec_lo, exec_lo, s16
	v_lshrrev_b32_e32 v5, 21, v5
	v_min_i32_e32 v12, 31, v4
	v_cmp_gt_i32_e32 vcc_lo, 32, v4
	v_and_b32_sdwa v1, v1, v101 dst_sel:DWORD dst_unused:UNUSED_PAD src0_sel:BYTE_3 src1_sel:DWORD
	v_lshlrev_b32_e32 v12, 2, v12
	v_cndmask_b32_e32 v5, 3, v5, vcc_lo
	v_and_b32_e32 v12, 0xfc, v12
	v_and_b32_e32 v13, 3, v5
	v_or_b32_e32 v4, v4, v5
	v_or3_b32 v1, v12, v1, v13
	v_cmp_ne_u32_e32 vcc_lo, 0, v4
	v_cndmask_b32_e32 v93, 0, v1, vcc_lo
.LBB4_7701:                             ;   in Loop: Header=BB4_7456 Depth=3
	s_or_b32 exec_lo, exec_lo, s73
.LBB4_7702:                             ;   in Loop: Header=BB4_7456 Depth=3
	s_or_b32 exec_lo, exec_lo, s72
	v_cmp_gt_i16_sdwa s72, v8, v100 src0_sel:BYTE_1 src1_sel:DWORD
	s_mov_b32 s16, 0
	s_and_saveexec_b32 s73, s72
	s_xor_b32 s72, exec_lo, s73
	s_cbranch_execz .LBB4_8584
; %bb.7703:                             ;   in Loop: Header=BB4_7456 Depth=3
	v_cmp_eq_u16_sdwa s74, v8, v101 src0_sel:BYTE_1 src1_sel:DWORD
	s_mov_b32 s16, -1
	s_and_saveexec_b32 s73, s74
; %bb.7704:                             ;   in Loop: Header=BB4_7456 Depth=3
	s_xor_b32 s16, exec_lo, -1
; %bb.7705:                             ;   in Loop: Header=BB4_7456 Depth=3
	s_or_b32 exec_lo, exec_lo, s73
	s_and_b32 s16, s16, exec_lo
	s_or_saveexec_b32 s72, s72
	v_mov_b32_e32 v1, 0x7f800001
	s_xor_b32 exec_lo, exec_lo, s72
	s_cbranch_execnz .LBB4_8585
.LBB4_7706:                             ;   in Loop: Header=BB4_7456 Depth=3
	s_or_b32 exec_lo, exec_lo, s72
	s_and_saveexec_b32 s72, s16
	s_cbranch_execz .LBB4_7708
.LBB4_7707:                             ;   in Loop: Header=BB4_7456 Depth=3
	v_and_b32_sdwa v1, v102, v8 dst_sel:DWORD dst_unused:UNUSED_PAD src0_sel:DWORD src1_sel:BYTE_1
	v_and_b32_e32 v4, 3, v1
	v_bfe_u32 v13, v1, 2, 5
	v_ffbh_u32_e32 v5, v4
	v_cmp_eq_u32_e32 vcc_lo, 0, v13
	v_min_u32_e32 v5, 32, v5
	v_subrev_nc_u32_e32 v12, 29, v5
	v_sub_nc_u32_e32 v5, 30, v5
	v_lshlrev_b32_e32 v1, v12, v1
	v_lshlrev_b32_sdwa v12, v103, v8 dst_sel:DWORD dst_unused:UNUSED_PAD src0_sel:DWORD src1_sel:BYTE_1
	v_cndmask_b32_e32 v5, v13, v5, vcc_lo
	v_and_b32_e32 v1, 3, v1
	v_lshl_add_u32 v5, v5, 23, 0x37800000
	v_cndmask_b32_e32 v1, v4, v1, vcc_lo
	v_and_b32_e32 v4, 0x80000000, v12
	v_lshlrev_b32_e32 v1, 21, v1
	v_or3_b32 v1, v4, v5, v1
.LBB4_7708:                             ;   in Loop: Header=BB4_7456 Depth=3
	s_or_b32 exec_lo, exec_lo, s72
	v_mul_f32_e32 v1, s23, v1
	v_mov_b32_e32 v94, 0x8000
	s_mov_b32 s72, exec_lo
	v_and_b32_e32 v4, 0x7f800000, v1
	v_cmpx_ne_u32_e32 0x7f800000, v4
	s_cbranch_execz .LBB4_7716
; %bb.7709:                             ;   in Loop: Header=BB4_7456 Depth=3
	v_mov_b32_e32 v94, 0
	s_mov_b32 s73, exec_lo
	v_cmpx_ne_u32_e32 0, v1
	s_cbranch_execz .LBB4_7715
; %bb.7710:                             ;   in Loop: Header=BB4_7456 Depth=3
	v_bfe_u32 v4, v1, 23, 8
	v_and_b32_e32 v5, 0x7fffff, v1
	v_sub_nc_u32_e32 v12, 0x70, v4
	v_cmp_gt_u32_e32 vcc_lo, 0x71, v4
	v_or_b32_e32 v13, 0x800000, v5
	v_cndmask_b32_e32 v12, 0, v12, vcc_lo
	v_cmp_eq_u32_e32 vcc_lo, 0, v4
	v_add_nc_u32_e32 v4, 0xffffff91, v4
	v_cndmask_b32_e64 v12, v12, 0x6f, vcc_lo
	v_cndmask_b32_e32 v5, v13, v5, vcc_lo
	v_cndmask_b32_e64 v4, v4, 0xffffff92, vcc_lo
	v_lshl_add_u32 v13, 0x200000, v12, -1
	v_lshrrev_b32_e32 v14, v12, v5
	v_lshlrev_b32_e64 v16, v12, 0x100000
	v_add_nc_u32_e32 v12, v12, v4
	v_and_b32_e32 v5, v13, v5
	v_bfe_u32 v15, v14, 21, 1
	v_cmp_eq_u32_e64 s16, v5, v16
	v_add_nc_u32_e32 v13, -1, v15
	v_cndmask_b32_e64 v5, 0, v13, s16
	v_lshrrev_b32_e32 v13, 23, v14
	s_mov_b32 s16, exec_lo
	v_add_nc_u32_e32 v5, v5, v14
	v_xor_b32_e32 v13, 1, v13
	v_and_b32_e32 v4, 0x1fffff, v5
	v_add_nc_u32_e32 v5, v4, v14
                                        ; implicit-def: $vgpr4
	v_cmpx_ne_u32_e64 v12, v13
	s_xor_b32 s16, exec_lo, s16
; %bb.7711:                             ;   in Loop: Header=BB4_7456 Depth=3
	v_cmp_lt_u32_e32 vcc_lo, 0xffffff, v5
	v_sub_nc_u32_e32 v4, v12, v13
	v_cndmask_b32_e64 v12, 0, 1, vcc_lo
	v_add_co_ci_u32_e64 v4, null, 0, v4, vcc_lo
	v_lshrrev_b32_e32 v5, v12, v5
; %bb.7712:                             ;   in Loop: Header=BB4_7456 Depth=3
	s_andn2_saveexec_b32 s16, s16
; %bb.7713:                             ;   in Loop: Header=BB4_7456 Depth=3
	v_bfe_u32 v4, v5, 23, 1
; %bb.7714:                             ;   in Loop: Header=BB4_7456 Depth=3
	s_or_b32 exec_lo, exec_lo, s16
	v_lshrrev_b32_e32 v5, 21, v5
	v_min_i32_e32 v12, 31, v4
	v_cmp_gt_i32_e32 vcc_lo, 32, v4
	v_and_b32_sdwa v1, v1, v101 dst_sel:DWORD dst_unused:UNUSED_PAD src0_sel:BYTE_3 src1_sel:DWORD
	v_lshlrev_b32_e32 v12, 2, v12
	v_cndmask_b32_e32 v5, 3, v5, vcc_lo
	v_and_b32_e32 v12, 0xfc, v12
	v_and_b32_e32 v13, 3, v5
	v_or_b32_e32 v4, v4, v5
	v_or3_b32 v1, v1, v12, v13
	v_cmp_ne_u32_e32 vcc_lo, 0, v4
	v_lshlrev_b32_e32 v1, 8, v1
	v_cndmask_b32_e32 v94, 0, v1, vcc_lo
.LBB4_7715:                             ;   in Loop: Header=BB4_7456 Depth=3
	s_or_b32 exec_lo, exec_lo, s73
.LBB4_7716:                             ;   in Loop: Header=BB4_7456 Depth=3
	s_or_b32 exec_lo, exec_lo, s72
	v_and_b32_sdwa v4, v8, v112 dst_sel:DWORD dst_unused:UNUSED_PAD src0_sel:WORD_1 src1_sel:DWORD
	s_mov_b32 s16, 0
	s_mov_b32 s72, exec_lo
	v_cmpx_lt_i16_e32 0x7f, v4
	s_xor_b32 s72, exec_lo, s72
	s_cbranch_execz .LBB4_8586
; %bb.7717:                             ;   in Loop: Header=BB4_7456 Depth=3
	s_mov_b32 s16, -1
	s_mov_b32 s73, exec_lo
	v_cmpx_eq_u16_e32 0x80, v4
; %bb.7718:                             ;   in Loop: Header=BB4_7456 Depth=3
	s_xor_b32 s16, exec_lo, -1
; %bb.7719:                             ;   in Loop: Header=BB4_7456 Depth=3
	s_or_b32 exec_lo, exec_lo, s73
	s_and_b32 s16, s16, exec_lo
                                        ; implicit-def: $vgpr4
	s_or_saveexec_b32 s72, s72
	v_mov_b32_e32 v1, 0x7f800001
	s_xor_b32 exec_lo, exec_lo, s72
	s_cbranch_execnz .LBB4_8587
.LBB4_7720:                             ;   in Loop: Header=BB4_7456 Depth=3
	s_or_b32 exec_lo, exec_lo, s72
	s_and_saveexec_b32 s72, s16
	s_cbranch_execz .LBB4_7722
.LBB4_7721:                             ;   in Loop: Header=BB4_7456 Depth=3
	v_bfe_u32 v1, v8, 16, 2
	v_bfe_u32 v12, v8, 18, 5
	v_lshlrev_b32_e32 v13, 8, v8
	v_ffbh_u32_e32 v4, v1
	v_cmp_eq_u32_e32 vcc_lo, 0, v12
	v_min_u32_e32 v4, 32, v4
	v_subrev_nc_u32_e32 v5, 29, v4
	v_sub_nc_u32_e32 v4, 30, v4
	v_lshlrev_b32_sdwa v5, v5, v8 dst_sel:DWORD dst_unused:UNUSED_PAD src0_sel:DWORD src1_sel:WORD_1
	v_cndmask_b32_e32 v4, v12, v4, vcc_lo
	v_and_b32_e32 v5, 3, v5
	v_lshl_add_u32 v4, v4, 23, 0x37800000
	v_cndmask_b32_e32 v1, v1, v5, vcc_lo
	v_and_b32_e32 v5, 0x80000000, v13
	v_lshlrev_b32_e32 v1, 21, v1
	v_or3_b32 v1, v5, v4, v1
.LBB4_7722:                             ;   in Loop: Header=BB4_7456 Depth=3
	s_or_b32 exec_lo, exec_lo, s72
	v_mul_f32_e32 v1, s23, v1
	v_mov_b32_e32 v91, 0x80
	s_mov_b32 s72, exec_lo
	v_and_b32_e32 v4, 0x7f800000, v1
	v_cmpx_ne_u32_e32 0x7f800000, v4
	s_cbranch_execz .LBB4_7730
; %bb.7723:                             ;   in Loop: Header=BB4_7456 Depth=3
	v_mov_b32_e32 v91, 0
	s_mov_b32 s73, exec_lo
	v_cmpx_ne_u32_e32 0, v1
	s_cbranch_execz .LBB4_7729
; %bb.7724:                             ;   in Loop: Header=BB4_7456 Depth=3
	v_bfe_u32 v4, v1, 23, 8
	v_and_b32_e32 v5, 0x7fffff, v1
	v_sub_nc_u32_e32 v12, 0x70, v4
	v_cmp_gt_u32_e32 vcc_lo, 0x71, v4
	v_or_b32_e32 v13, 0x800000, v5
	v_cndmask_b32_e32 v12, 0, v12, vcc_lo
	v_cmp_eq_u32_e32 vcc_lo, 0, v4
	v_add_nc_u32_e32 v4, 0xffffff91, v4
	v_cndmask_b32_e64 v12, v12, 0x6f, vcc_lo
	v_cndmask_b32_e32 v5, v13, v5, vcc_lo
	v_cndmask_b32_e64 v4, v4, 0xffffff92, vcc_lo
	v_lshl_add_u32 v13, 0x200000, v12, -1
	v_lshrrev_b32_e32 v14, v12, v5
	v_lshlrev_b32_e64 v16, v12, 0x100000
	v_add_nc_u32_e32 v12, v12, v4
	v_and_b32_e32 v5, v13, v5
	v_bfe_u32 v15, v14, 21, 1
	v_cmp_eq_u32_e64 s16, v5, v16
	v_add_nc_u32_e32 v13, -1, v15
	v_cndmask_b32_e64 v5, 0, v13, s16
	v_lshrrev_b32_e32 v13, 23, v14
	s_mov_b32 s16, exec_lo
	v_add_nc_u32_e32 v5, v5, v14
	v_xor_b32_e32 v13, 1, v13
	v_and_b32_e32 v4, 0x1fffff, v5
	v_add_nc_u32_e32 v5, v4, v14
                                        ; implicit-def: $vgpr4
	v_cmpx_ne_u32_e64 v12, v13
	s_xor_b32 s16, exec_lo, s16
; %bb.7725:                             ;   in Loop: Header=BB4_7456 Depth=3
	v_cmp_lt_u32_e32 vcc_lo, 0xffffff, v5
	v_sub_nc_u32_e32 v4, v12, v13
	v_cndmask_b32_e64 v12, 0, 1, vcc_lo
	v_add_co_ci_u32_e64 v4, null, 0, v4, vcc_lo
	v_lshrrev_b32_e32 v5, v12, v5
; %bb.7726:                             ;   in Loop: Header=BB4_7456 Depth=3
	s_andn2_saveexec_b32 s16, s16
; %bb.7727:                             ;   in Loop: Header=BB4_7456 Depth=3
	v_bfe_u32 v4, v5, 23, 1
; %bb.7728:                             ;   in Loop: Header=BB4_7456 Depth=3
	s_or_b32 exec_lo, exec_lo, s16
	v_lshrrev_b32_e32 v5, 21, v5
	v_min_i32_e32 v12, 31, v4
	v_cmp_gt_i32_e32 vcc_lo, 32, v4
	v_and_b32_sdwa v1, v1, v101 dst_sel:DWORD dst_unused:UNUSED_PAD src0_sel:BYTE_3 src1_sel:DWORD
	v_lshlrev_b32_e32 v12, 2, v12
	v_cndmask_b32_e32 v5, 3, v5, vcc_lo
	v_and_b32_e32 v12, 0xfc, v12
	v_and_b32_e32 v13, 3, v5
	v_or_b32_e32 v4, v4, v5
	v_or3_b32 v1, v12, v1, v13
	v_cmp_ne_u32_e32 vcc_lo, 0, v4
	v_cndmask_b32_e32 v91, 0, v1, vcc_lo
.LBB4_7729:                             ;   in Loop: Header=BB4_7456 Depth=3
	s_or_b32 exec_lo, exec_lo, s73
.LBB4_7730:                             ;   in Loop: Header=BB4_7456 Depth=3
	s_or_b32 exec_lo, exec_lo, s72
	v_cmp_gt_i16_sdwa s72, v8, v100 src0_sel:BYTE_3 src1_sel:DWORD
	s_mov_b32 s16, 0
	s_and_saveexec_b32 s73, s72
	s_xor_b32 s72, exec_lo, s73
	s_cbranch_execz .LBB4_8588
; %bb.7731:                             ;   in Loop: Header=BB4_7456 Depth=3
	v_cmp_eq_u16_sdwa s74, v8, v101 src0_sel:BYTE_3 src1_sel:DWORD
	s_mov_b32 s16, -1
	s_and_saveexec_b32 s73, s74
; %bb.7732:                             ;   in Loop: Header=BB4_7456 Depth=3
	s_xor_b32 s16, exec_lo, -1
; %bb.7733:                             ;   in Loop: Header=BB4_7456 Depth=3
	s_or_b32 exec_lo, exec_lo, s73
	s_and_b32 s16, s16, exec_lo
	s_or_saveexec_b32 s72, s72
	v_mov_b32_e32 v1, 0x7f800001
	s_xor_b32 exec_lo, exec_lo, s72
	s_cbranch_execnz .LBB4_8589
.LBB4_7734:                             ;   in Loop: Header=BB4_7456 Depth=3
	s_or_b32 exec_lo, exec_lo, s72
	s_and_saveexec_b32 s72, s16
	s_cbranch_execz .LBB4_7736
.LBB4_7735:                             ;   in Loop: Header=BB4_7456 Depth=3
	v_bfe_u32 v1, v8, 24, 2
	v_bfe_u32 v12, v8, 26, 5
	v_ffbh_u32_e32 v4, v1
	v_cmp_eq_u32_e32 vcc_lo, 0, v12
	v_min_u32_e32 v4, 32, v4
	v_subrev_nc_u32_e32 v5, 29, v4
	v_sub_nc_u32_e32 v4, 30, v4
	v_lshlrev_b32_sdwa v5, v5, v8 dst_sel:DWORD dst_unused:UNUSED_PAD src0_sel:DWORD src1_sel:BYTE_3
	v_cndmask_b32_e32 v4, v12, v4, vcc_lo
	v_and_b32_e32 v5, 3, v5
	v_lshl_add_u32 v4, v4, 23, 0x37800000
	v_cndmask_b32_e32 v1, v1, v5, vcc_lo
	v_and_b32_e32 v5, 0x80000000, v8
	v_lshlrev_b32_e32 v1, 21, v1
	v_or3_b32 v1, v5, v4, v1
.LBB4_7736:                             ;   in Loop: Header=BB4_7456 Depth=3
	s_or_b32 exec_lo, exec_lo, s72
	v_mul_f32_e32 v1, s23, v1
	v_mov_b32_e32 v92, 0x8000
	s_mov_b32 s72, exec_lo
	v_and_b32_e32 v4, 0x7f800000, v1
	v_cmpx_ne_u32_e32 0x7f800000, v4
	s_cbranch_execz .LBB4_7744
; %bb.7737:                             ;   in Loop: Header=BB4_7456 Depth=3
	v_mov_b32_e32 v92, 0
	s_mov_b32 s73, exec_lo
	v_cmpx_ne_u32_e32 0, v1
	s_cbranch_execz .LBB4_7743
; %bb.7738:                             ;   in Loop: Header=BB4_7456 Depth=3
	v_bfe_u32 v4, v1, 23, 8
	v_and_b32_e32 v5, 0x7fffff, v1
	v_sub_nc_u32_e32 v8, 0x70, v4
	v_cmp_gt_u32_e32 vcc_lo, 0x71, v4
	v_or_b32_e32 v12, 0x800000, v5
	v_cndmask_b32_e32 v8, 0, v8, vcc_lo
	v_cmp_eq_u32_e32 vcc_lo, 0, v4
	v_add_nc_u32_e32 v4, 0xffffff91, v4
	v_cndmask_b32_e64 v8, v8, 0x6f, vcc_lo
	v_cndmask_b32_e32 v5, v12, v5, vcc_lo
	v_cndmask_b32_e64 v4, v4, 0xffffff92, vcc_lo
	v_lshl_add_u32 v12, 0x200000, v8, -1
	v_lshrrev_b32_e32 v13, v8, v5
	v_lshlrev_b32_e64 v15, v8, 0x100000
	v_add_nc_u32_e32 v8, v8, v4
	v_and_b32_e32 v5, v12, v5
	v_bfe_u32 v14, v13, 21, 1
	v_cmp_eq_u32_e64 s16, v5, v15
	v_add_nc_u32_e32 v12, -1, v14
	v_cndmask_b32_e64 v5, 0, v12, s16
	v_lshrrev_b32_e32 v12, 23, v13
	s_mov_b32 s16, exec_lo
	v_add_nc_u32_e32 v5, v5, v13
	v_xor_b32_e32 v12, 1, v12
	v_and_b32_e32 v4, 0x1fffff, v5
	v_add_nc_u32_e32 v5, v4, v13
                                        ; implicit-def: $vgpr4
	v_cmpx_ne_u32_e64 v8, v12
	s_xor_b32 s16, exec_lo, s16
; %bb.7739:                             ;   in Loop: Header=BB4_7456 Depth=3
	v_cmp_lt_u32_e32 vcc_lo, 0xffffff, v5
	v_sub_nc_u32_e32 v4, v8, v12
	v_cndmask_b32_e64 v8, 0, 1, vcc_lo
	v_add_co_ci_u32_e64 v4, null, 0, v4, vcc_lo
	v_lshrrev_b32_e32 v5, v8, v5
; %bb.7740:                             ;   in Loop: Header=BB4_7456 Depth=3
	s_andn2_saveexec_b32 s16, s16
; %bb.7741:                             ;   in Loop: Header=BB4_7456 Depth=3
	v_bfe_u32 v4, v5, 23, 1
; %bb.7742:                             ;   in Loop: Header=BB4_7456 Depth=3
	s_or_b32 exec_lo, exec_lo, s16
	v_lshrrev_b32_e32 v5, 21, v5
	v_min_i32_e32 v8, 31, v4
	v_cmp_gt_i32_e32 vcc_lo, 32, v4
	v_and_b32_sdwa v1, v1, v101 dst_sel:DWORD dst_unused:UNUSED_PAD src0_sel:BYTE_3 src1_sel:DWORD
	v_lshlrev_b32_e32 v8, 2, v8
	v_cndmask_b32_e32 v5, 3, v5, vcc_lo
	v_and_b32_e32 v8, 0xfc, v8
	v_and_b32_e32 v12, 3, v5
	v_or_b32_e32 v4, v4, v5
	v_or3_b32 v1, v1, v8, v12
	v_cmp_ne_u32_e32 vcc_lo, 0, v4
	v_lshlrev_b32_e32 v1, 8, v1
	v_cndmask_b32_e32 v92, 0, v1, vcc_lo
.LBB4_7743:                             ;   in Loop: Header=BB4_7456 Depth=3
	s_or_b32 exec_lo, exec_lo, s73
.LBB4_7744:                             ;   in Loop: Header=BB4_7456 Depth=3
	s_or_b32 exec_lo, exec_lo, s72
	v_cmp_gt_i16_sdwa s72, v9, v100 src0_sel:BYTE_0 src1_sel:DWORD
	s_mov_b32 s16, 0
	s_and_saveexec_b32 s73, s72
	s_xor_b32 s72, exec_lo, s73
	s_cbranch_execz .LBB4_8590
; %bb.7745:                             ;   in Loop: Header=BB4_7456 Depth=3
	v_cmp_eq_u16_sdwa s74, v9, v101 src0_sel:BYTE_0 src1_sel:DWORD
	s_mov_b32 s16, -1
	s_and_saveexec_b32 s73, s74
; %bb.7746:                             ;   in Loop: Header=BB4_7456 Depth=3
	s_xor_b32 s16, exec_lo, -1
; %bb.7747:                             ;   in Loop: Header=BB4_7456 Depth=3
	s_or_b32 exec_lo, exec_lo, s73
	s_and_b32 s16, s16, exec_lo
	s_or_saveexec_b32 s72, s72
	v_mov_b32_e32 v1, 0x7f800001
	s_xor_b32 exec_lo, exec_lo, s72
	s_cbranch_execnz .LBB4_8591
.LBB4_7748:                             ;   in Loop: Header=BB4_7456 Depth=3
	s_or_b32 exec_lo, exec_lo, s72
	s_and_saveexec_b32 s72, s16
	s_cbranch_execz .LBB4_7750
.LBB4_7749:                             ;   in Loop: Header=BB4_7456 Depth=3
	v_and_b32_e32 v1, 3, v9
	v_bfe_u32 v8, v9, 2, 5
	v_lshlrev_b32_e32 v12, 24, v9
	v_ffbh_u32_e32 v4, v1
	v_cmp_eq_u32_e32 vcc_lo, 0, v8
	v_min_u32_e32 v4, 32, v4
	v_subrev_nc_u32_e32 v5, 29, v4
	v_sub_nc_u32_e32 v4, 30, v4
	v_lshlrev_b32_e32 v5, v5, v9
	v_cndmask_b32_e32 v4, v8, v4, vcc_lo
	v_and_b32_e32 v5, 3, v5
	v_lshl_add_u32 v4, v4, 23, 0x37800000
	v_cndmask_b32_e32 v1, v1, v5, vcc_lo
	v_and_b32_e32 v5, 0x80000000, v12
	v_lshlrev_b32_e32 v1, 21, v1
	v_or3_b32 v1, v5, v4, v1
.LBB4_7750:                             ;   in Loop: Header=BB4_7456 Depth=3
	s_or_b32 exec_lo, exec_lo, s72
	v_mul_f32_e32 v1, s23, v1
	v_mov_b32_e32 v89, 0x80
	s_mov_b32 s72, exec_lo
	v_and_b32_e32 v4, 0x7f800000, v1
	v_cmpx_ne_u32_e32 0x7f800000, v4
	s_cbranch_execz .LBB4_7758
; %bb.7751:                             ;   in Loop: Header=BB4_7456 Depth=3
	v_mov_b32_e32 v89, 0
	s_mov_b32 s73, exec_lo
	v_cmpx_ne_u32_e32 0, v1
	s_cbranch_execz .LBB4_7757
; %bb.7752:                             ;   in Loop: Header=BB4_7456 Depth=3
	v_bfe_u32 v4, v1, 23, 8
	v_and_b32_e32 v5, 0x7fffff, v1
	v_sub_nc_u32_e32 v8, 0x70, v4
	v_cmp_gt_u32_e32 vcc_lo, 0x71, v4
	v_or_b32_e32 v12, 0x800000, v5
	v_cndmask_b32_e32 v8, 0, v8, vcc_lo
	v_cmp_eq_u32_e32 vcc_lo, 0, v4
	v_add_nc_u32_e32 v4, 0xffffff91, v4
	v_cndmask_b32_e64 v8, v8, 0x6f, vcc_lo
	v_cndmask_b32_e32 v5, v12, v5, vcc_lo
	v_cndmask_b32_e64 v4, v4, 0xffffff92, vcc_lo
	v_lshl_add_u32 v12, 0x200000, v8, -1
	v_lshrrev_b32_e32 v13, v8, v5
	v_lshlrev_b32_e64 v15, v8, 0x100000
	v_add_nc_u32_e32 v8, v8, v4
	v_and_b32_e32 v5, v12, v5
	v_bfe_u32 v14, v13, 21, 1
	v_cmp_eq_u32_e64 s16, v5, v15
	v_add_nc_u32_e32 v12, -1, v14
	v_cndmask_b32_e64 v5, 0, v12, s16
	v_lshrrev_b32_e32 v12, 23, v13
	s_mov_b32 s16, exec_lo
	v_add_nc_u32_e32 v5, v5, v13
	v_xor_b32_e32 v12, 1, v12
	v_and_b32_e32 v4, 0x1fffff, v5
	v_add_nc_u32_e32 v5, v4, v13
                                        ; implicit-def: $vgpr4
	v_cmpx_ne_u32_e64 v8, v12
	s_xor_b32 s16, exec_lo, s16
; %bb.7753:                             ;   in Loop: Header=BB4_7456 Depth=3
	v_cmp_lt_u32_e32 vcc_lo, 0xffffff, v5
	v_sub_nc_u32_e32 v4, v8, v12
	v_cndmask_b32_e64 v8, 0, 1, vcc_lo
	v_add_co_ci_u32_e64 v4, null, 0, v4, vcc_lo
	v_lshrrev_b32_e32 v5, v8, v5
; %bb.7754:                             ;   in Loop: Header=BB4_7456 Depth=3
	s_andn2_saveexec_b32 s16, s16
; %bb.7755:                             ;   in Loop: Header=BB4_7456 Depth=3
	v_bfe_u32 v4, v5, 23, 1
; %bb.7756:                             ;   in Loop: Header=BB4_7456 Depth=3
	s_or_b32 exec_lo, exec_lo, s16
	v_lshrrev_b32_e32 v5, 21, v5
	v_min_i32_e32 v8, 31, v4
	v_cmp_gt_i32_e32 vcc_lo, 32, v4
	v_and_b32_sdwa v1, v1, v101 dst_sel:DWORD dst_unused:UNUSED_PAD src0_sel:BYTE_3 src1_sel:DWORD
	v_lshlrev_b32_e32 v8, 2, v8
	v_cndmask_b32_e32 v5, 3, v5, vcc_lo
	v_and_b32_e32 v8, 0xfc, v8
	v_and_b32_e32 v12, 3, v5
	v_or_b32_e32 v4, v4, v5
	v_or3_b32 v1, v8, v1, v12
	v_cmp_ne_u32_e32 vcc_lo, 0, v4
	v_cndmask_b32_e32 v89, 0, v1, vcc_lo
.LBB4_7757:                             ;   in Loop: Header=BB4_7456 Depth=3
	s_or_b32 exec_lo, exec_lo, s73
.LBB4_7758:                             ;   in Loop: Header=BB4_7456 Depth=3
	s_or_b32 exec_lo, exec_lo, s72
	v_cmp_gt_i16_sdwa s72, v9, v100 src0_sel:BYTE_1 src1_sel:DWORD
	s_mov_b32 s16, 0
	s_and_saveexec_b32 s73, s72
	s_xor_b32 s72, exec_lo, s73
	s_cbranch_execz .LBB4_8592
; %bb.7759:                             ;   in Loop: Header=BB4_7456 Depth=3
	v_cmp_eq_u16_sdwa s74, v9, v101 src0_sel:BYTE_1 src1_sel:DWORD
	s_mov_b32 s16, -1
	s_and_saveexec_b32 s73, s74
; %bb.7760:                             ;   in Loop: Header=BB4_7456 Depth=3
	s_xor_b32 s16, exec_lo, -1
; %bb.7761:                             ;   in Loop: Header=BB4_7456 Depth=3
	s_or_b32 exec_lo, exec_lo, s73
	s_and_b32 s16, s16, exec_lo
	s_or_saveexec_b32 s72, s72
	v_mov_b32_e32 v1, 0x7f800001
	s_xor_b32 exec_lo, exec_lo, s72
	s_cbranch_execnz .LBB4_8593
.LBB4_7762:                             ;   in Loop: Header=BB4_7456 Depth=3
	s_or_b32 exec_lo, exec_lo, s72
	s_and_saveexec_b32 s72, s16
	s_cbranch_execz .LBB4_7764
.LBB4_7763:                             ;   in Loop: Header=BB4_7456 Depth=3
	v_and_b32_sdwa v1, v102, v9 dst_sel:DWORD dst_unused:UNUSED_PAD src0_sel:DWORD src1_sel:BYTE_1
	v_and_b32_e32 v4, 3, v1
	v_bfe_u32 v12, v1, 2, 5
	v_ffbh_u32_e32 v5, v4
	v_cmp_eq_u32_e32 vcc_lo, 0, v12
	v_min_u32_e32 v5, 32, v5
	v_subrev_nc_u32_e32 v8, 29, v5
	v_sub_nc_u32_e32 v5, 30, v5
	v_lshlrev_b32_e32 v1, v8, v1
	v_lshlrev_b32_sdwa v8, v103, v9 dst_sel:DWORD dst_unused:UNUSED_PAD src0_sel:DWORD src1_sel:BYTE_1
	v_cndmask_b32_e32 v5, v12, v5, vcc_lo
	v_and_b32_e32 v1, 3, v1
	v_lshl_add_u32 v5, v5, 23, 0x37800000
	v_cndmask_b32_e32 v1, v4, v1, vcc_lo
	v_and_b32_e32 v4, 0x80000000, v8
	v_lshlrev_b32_e32 v1, 21, v1
	v_or3_b32 v1, v4, v5, v1
.LBB4_7764:                             ;   in Loop: Header=BB4_7456 Depth=3
	s_or_b32 exec_lo, exec_lo, s72
	v_mul_f32_e32 v1, s23, v1
	v_mov_b32_e32 v90, 0x8000
	s_mov_b32 s72, exec_lo
	v_and_b32_e32 v4, 0x7f800000, v1
	v_cmpx_ne_u32_e32 0x7f800000, v4
	s_cbranch_execz .LBB4_7772
; %bb.7765:                             ;   in Loop: Header=BB4_7456 Depth=3
	v_mov_b32_e32 v90, 0
	s_mov_b32 s73, exec_lo
	v_cmpx_ne_u32_e32 0, v1
	s_cbranch_execz .LBB4_7771
; %bb.7766:                             ;   in Loop: Header=BB4_7456 Depth=3
	v_bfe_u32 v4, v1, 23, 8
	v_and_b32_e32 v5, 0x7fffff, v1
	v_sub_nc_u32_e32 v8, 0x70, v4
	v_cmp_gt_u32_e32 vcc_lo, 0x71, v4
	v_or_b32_e32 v12, 0x800000, v5
	v_cndmask_b32_e32 v8, 0, v8, vcc_lo
	v_cmp_eq_u32_e32 vcc_lo, 0, v4
	v_add_nc_u32_e32 v4, 0xffffff91, v4
	v_cndmask_b32_e64 v8, v8, 0x6f, vcc_lo
	v_cndmask_b32_e32 v5, v12, v5, vcc_lo
	v_cndmask_b32_e64 v4, v4, 0xffffff92, vcc_lo
	v_lshl_add_u32 v12, 0x200000, v8, -1
	v_lshrrev_b32_e32 v13, v8, v5
	v_lshlrev_b32_e64 v15, v8, 0x100000
	v_add_nc_u32_e32 v8, v8, v4
	v_and_b32_e32 v5, v12, v5
	v_bfe_u32 v14, v13, 21, 1
	v_cmp_eq_u32_e64 s16, v5, v15
	v_add_nc_u32_e32 v12, -1, v14
	v_cndmask_b32_e64 v5, 0, v12, s16
	v_lshrrev_b32_e32 v12, 23, v13
	s_mov_b32 s16, exec_lo
	v_add_nc_u32_e32 v5, v5, v13
	v_xor_b32_e32 v12, 1, v12
	v_and_b32_e32 v4, 0x1fffff, v5
	v_add_nc_u32_e32 v5, v4, v13
                                        ; implicit-def: $vgpr4
	v_cmpx_ne_u32_e64 v8, v12
	s_xor_b32 s16, exec_lo, s16
; %bb.7767:                             ;   in Loop: Header=BB4_7456 Depth=3
	v_cmp_lt_u32_e32 vcc_lo, 0xffffff, v5
	v_sub_nc_u32_e32 v4, v8, v12
	v_cndmask_b32_e64 v8, 0, 1, vcc_lo
	v_add_co_ci_u32_e64 v4, null, 0, v4, vcc_lo
	v_lshrrev_b32_e32 v5, v8, v5
; %bb.7768:                             ;   in Loop: Header=BB4_7456 Depth=3
	s_andn2_saveexec_b32 s16, s16
; %bb.7769:                             ;   in Loop: Header=BB4_7456 Depth=3
	v_bfe_u32 v4, v5, 23, 1
; %bb.7770:                             ;   in Loop: Header=BB4_7456 Depth=3
	s_or_b32 exec_lo, exec_lo, s16
	v_lshrrev_b32_e32 v5, 21, v5
	v_min_i32_e32 v8, 31, v4
	v_cmp_gt_i32_e32 vcc_lo, 32, v4
	v_and_b32_sdwa v1, v1, v101 dst_sel:DWORD dst_unused:UNUSED_PAD src0_sel:BYTE_3 src1_sel:DWORD
	v_lshlrev_b32_e32 v8, 2, v8
	v_cndmask_b32_e32 v5, 3, v5, vcc_lo
	v_and_b32_e32 v8, 0xfc, v8
	v_and_b32_e32 v12, 3, v5
	v_or_b32_e32 v4, v4, v5
	v_or3_b32 v1, v1, v8, v12
	v_cmp_ne_u32_e32 vcc_lo, 0, v4
	v_lshlrev_b32_e32 v1, 8, v1
	v_cndmask_b32_e32 v90, 0, v1, vcc_lo
.LBB4_7771:                             ;   in Loop: Header=BB4_7456 Depth=3
	s_or_b32 exec_lo, exec_lo, s73
.LBB4_7772:                             ;   in Loop: Header=BB4_7456 Depth=3
	s_or_b32 exec_lo, exec_lo, s72
	v_and_b32_sdwa v4, v9, v112 dst_sel:DWORD dst_unused:UNUSED_PAD src0_sel:WORD_1 src1_sel:DWORD
	s_mov_b32 s16, 0
	s_mov_b32 s72, exec_lo
	v_cmpx_lt_i16_e32 0x7f, v4
	s_xor_b32 s72, exec_lo, s72
	s_cbranch_execz .LBB4_8594
; %bb.7773:                             ;   in Loop: Header=BB4_7456 Depth=3
	s_mov_b32 s16, -1
	s_mov_b32 s73, exec_lo
	v_cmpx_eq_u16_e32 0x80, v4
; %bb.7774:                             ;   in Loop: Header=BB4_7456 Depth=3
	s_xor_b32 s16, exec_lo, -1
; %bb.7775:                             ;   in Loop: Header=BB4_7456 Depth=3
	s_or_b32 exec_lo, exec_lo, s73
	s_and_b32 s16, s16, exec_lo
                                        ; implicit-def: $vgpr4
	s_or_saveexec_b32 s72, s72
	v_mov_b32_e32 v1, 0x7f800001
	s_xor_b32 exec_lo, exec_lo, s72
	s_cbranch_execnz .LBB4_8595
.LBB4_7776:                             ;   in Loop: Header=BB4_7456 Depth=3
	s_or_b32 exec_lo, exec_lo, s72
	s_and_saveexec_b32 s72, s16
	s_cbranch_execz .LBB4_7778
.LBB4_7777:                             ;   in Loop: Header=BB4_7456 Depth=3
	v_bfe_u32 v1, v9, 16, 2
	v_bfe_u32 v8, v9, 18, 5
	v_lshlrev_b32_e32 v12, 8, v9
	v_ffbh_u32_e32 v4, v1
	v_cmp_eq_u32_e32 vcc_lo, 0, v8
	v_min_u32_e32 v4, 32, v4
	v_subrev_nc_u32_e32 v5, 29, v4
	v_sub_nc_u32_e32 v4, 30, v4
	v_lshlrev_b32_sdwa v5, v5, v9 dst_sel:DWORD dst_unused:UNUSED_PAD src0_sel:DWORD src1_sel:WORD_1
	v_cndmask_b32_e32 v4, v8, v4, vcc_lo
	v_and_b32_e32 v5, 3, v5
	v_lshl_add_u32 v4, v4, 23, 0x37800000
	v_cndmask_b32_e32 v1, v1, v5, vcc_lo
	v_and_b32_e32 v5, 0x80000000, v12
	v_lshlrev_b32_e32 v1, 21, v1
	v_or3_b32 v1, v5, v4, v1
.LBB4_7778:                             ;   in Loop: Header=BB4_7456 Depth=3
	s_or_b32 exec_lo, exec_lo, s72
	v_mul_f32_e32 v1, s23, v1
	v_mov_b32_e32 v77, 0x80
	s_mov_b32 s72, exec_lo
	v_and_b32_e32 v4, 0x7f800000, v1
	v_cmpx_ne_u32_e32 0x7f800000, v4
	s_cbranch_execz .LBB4_7786
; %bb.7779:                             ;   in Loop: Header=BB4_7456 Depth=3
	v_mov_b32_e32 v77, 0
	s_mov_b32 s73, exec_lo
	v_cmpx_ne_u32_e32 0, v1
	s_cbranch_execz .LBB4_7785
; %bb.7780:                             ;   in Loop: Header=BB4_7456 Depth=3
	v_bfe_u32 v4, v1, 23, 8
	v_and_b32_e32 v5, 0x7fffff, v1
	v_sub_nc_u32_e32 v8, 0x70, v4
	v_cmp_gt_u32_e32 vcc_lo, 0x71, v4
	v_or_b32_e32 v12, 0x800000, v5
	v_cndmask_b32_e32 v8, 0, v8, vcc_lo
	v_cmp_eq_u32_e32 vcc_lo, 0, v4
	v_add_nc_u32_e32 v4, 0xffffff91, v4
	v_cndmask_b32_e64 v8, v8, 0x6f, vcc_lo
	v_cndmask_b32_e32 v5, v12, v5, vcc_lo
	v_cndmask_b32_e64 v4, v4, 0xffffff92, vcc_lo
	v_lshl_add_u32 v12, 0x200000, v8, -1
	v_lshrrev_b32_e32 v13, v8, v5
	v_lshlrev_b32_e64 v15, v8, 0x100000
	v_add_nc_u32_e32 v8, v8, v4
	v_and_b32_e32 v5, v12, v5
	v_bfe_u32 v14, v13, 21, 1
	v_cmp_eq_u32_e64 s16, v5, v15
	v_add_nc_u32_e32 v12, -1, v14
	v_cndmask_b32_e64 v5, 0, v12, s16
	v_lshrrev_b32_e32 v12, 23, v13
	s_mov_b32 s16, exec_lo
	v_add_nc_u32_e32 v5, v5, v13
	v_xor_b32_e32 v12, 1, v12
	v_and_b32_e32 v4, 0x1fffff, v5
	v_add_nc_u32_e32 v5, v4, v13
                                        ; implicit-def: $vgpr4
	v_cmpx_ne_u32_e64 v8, v12
	s_xor_b32 s16, exec_lo, s16
; %bb.7781:                             ;   in Loop: Header=BB4_7456 Depth=3
	v_cmp_lt_u32_e32 vcc_lo, 0xffffff, v5
	v_sub_nc_u32_e32 v4, v8, v12
	v_cndmask_b32_e64 v8, 0, 1, vcc_lo
	v_add_co_ci_u32_e64 v4, null, 0, v4, vcc_lo
	v_lshrrev_b32_e32 v5, v8, v5
; %bb.7782:                             ;   in Loop: Header=BB4_7456 Depth=3
	s_andn2_saveexec_b32 s16, s16
; %bb.7783:                             ;   in Loop: Header=BB4_7456 Depth=3
	v_bfe_u32 v4, v5, 23, 1
; %bb.7784:                             ;   in Loop: Header=BB4_7456 Depth=3
	s_or_b32 exec_lo, exec_lo, s16
	v_lshrrev_b32_e32 v5, 21, v5
	v_min_i32_e32 v8, 31, v4
	v_cmp_gt_i32_e32 vcc_lo, 32, v4
	v_and_b32_sdwa v1, v1, v101 dst_sel:DWORD dst_unused:UNUSED_PAD src0_sel:BYTE_3 src1_sel:DWORD
	v_lshlrev_b32_e32 v8, 2, v8
	v_cndmask_b32_e32 v5, 3, v5, vcc_lo
	v_and_b32_e32 v8, 0xfc, v8
	v_and_b32_e32 v12, 3, v5
	v_or_b32_e32 v4, v4, v5
	v_or3_b32 v1, v8, v1, v12
	v_cmp_ne_u32_e32 vcc_lo, 0, v4
	v_cndmask_b32_e32 v77, 0, v1, vcc_lo
.LBB4_7785:                             ;   in Loop: Header=BB4_7456 Depth=3
	s_or_b32 exec_lo, exec_lo, s73
.LBB4_7786:                             ;   in Loop: Header=BB4_7456 Depth=3
	s_or_b32 exec_lo, exec_lo, s72
	v_cmp_gt_i16_sdwa s72, v9, v100 src0_sel:BYTE_3 src1_sel:DWORD
	s_mov_b32 s16, 0
	s_and_saveexec_b32 s73, s72
	s_xor_b32 s72, exec_lo, s73
	s_cbranch_execz .LBB4_8596
; %bb.7787:                             ;   in Loop: Header=BB4_7456 Depth=3
	v_cmp_eq_u16_sdwa s74, v9, v101 src0_sel:BYTE_3 src1_sel:DWORD
	s_mov_b32 s16, -1
	s_and_saveexec_b32 s73, s74
; %bb.7788:                             ;   in Loop: Header=BB4_7456 Depth=3
	s_xor_b32 s16, exec_lo, -1
; %bb.7789:                             ;   in Loop: Header=BB4_7456 Depth=3
	s_or_b32 exec_lo, exec_lo, s73
	s_and_b32 s16, s16, exec_lo
	s_or_saveexec_b32 s72, s72
	v_mov_b32_e32 v1, 0x7f800001
	s_xor_b32 exec_lo, exec_lo, s72
	s_cbranch_execnz .LBB4_8597
.LBB4_7790:                             ;   in Loop: Header=BB4_7456 Depth=3
	s_or_b32 exec_lo, exec_lo, s72
	s_and_saveexec_b32 s72, s16
	s_cbranch_execz .LBB4_7792
.LBB4_7791:                             ;   in Loop: Header=BB4_7456 Depth=3
	v_bfe_u32 v1, v9, 24, 2
	v_bfe_u32 v8, v9, 26, 5
	v_ffbh_u32_e32 v4, v1
	v_cmp_eq_u32_e32 vcc_lo, 0, v8
	v_min_u32_e32 v4, 32, v4
	v_subrev_nc_u32_e32 v5, 29, v4
	v_sub_nc_u32_e32 v4, 30, v4
	v_lshlrev_b32_sdwa v5, v5, v9 dst_sel:DWORD dst_unused:UNUSED_PAD src0_sel:DWORD src1_sel:BYTE_3
	v_cndmask_b32_e32 v4, v8, v4, vcc_lo
	v_and_b32_e32 v5, 3, v5
	v_lshl_add_u32 v4, v4, 23, 0x37800000
	v_cndmask_b32_e32 v1, v1, v5, vcc_lo
	v_and_b32_e32 v5, 0x80000000, v9
	v_lshlrev_b32_e32 v1, 21, v1
	v_or3_b32 v1, v5, v4, v1
.LBB4_7792:                             ;   in Loop: Header=BB4_7456 Depth=3
	s_or_b32 exec_lo, exec_lo, s72
	v_mul_f32_e32 v1, s23, v1
	v_mov_b32_e32 v88, 0x8000
	s_mov_b32 s72, exec_lo
	v_and_b32_e32 v4, 0x7f800000, v1
	v_cmpx_ne_u32_e32 0x7f800000, v4
	s_cbranch_execz .LBB4_7800
; %bb.7793:                             ;   in Loop: Header=BB4_7456 Depth=3
	v_mov_b32_e32 v88, 0
	s_mov_b32 s73, exec_lo
	v_cmpx_ne_u32_e32 0, v1
	s_cbranch_execz .LBB4_7799
; %bb.7794:                             ;   in Loop: Header=BB4_7456 Depth=3
	v_bfe_u32 v4, v1, 23, 8
	v_and_b32_e32 v5, 0x7fffff, v1
	v_sub_nc_u32_e32 v8, 0x70, v4
	v_cmp_gt_u32_e32 vcc_lo, 0x71, v4
	v_or_b32_e32 v9, 0x800000, v5
	v_cndmask_b32_e32 v8, 0, v8, vcc_lo
	v_cmp_eq_u32_e32 vcc_lo, 0, v4
	v_add_nc_u32_e32 v4, 0xffffff91, v4
	v_cndmask_b32_e64 v8, v8, 0x6f, vcc_lo
	v_cndmask_b32_e32 v5, v9, v5, vcc_lo
	v_cndmask_b32_e64 v4, v4, 0xffffff92, vcc_lo
	v_lshl_add_u32 v9, 0x200000, v8, -1
	v_lshrrev_b32_e32 v12, v8, v5
	v_lshlrev_b32_e64 v14, v8, 0x100000
	v_add_nc_u32_e32 v8, v8, v4
	v_and_b32_e32 v5, v9, v5
	v_bfe_u32 v13, v12, 21, 1
	v_cmp_eq_u32_e64 s16, v5, v14
	v_add_nc_u32_e32 v9, -1, v13
	v_cndmask_b32_e64 v5, 0, v9, s16
	v_lshrrev_b32_e32 v9, 23, v12
	s_mov_b32 s16, exec_lo
	v_add_nc_u32_e32 v5, v5, v12
	v_xor_b32_e32 v9, 1, v9
	v_and_b32_e32 v4, 0x1fffff, v5
	v_add_nc_u32_e32 v5, v4, v12
                                        ; implicit-def: $vgpr4
	v_cmpx_ne_u32_e64 v8, v9
	s_xor_b32 s16, exec_lo, s16
; %bb.7795:                             ;   in Loop: Header=BB4_7456 Depth=3
	v_cmp_lt_u32_e32 vcc_lo, 0xffffff, v5
	v_sub_nc_u32_e32 v4, v8, v9
	v_cndmask_b32_e64 v8, 0, 1, vcc_lo
	v_add_co_ci_u32_e64 v4, null, 0, v4, vcc_lo
	v_lshrrev_b32_e32 v5, v8, v5
; %bb.7796:                             ;   in Loop: Header=BB4_7456 Depth=3
	s_andn2_saveexec_b32 s16, s16
; %bb.7797:                             ;   in Loop: Header=BB4_7456 Depth=3
	v_bfe_u32 v4, v5, 23, 1
; %bb.7798:                             ;   in Loop: Header=BB4_7456 Depth=3
	s_or_b32 exec_lo, exec_lo, s16
	v_lshrrev_b32_e32 v5, 21, v5
	v_min_i32_e32 v8, 31, v4
	v_cmp_gt_i32_e32 vcc_lo, 32, v4
	v_and_b32_sdwa v1, v1, v101 dst_sel:DWORD dst_unused:UNUSED_PAD src0_sel:BYTE_3 src1_sel:DWORD
	v_lshlrev_b32_e32 v8, 2, v8
	v_cndmask_b32_e32 v5, 3, v5, vcc_lo
	v_and_b32_e32 v8, 0xfc, v8
	v_and_b32_e32 v9, 3, v5
	v_or_b32_e32 v4, v4, v5
	v_or3_b32 v1, v1, v8, v9
	v_cmp_ne_u32_e32 vcc_lo, 0, v4
	v_lshlrev_b32_e32 v1, 8, v1
	v_cndmask_b32_e32 v88, 0, v1, vcc_lo
.LBB4_7799:                             ;   in Loop: Header=BB4_7456 Depth=3
	s_or_b32 exec_lo, exec_lo, s73
.LBB4_7800:                             ;   in Loop: Header=BB4_7456 Depth=3
	s_or_b32 exec_lo, exec_lo, s72
	v_cmp_gt_i16_sdwa s72, v10, v100 src0_sel:BYTE_0 src1_sel:DWORD
	s_mov_b32 s16, 0
	s_and_saveexec_b32 s73, s72
	s_xor_b32 s72, exec_lo, s73
	s_cbranch_execz .LBB4_8598
; %bb.7801:                             ;   in Loop: Header=BB4_7456 Depth=3
	v_cmp_eq_u16_sdwa s74, v10, v101 src0_sel:BYTE_0 src1_sel:DWORD
	s_mov_b32 s16, -1
	s_and_saveexec_b32 s73, s74
; %bb.7802:                             ;   in Loop: Header=BB4_7456 Depth=3
	s_xor_b32 s16, exec_lo, -1
; %bb.7803:                             ;   in Loop: Header=BB4_7456 Depth=3
	s_or_b32 exec_lo, exec_lo, s73
	s_and_b32 s16, s16, exec_lo
	s_or_saveexec_b32 s72, s72
	v_mov_b32_e32 v1, 0x7f800001
	s_xor_b32 exec_lo, exec_lo, s72
	s_cbranch_execnz .LBB4_8599
.LBB4_7804:                             ;   in Loop: Header=BB4_7456 Depth=3
	s_or_b32 exec_lo, exec_lo, s72
	s_and_saveexec_b32 s72, s16
	s_cbranch_execz .LBB4_7806
.LBB4_7805:                             ;   in Loop: Header=BB4_7456 Depth=3
	v_and_b32_e32 v1, 3, v10
	v_bfe_u32 v8, v10, 2, 5
	v_lshlrev_b32_e32 v9, 24, v10
	v_ffbh_u32_e32 v4, v1
	v_cmp_eq_u32_e32 vcc_lo, 0, v8
	v_min_u32_e32 v4, 32, v4
	v_subrev_nc_u32_e32 v5, 29, v4
	v_sub_nc_u32_e32 v4, 30, v4
	v_lshlrev_b32_e32 v5, v5, v10
	v_cndmask_b32_e32 v4, v8, v4, vcc_lo
	v_and_b32_e32 v5, 3, v5
	v_lshl_add_u32 v4, v4, 23, 0x37800000
	v_cndmask_b32_e32 v1, v1, v5, vcc_lo
	v_and_b32_e32 v5, 0x80000000, v9
	v_lshlrev_b32_e32 v1, 21, v1
	v_or3_b32 v1, v5, v4, v1
.LBB4_7806:                             ;   in Loop: Header=BB4_7456 Depth=3
	s_or_b32 exec_lo, exec_lo, s72
	v_mul_f32_e32 v1, s23, v1
	v_mov_b32_e32 v75, 0x80
	s_mov_b32 s72, exec_lo
	v_and_b32_e32 v4, 0x7f800000, v1
	v_cmpx_ne_u32_e32 0x7f800000, v4
	s_cbranch_execz .LBB4_7814
; %bb.7807:                             ;   in Loop: Header=BB4_7456 Depth=3
	v_mov_b32_e32 v75, 0
	s_mov_b32 s73, exec_lo
	v_cmpx_ne_u32_e32 0, v1
	s_cbranch_execz .LBB4_7813
; %bb.7808:                             ;   in Loop: Header=BB4_7456 Depth=3
	v_bfe_u32 v4, v1, 23, 8
	v_and_b32_e32 v5, 0x7fffff, v1
	v_sub_nc_u32_e32 v8, 0x70, v4
	v_cmp_gt_u32_e32 vcc_lo, 0x71, v4
	v_or_b32_e32 v9, 0x800000, v5
	v_cndmask_b32_e32 v8, 0, v8, vcc_lo
	v_cmp_eq_u32_e32 vcc_lo, 0, v4
	v_add_nc_u32_e32 v4, 0xffffff91, v4
	v_cndmask_b32_e64 v8, v8, 0x6f, vcc_lo
	v_cndmask_b32_e32 v5, v9, v5, vcc_lo
	v_cndmask_b32_e64 v4, v4, 0xffffff92, vcc_lo
	v_lshl_add_u32 v9, 0x200000, v8, -1
	v_lshrrev_b32_e32 v12, v8, v5
	v_lshlrev_b32_e64 v14, v8, 0x100000
	v_add_nc_u32_e32 v8, v8, v4
	v_and_b32_e32 v5, v9, v5
	v_bfe_u32 v13, v12, 21, 1
	v_cmp_eq_u32_e64 s16, v5, v14
	v_add_nc_u32_e32 v9, -1, v13
	v_cndmask_b32_e64 v5, 0, v9, s16
	v_lshrrev_b32_e32 v9, 23, v12
	s_mov_b32 s16, exec_lo
	v_add_nc_u32_e32 v5, v5, v12
	v_xor_b32_e32 v9, 1, v9
	v_and_b32_e32 v4, 0x1fffff, v5
	v_add_nc_u32_e32 v5, v4, v12
                                        ; implicit-def: $vgpr4
	v_cmpx_ne_u32_e64 v8, v9
	s_xor_b32 s16, exec_lo, s16
; %bb.7809:                             ;   in Loop: Header=BB4_7456 Depth=3
	v_cmp_lt_u32_e32 vcc_lo, 0xffffff, v5
	v_sub_nc_u32_e32 v4, v8, v9
	v_cndmask_b32_e64 v8, 0, 1, vcc_lo
	v_add_co_ci_u32_e64 v4, null, 0, v4, vcc_lo
	v_lshrrev_b32_e32 v5, v8, v5
; %bb.7810:                             ;   in Loop: Header=BB4_7456 Depth=3
	s_andn2_saveexec_b32 s16, s16
; %bb.7811:                             ;   in Loop: Header=BB4_7456 Depth=3
	v_bfe_u32 v4, v5, 23, 1
; %bb.7812:                             ;   in Loop: Header=BB4_7456 Depth=3
	s_or_b32 exec_lo, exec_lo, s16
	v_lshrrev_b32_e32 v5, 21, v5
	v_min_i32_e32 v8, 31, v4
	v_cmp_gt_i32_e32 vcc_lo, 32, v4
	v_and_b32_sdwa v1, v1, v101 dst_sel:DWORD dst_unused:UNUSED_PAD src0_sel:BYTE_3 src1_sel:DWORD
	v_lshlrev_b32_e32 v8, 2, v8
	v_cndmask_b32_e32 v5, 3, v5, vcc_lo
	v_and_b32_e32 v8, 0xfc, v8
	v_and_b32_e32 v9, 3, v5
	v_or_b32_e32 v4, v4, v5
	v_or3_b32 v1, v8, v1, v9
	v_cmp_ne_u32_e32 vcc_lo, 0, v4
	v_cndmask_b32_e32 v75, 0, v1, vcc_lo
.LBB4_7813:                             ;   in Loop: Header=BB4_7456 Depth=3
	s_or_b32 exec_lo, exec_lo, s73
.LBB4_7814:                             ;   in Loop: Header=BB4_7456 Depth=3
	s_or_b32 exec_lo, exec_lo, s72
	v_cmp_gt_i16_sdwa s72, v10, v100 src0_sel:BYTE_1 src1_sel:DWORD
	s_mov_b32 s16, 0
	s_and_saveexec_b32 s73, s72
	s_xor_b32 s72, exec_lo, s73
	s_cbranch_execz .LBB4_8600
; %bb.7815:                             ;   in Loop: Header=BB4_7456 Depth=3
	v_cmp_eq_u16_sdwa s74, v10, v101 src0_sel:BYTE_1 src1_sel:DWORD
	s_mov_b32 s16, -1
	s_and_saveexec_b32 s73, s74
; %bb.7816:                             ;   in Loop: Header=BB4_7456 Depth=3
	s_xor_b32 s16, exec_lo, -1
; %bb.7817:                             ;   in Loop: Header=BB4_7456 Depth=3
	s_or_b32 exec_lo, exec_lo, s73
	s_and_b32 s16, s16, exec_lo
	s_or_saveexec_b32 s72, s72
	v_mov_b32_e32 v1, 0x7f800001
	s_xor_b32 exec_lo, exec_lo, s72
	s_cbranch_execnz .LBB4_8601
.LBB4_7818:                             ;   in Loop: Header=BB4_7456 Depth=3
	s_or_b32 exec_lo, exec_lo, s72
	s_and_saveexec_b32 s72, s16
	s_cbranch_execz .LBB4_7820
.LBB4_7819:                             ;   in Loop: Header=BB4_7456 Depth=3
	v_and_b32_sdwa v1, v102, v10 dst_sel:DWORD dst_unused:UNUSED_PAD src0_sel:DWORD src1_sel:BYTE_1
	v_and_b32_e32 v4, 3, v1
	v_bfe_u32 v9, v1, 2, 5
	v_ffbh_u32_e32 v5, v4
	v_cmp_eq_u32_e32 vcc_lo, 0, v9
	v_min_u32_e32 v5, 32, v5
	v_subrev_nc_u32_e32 v8, 29, v5
	v_sub_nc_u32_e32 v5, 30, v5
	v_lshlrev_b32_e32 v1, v8, v1
	v_lshlrev_b32_sdwa v8, v103, v10 dst_sel:DWORD dst_unused:UNUSED_PAD src0_sel:DWORD src1_sel:BYTE_1
	v_cndmask_b32_e32 v5, v9, v5, vcc_lo
	v_and_b32_e32 v1, 3, v1
	v_lshl_add_u32 v5, v5, 23, 0x37800000
	v_cndmask_b32_e32 v1, v4, v1, vcc_lo
	v_and_b32_e32 v4, 0x80000000, v8
	v_lshlrev_b32_e32 v1, 21, v1
	v_or3_b32 v1, v4, v5, v1
.LBB4_7820:                             ;   in Loop: Header=BB4_7456 Depth=3
	s_or_b32 exec_lo, exec_lo, s72
	v_mul_f32_e32 v1, s23, v1
	v_mov_b32_e32 v78, 0x8000
	s_mov_b32 s72, exec_lo
	v_and_b32_e32 v4, 0x7f800000, v1
	v_cmpx_ne_u32_e32 0x7f800000, v4
	s_cbranch_execz .LBB4_7828
; %bb.7821:                             ;   in Loop: Header=BB4_7456 Depth=3
	v_mov_b32_e32 v78, 0
	s_mov_b32 s73, exec_lo
	v_cmpx_ne_u32_e32 0, v1
	s_cbranch_execz .LBB4_7827
; %bb.7822:                             ;   in Loop: Header=BB4_7456 Depth=3
	v_bfe_u32 v4, v1, 23, 8
	v_and_b32_e32 v5, 0x7fffff, v1
	v_sub_nc_u32_e32 v8, 0x70, v4
	v_cmp_gt_u32_e32 vcc_lo, 0x71, v4
	v_or_b32_e32 v9, 0x800000, v5
	v_cndmask_b32_e32 v8, 0, v8, vcc_lo
	v_cmp_eq_u32_e32 vcc_lo, 0, v4
	v_add_nc_u32_e32 v4, 0xffffff91, v4
	v_cndmask_b32_e64 v8, v8, 0x6f, vcc_lo
	v_cndmask_b32_e32 v5, v9, v5, vcc_lo
	v_cndmask_b32_e64 v4, v4, 0xffffff92, vcc_lo
	v_lshl_add_u32 v9, 0x200000, v8, -1
	v_lshrrev_b32_e32 v12, v8, v5
	v_lshlrev_b32_e64 v14, v8, 0x100000
	v_add_nc_u32_e32 v8, v8, v4
	v_and_b32_e32 v5, v9, v5
	v_bfe_u32 v13, v12, 21, 1
	v_cmp_eq_u32_e64 s16, v5, v14
	v_add_nc_u32_e32 v9, -1, v13
	v_cndmask_b32_e64 v5, 0, v9, s16
	v_lshrrev_b32_e32 v9, 23, v12
	s_mov_b32 s16, exec_lo
	v_add_nc_u32_e32 v5, v5, v12
	v_xor_b32_e32 v9, 1, v9
	v_and_b32_e32 v4, 0x1fffff, v5
	v_add_nc_u32_e32 v5, v4, v12
                                        ; implicit-def: $vgpr4
	v_cmpx_ne_u32_e64 v8, v9
	s_xor_b32 s16, exec_lo, s16
; %bb.7823:                             ;   in Loop: Header=BB4_7456 Depth=3
	v_cmp_lt_u32_e32 vcc_lo, 0xffffff, v5
	v_sub_nc_u32_e32 v4, v8, v9
	v_cndmask_b32_e64 v8, 0, 1, vcc_lo
	v_add_co_ci_u32_e64 v4, null, 0, v4, vcc_lo
	v_lshrrev_b32_e32 v5, v8, v5
; %bb.7824:                             ;   in Loop: Header=BB4_7456 Depth=3
	s_andn2_saveexec_b32 s16, s16
; %bb.7825:                             ;   in Loop: Header=BB4_7456 Depth=3
	v_bfe_u32 v4, v5, 23, 1
; %bb.7826:                             ;   in Loop: Header=BB4_7456 Depth=3
	s_or_b32 exec_lo, exec_lo, s16
	v_lshrrev_b32_e32 v5, 21, v5
	v_min_i32_e32 v8, 31, v4
	v_cmp_gt_i32_e32 vcc_lo, 32, v4
	v_and_b32_sdwa v1, v1, v101 dst_sel:DWORD dst_unused:UNUSED_PAD src0_sel:BYTE_3 src1_sel:DWORD
	v_lshlrev_b32_e32 v8, 2, v8
	v_cndmask_b32_e32 v5, 3, v5, vcc_lo
	v_and_b32_e32 v8, 0xfc, v8
	v_and_b32_e32 v9, 3, v5
	v_or_b32_e32 v4, v4, v5
	v_or3_b32 v1, v1, v8, v9
	v_cmp_ne_u32_e32 vcc_lo, 0, v4
	v_lshlrev_b32_e32 v1, 8, v1
	v_cndmask_b32_e32 v78, 0, v1, vcc_lo
.LBB4_7827:                             ;   in Loop: Header=BB4_7456 Depth=3
	s_or_b32 exec_lo, exec_lo, s73
.LBB4_7828:                             ;   in Loop: Header=BB4_7456 Depth=3
	s_or_b32 exec_lo, exec_lo, s72
	v_and_b32_sdwa v4, v10, v112 dst_sel:DWORD dst_unused:UNUSED_PAD src0_sel:WORD_1 src1_sel:DWORD
	s_mov_b32 s16, 0
	s_mov_b32 s72, exec_lo
	v_cmpx_lt_i16_e32 0x7f, v4
	s_xor_b32 s72, exec_lo, s72
	s_cbranch_execz .LBB4_8602
; %bb.7829:                             ;   in Loop: Header=BB4_7456 Depth=3
	s_mov_b32 s16, -1
	s_mov_b32 s73, exec_lo
	v_cmpx_eq_u16_e32 0x80, v4
; %bb.7830:                             ;   in Loop: Header=BB4_7456 Depth=3
	s_xor_b32 s16, exec_lo, -1
; %bb.7831:                             ;   in Loop: Header=BB4_7456 Depth=3
	s_or_b32 exec_lo, exec_lo, s73
	s_and_b32 s16, s16, exec_lo
                                        ; implicit-def: $vgpr4
	s_or_saveexec_b32 s72, s72
	v_mov_b32_e32 v1, 0x7f800001
	s_xor_b32 exec_lo, exec_lo, s72
	s_cbranch_execnz .LBB4_8603
.LBB4_7832:                             ;   in Loop: Header=BB4_7456 Depth=3
	s_or_b32 exec_lo, exec_lo, s72
	s_and_saveexec_b32 s72, s16
	s_cbranch_execz .LBB4_7834
.LBB4_7833:                             ;   in Loop: Header=BB4_7456 Depth=3
	v_bfe_u32 v1, v10, 16, 2
	v_bfe_u32 v8, v10, 18, 5
	v_lshlrev_b32_e32 v9, 8, v10
	v_ffbh_u32_e32 v4, v1
	v_cmp_eq_u32_e32 vcc_lo, 0, v8
	v_min_u32_e32 v4, 32, v4
	v_subrev_nc_u32_e32 v5, 29, v4
	v_sub_nc_u32_e32 v4, 30, v4
	v_lshlrev_b32_sdwa v5, v5, v10 dst_sel:DWORD dst_unused:UNUSED_PAD src0_sel:DWORD src1_sel:WORD_1
	v_cndmask_b32_e32 v4, v8, v4, vcc_lo
	v_and_b32_e32 v5, 3, v5
	v_lshl_add_u32 v4, v4, 23, 0x37800000
	v_cndmask_b32_e32 v1, v1, v5, vcc_lo
	v_and_b32_e32 v5, 0x80000000, v9
	v_lshlrev_b32_e32 v1, 21, v1
	v_or3_b32 v1, v5, v4, v1
.LBB4_7834:                             ;   in Loop: Header=BB4_7456 Depth=3
	s_or_b32 exec_lo, exec_lo, s72
	v_mul_f32_e32 v1, s23, v1
	v_mov_b32_e32 v72, 0x80
	s_mov_b32 s72, exec_lo
	v_and_b32_e32 v4, 0x7f800000, v1
	v_cmpx_ne_u32_e32 0x7f800000, v4
	s_cbranch_execz .LBB4_7842
; %bb.7835:                             ;   in Loop: Header=BB4_7456 Depth=3
	v_mov_b32_e32 v72, 0
	s_mov_b32 s73, exec_lo
	v_cmpx_ne_u32_e32 0, v1
	s_cbranch_execz .LBB4_7841
; %bb.7836:                             ;   in Loop: Header=BB4_7456 Depth=3
	v_bfe_u32 v4, v1, 23, 8
	v_and_b32_e32 v5, 0x7fffff, v1
	v_sub_nc_u32_e32 v8, 0x70, v4
	v_cmp_gt_u32_e32 vcc_lo, 0x71, v4
	v_or_b32_e32 v9, 0x800000, v5
	v_cndmask_b32_e32 v8, 0, v8, vcc_lo
	v_cmp_eq_u32_e32 vcc_lo, 0, v4
	v_add_nc_u32_e32 v4, 0xffffff91, v4
	v_cndmask_b32_e64 v8, v8, 0x6f, vcc_lo
	v_cndmask_b32_e32 v5, v9, v5, vcc_lo
	v_cndmask_b32_e64 v4, v4, 0xffffff92, vcc_lo
	v_lshl_add_u32 v9, 0x200000, v8, -1
	v_lshrrev_b32_e32 v12, v8, v5
	v_lshlrev_b32_e64 v14, v8, 0x100000
	v_add_nc_u32_e32 v8, v8, v4
	v_and_b32_e32 v5, v9, v5
	v_bfe_u32 v13, v12, 21, 1
	v_cmp_eq_u32_e64 s16, v5, v14
	v_add_nc_u32_e32 v9, -1, v13
	v_cndmask_b32_e64 v5, 0, v9, s16
	v_lshrrev_b32_e32 v9, 23, v12
	s_mov_b32 s16, exec_lo
	v_add_nc_u32_e32 v5, v5, v12
	v_xor_b32_e32 v9, 1, v9
	v_and_b32_e32 v4, 0x1fffff, v5
	v_add_nc_u32_e32 v5, v4, v12
                                        ; implicit-def: $vgpr4
	v_cmpx_ne_u32_e64 v8, v9
	s_xor_b32 s16, exec_lo, s16
; %bb.7837:                             ;   in Loop: Header=BB4_7456 Depth=3
	v_cmp_lt_u32_e32 vcc_lo, 0xffffff, v5
	v_sub_nc_u32_e32 v4, v8, v9
	v_cndmask_b32_e64 v8, 0, 1, vcc_lo
	v_add_co_ci_u32_e64 v4, null, 0, v4, vcc_lo
	v_lshrrev_b32_e32 v5, v8, v5
; %bb.7838:                             ;   in Loop: Header=BB4_7456 Depth=3
	s_andn2_saveexec_b32 s16, s16
; %bb.7839:                             ;   in Loop: Header=BB4_7456 Depth=3
	v_bfe_u32 v4, v5, 23, 1
; %bb.7840:                             ;   in Loop: Header=BB4_7456 Depth=3
	s_or_b32 exec_lo, exec_lo, s16
	v_lshrrev_b32_e32 v5, 21, v5
	v_min_i32_e32 v8, 31, v4
	v_cmp_gt_i32_e32 vcc_lo, 32, v4
	v_and_b32_sdwa v1, v1, v101 dst_sel:DWORD dst_unused:UNUSED_PAD src0_sel:BYTE_3 src1_sel:DWORD
	v_lshlrev_b32_e32 v8, 2, v8
	v_cndmask_b32_e32 v5, 3, v5, vcc_lo
	v_and_b32_e32 v8, 0xfc, v8
	v_and_b32_e32 v9, 3, v5
	v_or_b32_e32 v4, v4, v5
	v_or3_b32 v1, v8, v1, v9
	v_cmp_ne_u32_e32 vcc_lo, 0, v4
	v_cndmask_b32_e32 v72, 0, v1, vcc_lo
.LBB4_7841:                             ;   in Loop: Header=BB4_7456 Depth=3
	s_or_b32 exec_lo, exec_lo, s73
.LBB4_7842:                             ;   in Loop: Header=BB4_7456 Depth=3
	s_or_b32 exec_lo, exec_lo, s72
	v_cmp_gt_i16_sdwa s72, v10, v100 src0_sel:BYTE_3 src1_sel:DWORD
	s_mov_b32 s16, 0
	s_and_saveexec_b32 s73, s72
	s_xor_b32 s72, exec_lo, s73
	s_cbranch_execz .LBB4_8604
; %bb.7843:                             ;   in Loop: Header=BB4_7456 Depth=3
	v_cmp_eq_u16_sdwa s74, v10, v101 src0_sel:BYTE_3 src1_sel:DWORD
	s_mov_b32 s16, -1
	s_and_saveexec_b32 s73, s74
; %bb.7844:                             ;   in Loop: Header=BB4_7456 Depth=3
	s_xor_b32 s16, exec_lo, -1
; %bb.7845:                             ;   in Loop: Header=BB4_7456 Depth=3
	s_or_b32 exec_lo, exec_lo, s73
	s_and_b32 s16, s16, exec_lo
	s_or_saveexec_b32 s72, s72
	v_mov_b32_e32 v1, 0x7f800001
	s_xor_b32 exec_lo, exec_lo, s72
	s_cbranch_execnz .LBB4_8605
.LBB4_7846:                             ;   in Loop: Header=BB4_7456 Depth=3
	s_or_b32 exec_lo, exec_lo, s72
	s_and_saveexec_b32 s72, s16
	s_cbranch_execz .LBB4_7848
.LBB4_7847:                             ;   in Loop: Header=BB4_7456 Depth=3
	v_bfe_u32 v1, v10, 24, 2
	v_bfe_u32 v8, v10, 26, 5
	v_ffbh_u32_e32 v4, v1
	v_cmp_eq_u32_e32 vcc_lo, 0, v8
	v_min_u32_e32 v4, 32, v4
	v_subrev_nc_u32_e32 v5, 29, v4
	v_sub_nc_u32_e32 v4, 30, v4
	v_lshlrev_b32_sdwa v5, v5, v10 dst_sel:DWORD dst_unused:UNUSED_PAD src0_sel:DWORD src1_sel:BYTE_3
	v_cndmask_b32_e32 v4, v8, v4, vcc_lo
	v_and_b32_e32 v5, 3, v5
	v_lshl_add_u32 v4, v4, 23, 0x37800000
	v_cndmask_b32_e32 v1, v1, v5, vcc_lo
	v_and_b32_e32 v5, 0x80000000, v10
	v_lshlrev_b32_e32 v1, 21, v1
	v_or3_b32 v1, v5, v4, v1
.LBB4_7848:                             ;   in Loop: Header=BB4_7456 Depth=3
	s_or_b32 exec_lo, exec_lo, s72
	v_mul_f32_e32 v1, s23, v1
	v_mov_b32_e32 v76, 0x8000
	s_mov_b32 s72, exec_lo
	v_and_b32_e32 v4, 0x7f800000, v1
	v_cmpx_ne_u32_e32 0x7f800000, v4
	s_cbranch_execz .LBB4_7856
; %bb.7849:                             ;   in Loop: Header=BB4_7456 Depth=3
	v_mov_b32_e32 v76, 0
	s_mov_b32 s73, exec_lo
	v_cmpx_ne_u32_e32 0, v1
	s_cbranch_execz .LBB4_7855
; %bb.7850:                             ;   in Loop: Header=BB4_7456 Depth=3
	v_bfe_u32 v4, v1, 23, 8
	v_and_b32_e32 v5, 0x7fffff, v1
	v_sub_nc_u32_e32 v8, 0x70, v4
	v_cmp_gt_u32_e32 vcc_lo, 0x71, v4
	v_or_b32_e32 v9, 0x800000, v5
	v_cndmask_b32_e32 v8, 0, v8, vcc_lo
	v_cmp_eq_u32_e32 vcc_lo, 0, v4
	v_add_nc_u32_e32 v4, 0xffffff91, v4
	v_cndmask_b32_e64 v8, v8, 0x6f, vcc_lo
	v_cndmask_b32_e32 v5, v9, v5, vcc_lo
	v_cndmask_b32_e64 v4, v4, 0xffffff92, vcc_lo
	v_lshl_add_u32 v9, 0x200000, v8, -1
	v_lshrrev_b32_e32 v10, v8, v5
	v_lshlrev_b32_e64 v13, v8, 0x100000
	v_add_nc_u32_e32 v8, v8, v4
	v_and_b32_e32 v5, v9, v5
	v_bfe_u32 v12, v10, 21, 1
	v_cmp_eq_u32_e64 s16, v5, v13
	v_add_nc_u32_e32 v9, -1, v12
	v_cndmask_b32_e64 v5, 0, v9, s16
	v_lshrrev_b32_e32 v9, 23, v10
	s_mov_b32 s16, exec_lo
	v_add_nc_u32_e32 v5, v5, v10
	v_xor_b32_e32 v9, 1, v9
	v_and_b32_e32 v4, 0x1fffff, v5
	v_add_nc_u32_e32 v5, v4, v10
                                        ; implicit-def: $vgpr4
	v_cmpx_ne_u32_e64 v8, v9
	s_xor_b32 s16, exec_lo, s16
; %bb.7851:                             ;   in Loop: Header=BB4_7456 Depth=3
	v_cmp_lt_u32_e32 vcc_lo, 0xffffff, v5
	v_sub_nc_u32_e32 v4, v8, v9
	v_cndmask_b32_e64 v8, 0, 1, vcc_lo
	v_add_co_ci_u32_e64 v4, null, 0, v4, vcc_lo
	v_lshrrev_b32_e32 v5, v8, v5
; %bb.7852:                             ;   in Loop: Header=BB4_7456 Depth=3
	s_andn2_saveexec_b32 s16, s16
; %bb.7853:                             ;   in Loop: Header=BB4_7456 Depth=3
	v_bfe_u32 v4, v5, 23, 1
; %bb.7854:                             ;   in Loop: Header=BB4_7456 Depth=3
	s_or_b32 exec_lo, exec_lo, s16
	v_lshrrev_b32_e32 v5, 21, v5
	v_min_i32_e32 v8, 31, v4
	v_cmp_gt_i32_e32 vcc_lo, 32, v4
	v_and_b32_sdwa v1, v1, v101 dst_sel:DWORD dst_unused:UNUSED_PAD src0_sel:BYTE_3 src1_sel:DWORD
	v_lshlrev_b32_e32 v8, 2, v8
	v_cndmask_b32_e32 v5, 3, v5, vcc_lo
	v_and_b32_e32 v8, 0xfc, v8
	v_and_b32_e32 v9, 3, v5
	v_or_b32_e32 v4, v4, v5
	v_or3_b32 v1, v1, v8, v9
	v_cmp_ne_u32_e32 vcc_lo, 0, v4
	v_lshlrev_b32_e32 v1, 8, v1
	v_cndmask_b32_e32 v76, 0, v1, vcc_lo
.LBB4_7855:                             ;   in Loop: Header=BB4_7456 Depth=3
	s_or_b32 exec_lo, exec_lo, s73
.LBB4_7856:                             ;   in Loop: Header=BB4_7456 Depth=3
	s_or_b32 exec_lo, exec_lo, s72
	v_cmp_gt_i16_sdwa s72, v11, v100 src0_sel:BYTE_0 src1_sel:DWORD
	s_mov_b32 s16, 0
	s_and_saveexec_b32 s73, s72
	s_xor_b32 s72, exec_lo, s73
	s_cbranch_execz .LBB4_8606
; %bb.7857:                             ;   in Loop: Header=BB4_7456 Depth=3
	v_cmp_eq_u16_sdwa s74, v11, v101 src0_sel:BYTE_0 src1_sel:DWORD
	s_mov_b32 s16, -1
	s_and_saveexec_b32 s73, s74
; %bb.7858:                             ;   in Loop: Header=BB4_7456 Depth=3
	s_xor_b32 s16, exec_lo, -1
; %bb.7859:                             ;   in Loop: Header=BB4_7456 Depth=3
	s_or_b32 exec_lo, exec_lo, s73
	s_and_b32 s16, s16, exec_lo
	s_or_saveexec_b32 s72, s72
	v_mov_b32_e32 v1, 0x7f800001
	s_xor_b32 exec_lo, exec_lo, s72
	s_cbranch_execnz .LBB4_8607
.LBB4_7860:                             ;   in Loop: Header=BB4_7456 Depth=3
	s_or_b32 exec_lo, exec_lo, s72
	s_and_saveexec_b32 s72, s16
	s_cbranch_execz .LBB4_7862
.LBB4_7861:                             ;   in Loop: Header=BB4_7456 Depth=3
	v_and_b32_e32 v1, 3, v11
	v_bfe_u32 v8, v11, 2, 5
	v_lshlrev_b32_e32 v9, 24, v11
	v_ffbh_u32_e32 v4, v1
	v_cmp_eq_u32_e32 vcc_lo, 0, v8
	v_min_u32_e32 v4, 32, v4
	v_subrev_nc_u32_e32 v5, 29, v4
	v_sub_nc_u32_e32 v4, 30, v4
	v_lshlrev_b32_e32 v5, v5, v11
	v_cndmask_b32_e32 v4, v8, v4, vcc_lo
	v_and_b32_e32 v5, 3, v5
	v_lshl_add_u32 v4, v4, 23, 0x37800000
	v_cndmask_b32_e32 v1, v1, v5, vcc_lo
	v_and_b32_e32 v5, 0x80000000, v9
	v_lshlrev_b32_e32 v1, 21, v1
	v_or3_b32 v1, v5, v4, v1
.LBB4_7862:                             ;   in Loop: Header=BB4_7456 Depth=3
	s_or_b32 exec_lo, exec_lo, s72
	v_mul_f32_e32 v1, s23, v1
	v_mov_b32_e32 v62, 0x80
	s_mov_b32 s72, exec_lo
	v_and_b32_e32 v4, 0x7f800000, v1
	v_cmpx_ne_u32_e32 0x7f800000, v4
	s_cbranch_execz .LBB4_7870
; %bb.7863:                             ;   in Loop: Header=BB4_7456 Depth=3
	v_mov_b32_e32 v62, 0
	s_mov_b32 s73, exec_lo
	v_cmpx_ne_u32_e32 0, v1
	s_cbranch_execz .LBB4_7869
; %bb.7864:                             ;   in Loop: Header=BB4_7456 Depth=3
	v_bfe_u32 v4, v1, 23, 8
	v_and_b32_e32 v5, 0x7fffff, v1
	v_sub_nc_u32_e32 v8, 0x70, v4
	v_cmp_gt_u32_e32 vcc_lo, 0x71, v4
	v_or_b32_e32 v9, 0x800000, v5
	v_cndmask_b32_e32 v8, 0, v8, vcc_lo
	v_cmp_eq_u32_e32 vcc_lo, 0, v4
	v_add_nc_u32_e32 v4, 0xffffff91, v4
	v_cndmask_b32_e64 v8, v8, 0x6f, vcc_lo
	v_cndmask_b32_e32 v5, v9, v5, vcc_lo
	v_cndmask_b32_e64 v4, v4, 0xffffff92, vcc_lo
	v_lshl_add_u32 v9, 0x200000, v8, -1
	v_lshrrev_b32_e32 v10, v8, v5
	v_lshlrev_b32_e64 v13, v8, 0x100000
	v_add_nc_u32_e32 v8, v8, v4
	v_and_b32_e32 v5, v9, v5
	v_bfe_u32 v12, v10, 21, 1
	v_cmp_eq_u32_e64 s16, v5, v13
	v_add_nc_u32_e32 v9, -1, v12
	v_cndmask_b32_e64 v5, 0, v9, s16
	v_lshrrev_b32_e32 v9, 23, v10
	s_mov_b32 s16, exec_lo
	v_add_nc_u32_e32 v5, v5, v10
	v_xor_b32_e32 v9, 1, v9
	v_and_b32_e32 v4, 0x1fffff, v5
	v_add_nc_u32_e32 v5, v4, v10
                                        ; implicit-def: $vgpr4
	v_cmpx_ne_u32_e64 v8, v9
	s_xor_b32 s16, exec_lo, s16
; %bb.7865:                             ;   in Loop: Header=BB4_7456 Depth=3
	v_cmp_lt_u32_e32 vcc_lo, 0xffffff, v5
	v_sub_nc_u32_e32 v4, v8, v9
	v_cndmask_b32_e64 v8, 0, 1, vcc_lo
	v_add_co_ci_u32_e64 v4, null, 0, v4, vcc_lo
	v_lshrrev_b32_e32 v5, v8, v5
; %bb.7866:                             ;   in Loop: Header=BB4_7456 Depth=3
	s_andn2_saveexec_b32 s16, s16
; %bb.7867:                             ;   in Loop: Header=BB4_7456 Depth=3
	v_bfe_u32 v4, v5, 23, 1
; %bb.7868:                             ;   in Loop: Header=BB4_7456 Depth=3
	s_or_b32 exec_lo, exec_lo, s16
	v_lshrrev_b32_e32 v5, 21, v5
	v_min_i32_e32 v8, 31, v4
	v_cmp_gt_i32_e32 vcc_lo, 32, v4
	v_and_b32_sdwa v1, v1, v101 dst_sel:DWORD dst_unused:UNUSED_PAD src0_sel:BYTE_3 src1_sel:DWORD
	v_lshlrev_b32_e32 v8, 2, v8
	v_cndmask_b32_e32 v5, 3, v5, vcc_lo
	v_and_b32_e32 v8, 0xfc, v8
	v_and_b32_e32 v9, 3, v5
	v_or_b32_e32 v4, v4, v5
	v_or3_b32 v1, v8, v1, v9
	v_cmp_ne_u32_e32 vcc_lo, 0, v4
	v_cndmask_b32_e32 v62, 0, v1, vcc_lo
.LBB4_7869:                             ;   in Loop: Header=BB4_7456 Depth=3
	s_or_b32 exec_lo, exec_lo, s73
.LBB4_7870:                             ;   in Loop: Header=BB4_7456 Depth=3
	s_or_b32 exec_lo, exec_lo, s72
	v_cmp_gt_i16_sdwa s72, v11, v100 src0_sel:BYTE_1 src1_sel:DWORD
	s_mov_b32 s16, 0
	s_and_saveexec_b32 s73, s72
	s_xor_b32 s72, exec_lo, s73
	s_cbranch_execz .LBB4_8608
; %bb.7871:                             ;   in Loop: Header=BB4_7456 Depth=3
	v_cmp_eq_u16_sdwa s74, v11, v101 src0_sel:BYTE_1 src1_sel:DWORD
	s_mov_b32 s16, -1
	s_and_saveexec_b32 s73, s74
; %bb.7872:                             ;   in Loop: Header=BB4_7456 Depth=3
	s_xor_b32 s16, exec_lo, -1
; %bb.7873:                             ;   in Loop: Header=BB4_7456 Depth=3
	s_or_b32 exec_lo, exec_lo, s73
	s_and_b32 s16, s16, exec_lo
	s_or_saveexec_b32 s72, s72
	v_mov_b32_e32 v1, 0x7f800001
	s_xor_b32 exec_lo, exec_lo, s72
	s_cbranch_execnz .LBB4_8609
.LBB4_7874:                             ;   in Loop: Header=BB4_7456 Depth=3
	s_or_b32 exec_lo, exec_lo, s72
	s_and_saveexec_b32 s72, s16
	s_cbranch_execz .LBB4_7876
.LBB4_7875:                             ;   in Loop: Header=BB4_7456 Depth=3
	v_and_b32_sdwa v1, v102, v11 dst_sel:DWORD dst_unused:UNUSED_PAD src0_sel:DWORD src1_sel:BYTE_1
	v_and_b32_e32 v4, 3, v1
	v_bfe_u32 v9, v1, 2, 5
	v_ffbh_u32_e32 v5, v4
	v_cmp_eq_u32_e32 vcc_lo, 0, v9
	v_min_u32_e32 v5, 32, v5
	v_subrev_nc_u32_e32 v8, 29, v5
	v_sub_nc_u32_e32 v5, 30, v5
	v_lshlrev_b32_e32 v1, v8, v1
	v_lshlrev_b32_sdwa v8, v103, v11 dst_sel:DWORD dst_unused:UNUSED_PAD src0_sel:DWORD src1_sel:BYTE_1
	v_cndmask_b32_e32 v5, v9, v5, vcc_lo
	v_and_b32_e32 v1, 3, v1
	v_lshl_add_u32 v5, v5, 23, 0x37800000
	v_cndmask_b32_e32 v1, v4, v1, vcc_lo
	v_and_b32_e32 v4, 0x80000000, v8
	v_lshlrev_b32_e32 v1, 21, v1
	v_or3_b32 v1, v4, v5, v1
.LBB4_7876:                             ;   in Loop: Header=BB4_7456 Depth=3
	s_or_b32 exec_lo, exec_lo, s72
	v_mul_f32_e32 v1, s23, v1
	v_mov_b32_e32 v73, 0x8000
	s_mov_b32 s72, exec_lo
	v_and_b32_e32 v4, 0x7f800000, v1
	v_cmpx_ne_u32_e32 0x7f800000, v4
	s_cbranch_execz .LBB4_7884
; %bb.7877:                             ;   in Loop: Header=BB4_7456 Depth=3
	v_mov_b32_e32 v73, 0
	s_mov_b32 s73, exec_lo
	v_cmpx_ne_u32_e32 0, v1
	s_cbranch_execz .LBB4_7883
; %bb.7878:                             ;   in Loop: Header=BB4_7456 Depth=3
	v_bfe_u32 v4, v1, 23, 8
	v_and_b32_e32 v5, 0x7fffff, v1
	v_sub_nc_u32_e32 v8, 0x70, v4
	v_cmp_gt_u32_e32 vcc_lo, 0x71, v4
	v_or_b32_e32 v9, 0x800000, v5
	v_cndmask_b32_e32 v8, 0, v8, vcc_lo
	v_cmp_eq_u32_e32 vcc_lo, 0, v4
	v_add_nc_u32_e32 v4, 0xffffff91, v4
	v_cndmask_b32_e64 v8, v8, 0x6f, vcc_lo
	v_cndmask_b32_e32 v5, v9, v5, vcc_lo
	v_cndmask_b32_e64 v4, v4, 0xffffff92, vcc_lo
	v_lshl_add_u32 v9, 0x200000, v8, -1
	v_lshrrev_b32_e32 v10, v8, v5
	v_lshlrev_b32_e64 v13, v8, 0x100000
	v_add_nc_u32_e32 v8, v8, v4
	v_and_b32_e32 v5, v9, v5
	v_bfe_u32 v12, v10, 21, 1
	v_cmp_eq_u32_e64 s16, v5, v13
	v_add_nc_u32_e32 v9, -1, v12
	v_cndmask_b32_e64 v5, 0, v9, s16
	v_lshrrev_b32_e32 v9, 23, v10
	s_mov_b32 s16, exec_lo
	v_add_nc_u32_e32 v5, v5, v10
	v_xor_b32_e32 v9, 1, v9
	v_and_b32_e32 v4, 0x1fffff, v5
	v_add_nc_u32_e32 v5, v4, v10
                                        ; implicit-def: $vgpr4
	v_cmpx_ne_u32_e64 v8, v9
	s_xor_b32 s16, exec_lo, s16
; %bb.7879:                             ;   in Loop: Header=BB4_7456 Depth=3
	v_cmp_lt_u32_e32 vcc_lo, 0xffffff, v5
	v_sub_nc_u32_e32 v4, v8, v9
	v_cndmask_b32_e64 v8, 0, 1, vcc_lo
	v_add_co_ci_u32_e64 v4, null, 0, v4, vcc_lo
	v_lshrrev_b32_e32 v5, v8, v5
; %bb.7880:                             ;   in Loop: Header=BB4_7456 Depth=3
	s_andn2_saveexec_b32 s16, s16
; %bb.7881:                             ;   in Loop: Header=BB4_7456 Depth=3
	v_bfe_u32 v4, v5, 23, 1
; %bb.7882:                             ;   in Loop: Header=BB4_7456 Depth=3
	s_or_b32 exec_lo, exec_lo, s16
	v_lshrrev_b32_e32 v5, 21, v5
	v_min_i32_e32 v8, 31, v4
	v_cmp_gt_i32_e32 vcc_lo, 32, v4
	v_and_b32_sdwa v1, v1, v101 dst_sel:DWORD dst_unused:UNUSED_PAD src0_sel:BYTE_3 src1_sel:DWORD
	v_lshlrev_b32_e32 v8, 2, v8
	v_cndmask_b32_e32 v5, 3, v5, vcc_lo
	v_and_b32_e32 v8, 0xfc, v8
	v_and_b32_e32 v9, 3, v5
	v_or_b32_e32 v4, v4, v5
	v_or3_b32 v1, v1, v8, v9
	v_cmp_ne_u32_e32 vcc_lo, 0, v4
	v_lshlrev_b32_e32 v1, 8, v1
	v_cndmask_b32_e32 v73, 0, v1, vcc_lo
.LBB4_7883:                             ;   in Loop: Header=BB4_7456 Depth=3
	s_or_b32 exec_lo, exec_lo, s73
.LBB4_7884:                             ;   in Loop: Header=BB4_7456 Depth=3
	s_or_b32 exec_lo, exec_lo, s72
	v_and_b32_sdwa v4, v11, v112 dst_sel:DWORD dst_unused:UNUSED_PAD src0_sel:WORD_1 src1_sel:DWORD
	s_mov_b32 s16, 0
	s_mov_b32 s72, exec_lo
	v_cmpx_lt_i16_e32 0x7f, v4
	s_xor_b32 s72, exec_lo, s72
	s_cbranch_execz .LBB4_8610
; %bb.7885:                             ;   in Loop: Header=BB4_7456 Depth=3
	s_mov_b32 s16, -1
	s_mov_b32 s73, exec_lo
	v_cmpx_eq_u16_e32 0x80, v4
; %bb.7886:                             ;   in Loop: Header=BB4_7456 Depth=3
	s_xor_b32 s16, exec_lo, -1
; %bb.7887:                             ;   in Loop: Header=BB4_7456 Depth=3
	s_or_b32 exec_lo, exec_lo, s73
	s_and_b32 s16, s16, exec_lo
                                        ; implicit-def: $vgpr4
	s_or_saveexec_b32 s72, s72
	v_mov_b32_e32 v1, 0x7f800001
	s_xor_b32 exec_lo, exec_lo, s72
	s_cbranch_execnz .LBB4_8611
.LBB4_7888:                             ;   in Loop: Header=BB4_7456 Depth=3
	s_or_b32 exec_lo, exec_lo, s72
	s_and_saveexec_b32 s72, s16
	s_cbranch_execz .LBB4_7890
.LBB4_7889:                             ;   in Loop: Header=BB4_7456 Depth=3
	v_bfe_u32 v1, v11, 16, 2
	v_bfe_u32 v8, v11, 18, 5
	v_lshlrev_b32_e32 v9, 8, v11
	v_ffbh_u32_e32 v4, v1
	v_cmp_eq_u32_e32 vcc_lo, 0, v8
	v_min_u32_e32 v4, 32, v4
	v_subrev_nc_u32_e32 v5, 29, v4
	v_sub_nc_u32_e32 v4, 30, v4
	v_lshlrev_b32_sdwa v5, v5, v11 dst_sel:DWORD dst_unused:UNUSED_PAD src0_sel:DWORD src1_sel:WORD_1
	v_cndmask_b32_e32 v4, v8, v4, vcc_lo
	v_and_b32_e32 v5, 3, v5
	v_lshl_add_u32 v4, v4, 23, 0x37800000
	v_cndmask_b32_e32 v1, v1, v5, vcc_lo
	v_and_b32_e32 v5, 0x80000000, v9
	v_lshlrev_b32_e32 v1, 21, v1
	v_or3_b32 v1, v5, v4, v1
.LBB4_7890:                             ;   in Loop: Header=BB4_7456 Depth=3
	s_or_b32 exec_lo, exec_lo, s72
	v_mul_f32_e32 v1, s23, v1
	v_mov_b32_e32 v82, 0x80
	s_mov_b32 s72, exec_lo
	v_and_b32_e32 v4, 0x7f800000, v1
	v_cmpx_ne_u32_e32 0x7f800000, v4
	s_cbranch_execz .LBB4_7898
; %bb.7891:                             ;   in Loop: Header=BB4_7456 Depth=3
	v_mov_b32_e32 v82, 0
	s_mov_b32 s73, exec_lo
	v_cmpx_ne_u32_e32 0, v1
	s_cbranch_execz .LBB4_7897
; %bb.7892:                             ;   in Loop: Header=BB4_7456 Depth=3
	v_bfe_u32 v4, v1, 23, 8
	v_and_b32_e32 v5, 0x7fffff, v1
	v_sub_nc_u32_e32 v8, 0x70, v4
	v_cmp_gt_u32_e32 vcc_lo, 0x71, v4
	v_or_b32_e32 v9, 0x800000, v5
	v_cndmask_b32_e32 v8, 0, v8, vcc_lo
	v_cmp_eq_u32_e32 vcc_lo, 0, v4
	v_add_nc_u32_e32 v4, 0xffffff91, v4
	v_cndmask_b32_e64 v8, v8, 0x6f, vcc_lo
	v_cndmask_b32_e32 v5, v9, v5, vcc_lo
	v_cndmask_b32_e64 v4, v4, 0xffffff92, vcc_lo
	v_lshl_add_u32 v9, 0x200000, v8, -1
	v_lshrrev_b32_e32 v10, v8, v5
	v_lshlrev_b32_e64 v13, v8, 0x100000
	v_add_nc_u32_e32 v8, v8, v4
	v_and_b32_e32 v5, v9, v5
	v_bfe_u32 v12, v10, 21, 1
	v_cmp_eq_u32_e64 s16, v5, v13
	v_add_nc_u32_e32 v9, -1, v12
	v_cndmask_b32_e64 v5, 0, v9, s16
	v_lshrrev_b32_e32 v9, 23, v10
	s_mov_b32 s16, exec_lo
	v_add_nc_u32_e32 v5, v5, v10
	v_xor_b32_e32 v9, 1, v9
	v_and_b32_e32 v4, 0x1fffff, v5
	v_add_nc_u32_e32 v5, v4, v10
                                        ; implicit-def: $vgpr4
	v_cmpx_ne_u32_e64 v8, v9
	s_xor_b32 s16, exec_lo, s16
; %bb.7893:                             ;   in Loop: Header=BB4_7456 Depth=3
	v_cmp_lt_u32_e32 vcc_lo, 0xffffff, v5
	v_sub_nc_u32_e32 v4, v8, v9
	v_cndmask_b32_e64 v8, 0, 1, vcc_lo
	v_add_co_ci_u32_e64 v4, null, 0, v4, vcc_lo
	v_lshrrev_b32_e32 v5, v8, v5
; %bb.7894:                             ;   in Loop: Header=BB4_7456 Depth=3
	s_andn2_saveexec_b32 s16, s16
; %bb.7895:                             ;   in Loop: Header=BB4_7456 Depth=3
	v_bfe_u32 v4, v5, 23, 1
; %bb.7896:                             ;   in Loop: Header=BB4_7456 Depth=3
	s_or_b32 exec_lo, exec_lo, s16
	v_lshrrev_b32_e32 v5, 21, v5
	v_min_i32_e32 v8, 31, v4
	v_cmp_gt_i32_e32 vcc_lo, 32, v4
	v_and_b32_sdwa v1, v1, v101 dst_sel:DWORD dst_unused:UNUSED_PAD src0_sel:BYTE_3 src1_sel:DWORD
	v_lshlrev_b32_e32 v8, 2, v8
	v_cndmask_b32_e32 v5, 3, v5, vcc_lo
	v_and_b32_e32 v8, 0xfc, v8
	v_and_b32_e32 v9, 3, v5
	v_or_b32_e32 v4, v4, v5
	v_or3_b32 v1, v8, v1, v9
	v_cmp_ne_u32_e32 vcc_lo, 0, v4
	v_cndmask_b32_e32 v82, 0, v1, vcc_lo
.LBB4_7897:                             ;   in Loop: Header=BB4_7456 Depth=3
	s_or_b32 exec_lo, exec_lo, s73
.LBB4_7898:                             ;   in Loop: Header=BB4_7456 Depth=3
	s_or_b32 exec_lo, exec_lo, s72
	v_cmp_gt_i16_sdwa s72, v11, v100 src0_sel:BYTE_3 src1_sel:DWORD
	s_mov_b32 s16, 0
	s_and_saveexec_b32 s73, s72
	s_xor_b32 s72, exec_lo, s73
	s_cbranch_execz .LBB4_8612
; %bb.7899:                             ;   in Loop: Header=BB4_7456 Depth=3
	v_cmp_eq_u16_sdwa s74, v11, v101 src0_sel:BYTE_3 src1_sel:DWORD
	s_mov_b32 s16, -1
	s_and_saveexec_b32 s73, s74
; %bb.7900:                             ;   in Loop: Header=BB4_7456 Depth=3
	s_xor_b32 s16, exec_lo, -1
; %bb.7901:                             ;   in Loop: Header=BB4_7456 Depth=3
	s_or_b32 exec_lo, exec_lo, s73
	s_and_b32 s16, s16, exec_lo
	s_or_saveexec_b32 s72, s72
	v_mov_b32_e32 v1, 0x7f800001
	s_xor_b32 exec_lo, exec_lo, s72
	s_cbranch_execnz .LBB4_8613
.LBB4_7902:                             ;   in Loop: Header=BB4_7456 Depth=3
	s_or_b32 exec_lo, exec_lo, s72
	s_and_saveexec_b32 s72, s16
	s_cbranch_execz .LBB4_7904
.LBB4_7903:                             ;   in Loop: Header=BB4_7456 Depth=3
	v_bfe_u32 v1, v11, 24, 2
	v_bfe_u32 v8, v11, 26, 5
	v_ffbh_u32_e32 v4, v1
	v_cmp_eq_u32_e32 vcc_lo, 0, v8
	v_min_u32_e32 v4, 32, v4
	v_subrev_nc_u32_e32 v5, 29, v4
	v_sub_nc_u32_e32 v4, 30, v4
	v_lshlrev_b32_sdwa v5, v5, v11 dst_sel:DWORD dst_unused:UNUSED_PAD src0_sel:DWORD src1_sel:BYTE_3
	v_cndmask_b32_e32 v4, v8, v4, vcc_lo
	v_and_b32_e32 v5, 3, v5
	v_lshl_add_u32 v4, v4, 23, 0x37800000
	v_cndmask_b32_e32 v1, v1, v5, vcc_lo
	v_and_b32_e32 v5, 0x80000000, v11
	v_lshlrev_b32_e32 v1, 21, v1
	v_or3_b32 v1, v5, v4, v1
.LBB4_7904:                             ;   in Loop: Header=BB4_7456 Depth=3
	s_or_b32 exec_lo, exec_lo, s72
	v_mul_f32_e32 v1, s23, v1
	v_mov_b32_e32 v63, 0x8000
	s_mov_b32 s23, exec_lo
	v_and_b32_e32 v4, 0x7f800000, v1
	v_cmpx_ne_u32_e32 0x7f800000, v4
	s_cbranch_execz .LBB4_7912
; %bb.7905:                             ;   in Loop: Header=BB4_7456 Depth=3
	v_mov_b32_e32 v63, 0
	s_mov_b32 s72, exec_lo
	v_cmpx_ne_u32_e32 0, v1
	s_cbranch_execz .LBB4_7911
; %bb.7906:                             ;   in Loop: Header=BB4_7456 Depth=3
	v_bfe_u32 v4, v1, 23, 8
	v_and_b32_e32 v5, 0x7fffff, v1
	v_sub_nc_u32_e32 v8, 0x70, v4
	v_cmp_gt_u32_e32 vcc_lo, 0x71, v4
	v_or_b32_e32 v9, 0x800000, v5
	v_cndmask_b32_e32 v8, 0, v8, vcc_lo
	v_cmp_eq_u32_e32 vcc_lo, 0, v4
	v_add_nc_u32_e32 v4, 0xffffff91, v4
	v_cndmask_b32_e64 v8, v8, 0x6f, vcc_lo
	v_cndmask_b32_e32 v5, v9, v5, vcc_lo
	v_cndmask_b32_e64 v4, v4, 0xffffff92, vcc_lo
	v_lshl_add_u32 v9, 0x200000, v8, -1
	v_lshrrev_b32_e32 v10, v8, v5
	v_lshlrev_b32_e64 v12, v8, 0x100000
	v_add_nc_u32_e32 v8, v8, v4
	v_and_b32_e32 v5, v9, v5
	v_bfe_u32 v11, v10, 21, 1
	v_cmp_eq_u32_e64 s16, v5, v12
	v_add_nc_u32_e32 v9, -1, v11
	v_cndmask_b32_e64 v5, 0, v9, s16
	v_lshrrev_b32_e32 v9, 23, v10
	s_mov_b32 s16, exec_lo
	v_add_nc_u32_e32 v5, v5, v10
	v_xor_b32_e32 v9, 1, v9
	v_and_b32_e32 v4, 0x1fffff, v5
	v_add_nc_u32_e32 v5, v4, v10
                                        ; implicit-def: $vgpr4
	v_cmpx_ne_u32_e64 v8, v9
	s_xor_b32 s16, exec_lo, s16
; %bb.7907:                             ;   in Loop: Header=BB4_7456 Depth=3
	v_cmp_lt_u32_e32 vcc_lo, 0xffffff, v5
	v_sub_nc_u32_e32 v4, v8, v9
	v_cndmask_b32_e64 v8, 0, 1, vcc_lo
	v_add_co_ci_u32_e64 v4, null, 0, v4, vcc_lo
	v_lshrrev_b32_e32 v5, v8, v5
; %bb.7908:                             ;   in Loop: Header=BB4_7456 Depth=3
	s_andn2_saveexec_b32 s16, s16
; %bb.7909:                             ;   in Loop: Header=BB4_7456 Depth=3
	v_bfe_u32 v4, v5, 23, 1
; %bb.7910:                             ;   in Loop: Header=BB4_7456 Depth=3
	s_or_b32 exec_lo, exec_lo, s16
	v_lshrrev_b32_e32 v5, 21, v5
	v_min_i32_e32 v8, 31, v4
	v_cmp_gt_i32_e32 vcc_lo, 32, v4
	v_and_b32_sdwa v1, v1, v101 dst_sel:DWORD dst_unused:UNUSED_PAD src0_sel:BYTE_3 src1_sel:DWORD
	v_lshlrev_b32_e32 v8, 2, v8
	v_cndmask_b32_e32 v5, 3, v5, vcc_lo
	v_and_b32_e32 v8, 0xfc, v8
	v_and_b32_e32 v9, 3, v5
	v_or_b32_e32 v4, v4, v5
	v_or3_b32 v1, v1, v8, v9
	v_cmp_ne_u32_e32 vcc_lo, 0, v4
	v_lshlrev_b32_e32 v1, 8, v1
	v_cndmask_b32_e32 v63, 0, v1, vcc_lo
.LBB4_7911:                             ;   in Loop: Header=BB4_7456 Depth=3
	s_or_b32 exec_lo, exec_lo, s72
.LBB4_7912:                             ;   in Loop: Header=BB4_7456 Depth=3
	s_or_b32 exec_lo, exec_lo, s23
	s_clause 0x1
	global_load_dwordx4 v[12:15], v[70:71], off slc
	global_load_dwordx4 v[8:11], v[70:71], off offset:512 slc
	v_or_b32_e32 v1, v20, v83
	s_mov_b32 s23, 0
	v_cmp_gt_i16_sdwa s16, v1, v100 src0_sel:BYTE_0 src1_sel:DWORD
	s_and_saveexec_b32 s72, s16
	s_xor_b32 s16, exec_lo, s72
	s_cbranch_execz .LBB4_8614
; %bb.7913:                             ;   in Loop: Header=BB4_7456 Depth=3
	v_cmp_eq_u16_sdwa s73, v1, v101 src0_sel:BYTE_0 src1_sel:DWORD
	s_mov_b32 s23, -1
	s_and_saveexec_b32 s72, s73
; %bb.7914:                             ;   in Loop: Header=BB4_7456 Depth=3
	s_xor_b32 s23, exec_lo, -1
; %bb.7915:                             ;   in Loop: Header=BB4_7456 Depth=3
	s_or_b32 exec_lo, exec_lo, s72
	s_and_b32 s23, s23, exec_lo
	s_or_saveexec_b32 s16, s16
	v_mov_b32_e32 v4, 0x7f800001
	s_xor_b32 exec_lo, exec_lo, s16
	s_cbranch_execnz .LBB4_8615
.LBB4_7916:                             ;   in Loop: Header=BB4_7456 Depth=3
	s_or_b32 exec_lo, exec_lo, s16
	s_and_saveexec_b32 s16, s23
	s_cbranch_execz .LBB4_7918
.LBB4_7917:                             ;   in Loop: Header=BB4_7456 Depth=3
	v_and_b32_e32 v4, 3, v1
	v_bfe_u32 v5, v1, 2, 5
	v_ffbh_u32_e32 v16, v4
	v_cmp_eq_u32_e32 vcc_lo, 0, v5
	v_min_u32_e32 v16, 32, v16
	v_subrev_nc_u32_e32 v17, 29, v16
	v_sub_nc_u32_e32 v16, 30, v16
	v_lshlrev_b32_e32 v17, v17, v1
	v_cndmask_b32_e32 v5, v5, v16, vcc_lo
	v_lshlrev_b32_e32 v16, 24, v1
	v_and_b32_e32 v17, 3, v17
	v_lshl_add_u32 v5, v5, 23, 0x37800000
	v_and_b32_e32 v16, 0x80000000, v16
	v_cndmask_b32_e32 v4, v4, v17, vcc_lo
	v_lshlrev_b32_e32 v4, 21, v4
	v_or3_b32 v4, v16, v5, v4
.LBB4_7918:                             ;   in Loop: Header=BB4_7456 Depth=3
	s_or_b32 exec_lo, exec_lo, s16
	s_waitcnt vmcnt(1)
	v_cmp_gt_i16_sdwa s16, v12, v100 src0_sel:BYTE_0 src1_sel:DWORD
	s_mov_b32 s23, 0
	s_and_saveexec_b32 s72, s16
	s_xor_b32 s16, exec_lo, s72
	s_cbranch_execz .LBB4_8616
; %bb.7919:                             ;   in Loop: Header=BB4_7456 Depth=3
	v_cmp_eq_u16_sdwa s73, v12, v101 src0_sel:BYTE_0 src1_sel:DWORD
	s_mov_b32 s23, -1
	s_and_saveexec_b32 s72, s73
; %bb.7920:                             ;   in Loop: Header=BB4_7456 Depth=3
	s_xor_b32 s23, exec_lo, -1
; %bb.7921:                             ;   in Loop: Header=BB4_7456 Depth=3
	s_or_b32 exec_lo, exec_lo, s72
	s_and_b32 s23, s23, exec_lo
	s_or_saveexec_b32 s16, s16
	v_mov_b32_e32 v5, 0x7f800001
	s_xor_b32 exec_lo, exec_lo, s16
	s_cbranch_execnz .LBB4_8617
.LBB4_7922:                             ;   in Loop: Header=BB4_7456 Depth=3
	s_or_b32 exec_lo, exec_lo, s16
	s_and_saveexec_b32 s16, s23
	s_cbranch_execz .LBB4_7924
.LBB4_7923:                             ;   in Loop: Header=BB4_7456 Depth=3
	v_and_b32_e32 v5, 3, v12
	v_bfe_u32 v16, v12, 2, 5
	v_ffbh_u32_e32 v17, v5
	v_cmp_eq_u32_e32 vcc_lo, 0, v16
	v_min_u32_e32 v17, 32, v17
	v_subrev_nc_u32_e32 v20, 29, v17
	v_sub_nc_u32_e32 v17, 30, v17
	v_lshlrev_b32_e32 v20, v20, v12
	v_cndmask_b32_e32 v16, v16, v17, vcc_lo
	v_lshlrev_b32_e32 v17, 24, v12
	v_and_b32_e32 v20, 3, v20
	v_lshl_add_u32 v16, v16, 23, 0x37800000
	v_and_b32_e32 v17, 0x80000000, v17
	v_cndmask_b32_e32 v5, v5, v20, vcc_lo
	v_lshlrev_b32_e32 v5, 21, v5
	v_or3_b32 v5, v17, v16, v5
.LBB4_7924:                             ;   in Loop: Header=BB4_7456 Depth=3
	s_or_b32 exec_lo, exec_lo, s16
	v_add_f32_e32 v4, v4, v5
	v_mov_b32_e32 v83, 0x80
	s_mov_b32 s23, exec_lo
	v_and_b32_e32 v5, 0x7f800000, v4
	v_cmpx_ne_u32_e32 0x7f800000, v5
	s_cbranch_execz .LBB4_7932
; %bb.7925:                             ;   in Loop: Header=BB4_7456 Depth=3
	v_mov_b32_e32 v83, 0
	s_mov_b32 s72, exec_lo
	v_cmpx_ne_u32_e32 0, v4
	s_cbranch_execz .LBB4_7931
; %bb.7926:                             ;   in Loop: Header=BB4_7456 Depth=3
	v_bfe_u32 v16, v4, 23, 8
	v_and_b32_e32 v5, 0x7fffff, v4
	v_cmp_gt_u32_e64 s16, 0x71, v16
	v_sub_nc_u32_e32 v17, 0x70, v16
	v_cmp_eq_u32_e32 vcc_lo, 0, v16
	v_or_b32_e32 v20, 0x800000, v5
	v_cndmask_b32_e64 v17, 0, v17, s16
	v_cndmask_b32_e32 v5, v20, v5, vcc_lo
	v_cndmask_b32_e64 v17, v17, 0x6f, vcc_lo
	v_lshl_add_u32 v20, 0x200000, v17, -1
	v_lshlrev_b32_e64 v21, v17, 0x100000
	v_and_b32_e32 v20, v20, v5
	v_cmp_eq_u32_e64 s16, v20, v21
	v_lshrrev_b32_e32 v20, v17, v5
	v_add_nc_u32_e32 v5, 0xffffff91, v16
	v_lshrrev_b32_e32 v16, 23, v20
	v_cndmask_b32_e64 v5, v5, 0xffffff92, vcc_lo
	v_xor_b32_e32 v16, 1, v16
	v_add_nc_u32_e32 v5, v17, v5
	v_bfe_u32 v17, v20, 21, 1
	v_add_nc_u32_e32 v17, -1, v17
	v_cndmask_b32_e64 v17, 0, v17, s16
	s_mov_b32 s16, exec_lo
	v_add_nc_u32_e32 v17, v17, v20
	v_and_b32_e32 v17, 0x1fffff, v17
	v_add_nc_u32_e32 v17, v17, v20
                                        ; implicit-def: $vgpr20
	v_cmpx_ne_u32_e64 v5, v16
	s_xor_b32 s16, exec_lo, s16
; %bb.7927:                             ;   in Loop: Header=BB4_7456 Depth=3
	v_cmp_lt_u32_e32 vcc_lo, 0xffffff, v17
	v_sub_nc_u32_e32 v5, v5, v16
	v_cndmask_b32_e64 v16, 0, 1, vcc_lo
	v_add_co_ci_u32_e64 v20, null, 0, v5, vcc_lo
	v_lshrrev_b32_e32 v17, v16, v17
; %bb.7928:                             ;   in Loop: Header=BB4_7456 Depth=3
	s_andn2_saveexec_b32 s16, s16
; %bb.7929:                             ;   in Loop: Header=BB4_7456 Depth=3
	v_bfe_u32 v20, v17, 23, 1
; %bb.7930:                             ;   in Loop: Header=BB4_7456 Depth=3
	s_or_b32 exec_lo, exec_lo, s16
	v_lshrrev_b32_e32 v5, 21, v17
	v_min_i32_e32 v16, 31, v20
	v_cmp_gt_i32_e32 vcc_lo, 32, v20
	v_and_b32_sdwa v4, v4, v101 dst_sel:DWORD dst_unused:UNUSED_PAD src0_sel:BYTE_3 src1_sel:DWORD
	v_lshlrev_b32_e32 v16, 2, v16
	v_cndmask_b32_e32 v5, 3, v5, vcc_lo
	v_and_b32_e32 v16, 0xfc, v16
	v_or_b32_e32 v17, v20, v5
	v_and_b32_e32 v5, 3, v5
	v_cmp_ne_u32_e32 vcc_lo, 0, v17
	v_or3_b32 v4, v16, v4, v5
	v_cndmask_b32_e32 v83, 0, v4, vcc_lo
.LBB4_7931:                             ;   in Loop: Header=BB4_7456 Depth=3
	s_or_b32 exec_lo, exec_lo, s72
.LBB4_7932:                             ;   in Loop: Header=BB4_7456 Depth=3
	s_or_b32 exec_lo, exec_lo, s23
	v_cmp_gt_i16_sdwa s16, v1, v100 src0_sel:BYTE_1 src1_sel:DWORD
	s_mov_b32 s23, 0
	s_and_saveexec_b32 s72, s16
	s_xor_b32 s16, exec_lo, s72
	s_cbranch_execz .LBB4_8618
; %bb.7933:                             ;   in Loop: Header=BB4_7456 Depth=3
	v_cmp_eq_u16_sdwa s73, v1, v101 src0_sel:BYTE_1 src1_sel:DWORD
	s_mov_b32 s23, -1
	s_and_saveexec_b32 s72, s73
; %bb.7934:                             ;   in Loop: Header=BB4_7456 Depth=3
	s_xor_b32 s23, exec_lo, -1
; %bb.7935:                             ;   in Loop: Header=BB4_7456 Depth=3
	s_or_b32 exec_lo, exec_lo, s72
	s_and_b32 s23, s23, exec_lo
	s_or_saveexec_b32 s16, s16
	v_mov_b32_e32 v4, 0x7f800001
	s_xor_b32 exec_lo, exec_lo, s16
	s_cbranch_execnz .LBB4_8619
.LBB4_7936:                             ;   in Loop: Header=BB4_7456 Depth=3
	s_or_b32 exec_lo, exec_lo, s16
	s_and_saveexec_b32 s16, s23
	s_cbranch_execz .LBB4_7938
.LBB4_7937:                             ;   in Loop: Header=BB4_7456 Depth=3
	v_and_b32_sdwa v4, v102, v1 dst_sel:DWORD dst_unused:UNUSED_PAD src0_sel:DWORD src1_sel:BYTE_1
	v_and_b32_e32 v5, 3, v4
	v_bfe_u32 v20, v4, 2, 5
	v_ffbh_u32_e32 v16, v5
	v_cmp_eq_u32_e32 vcc_lo, 0, v20
	v_min_u32_e32 v16, 32, v16
	v_subrev_nc_u32_e32 v17, 29, v16
	v_sub_nc_u32_e32 v16, 30, v16
	v_lshlrev_b32_e32 v4, v17, v4
	v_lshlrev_b32_sdwa v17, v103, v1 dst_sel:DWORD dst_unused:UNUSED_PAD src0_sel:DWORD src1_sel:BYTE_1
	v_cndmask_b32_e32 v16, v20, v16, vcc_lo
	v_and_b32_e32 v4, 3, v4
	v_lshl_add_u32 v16, v16, 23, 0x37800000
	v_cndmask_b32_e32 v4, v5, v4, vcc_lo
	v_and_b32_e32 v5, 0x80000000, v17
	v_lshlrev_b32_e32 v4, 21, v4
	v_or3_b32 v4, v5, v16, v4
.LBB4_7938:                             ;   in Loop: Header=BB4_7456 Depth=3
	s_or_b32 exec_lo, exec_lo, s16
	v_cmp_gt_i16_sdwa s16, v12, v100 src0_sel:BYTE_1 src1_sel:DWORD
	s_mov_b32 s23, 0
	s_and_saveexec_b32 s72, s16
	s_xor_b32 s16, exec_lo, s72
	s_cbranch_execz .LBB4_8620
; %bb.7939:                             ;   in Loop: Header=BB4_7456 Depth=3
	v_cmp_eq_u16_sdwa s73, v12, v101 src0_sel:BYTE_1 src1_sel:DWORD
	s_mov_b32 s23, -1
	s_and_saveexec_b32 s72, s73
; %bb.7940:                             ;   in Loop: Header=BB4_7456 Depth=3
	s_xor_b32 s23, exec_lo, -1
; %bb.7941:                             ;   in Loop: Header=BB4_7456 Depth=3
	s_or_b32 exec_lo, exec_lo, s72
	s_and_b32 s23, s23, exec_lo
	s_or_saveexec_b32 s16, s16
	v_mov_b32_e32 v5, 0x7f800001
	s_xor_b32 exec_lo, exec_lo, s16
	s_cbranch_execnz .LBB4_8621
.LBB4_7942:                             ;   in Loop: Header=BB4_7456 Depth=3
	s_or_b32 exec_lo, exec_lo, s16
	s_and_saveexec_b32 s16, s23
	s_cbranch_execz .LBB4_7944
.LBB4_7943:                             ;   in Loop: Header=BB4_7456 Depth=3
	v_and_b32_sdwa v5, v102, v12 dst_sel:DWORD dst_unused:UNUSED_PAD src0_sel:DWORD src1_sel:BYTE_1
	v_and_b32_e32 v16, 3, v5
	v_bfe_u32 v21, v5, 2, 5
	v_ffbh_u32_e32 v17, v16
	v_cmp_eq_u32_e32 vcc_lo, 0, v21
	v_min_u32_e32 v17, 32, v17
	v_subrev_nc_u32_e32 v20, 29, v17
	v_sub_nc_u32_e32 v17, 30, v17
	v_lshlrev_b32_e32 v5, v20, v5
	v_lshlrev_b32_sdwa v20, v103, v12 dst_sel:DWORD dst_unused:UNUSED_PAD src0_sel:DWORD src1_sel:BYTE_1
	v_cndmask_b32_e32 v17, v21, v17, vcc_lo
	v_and_b32_e32 v5, 3, v5
	v_lshl_add_u32 v17, v17, 23, 0x37800000
	v_cndmask_b32_e32 v5, v16, v5, vcc_lo
	v_and_b32_e32 v16, 0x80000000, v20
	v_lshlrev_b32_e32 v5, 21, v5
	v_or3_b32 v5, v16, v17, v5
.LBB4_7944:                             ;   in Loop: Header=BB4_7456 Depth=3
	s_or_b32 exec_lo, exec_lo, s16
	v_add_f32_e32 v4, v4, v5
	v_mov_b32_e32 v74, 0x8000
	s_mov_b32 s23, exec_lo
	v_and_b32_e32 v5, 0x7f800000, v4
	v_cmpx_ne_u32_e32 0x7f800000, v5
	s_cbranch_execz .LBB4_7952
; %bb.7945:                             ;   in Loop: Header=BB4_7456 Depth=3
	v_mov_b32_e32 v74, 0
	s_mov_b32 s72, exec_lo
	v_cmpx_ne_u32_e32 0, v4
	s_cbranch_execz .LBB4_7951
; %bb.7946:                             ;   in Loop: Header=BB4_7456 Depth=3
	v_bfe_u32 v16, v4, 23, 8
	v_and_b32_e32 v5, 0x7fffff, v4
	v_cmp_gt_u32_e64 s16, 0x71, v16
	v_sub_nc_u32_e32 v17, 0x70, v16
	v_cmp_eq_u32_e32 vcc_lo, 0, v16
	v_or_b32_e32 v20, 0x800000, v5
	v_cndmask_b32_e64 v17, 0, v17, s16
	v_cndmask_b32_e32 v5, v20, v5, vcc_lo
	v_cndmask_b32_e64 v17, v17, 0x6f, vcc_lo
	v_lshl_add_u32 v20, 0x200000, v17, -1
	v_lshlrev_b32_e64 v21, v17, 0x100000
	v_and_b32_e32 v20, v20, v5
	v_cmp_eq_u32_e64 s16, v20, v21
	v_lshrrev_b32_e32 v20, v17, v5
	v_add_nc_u32_e32 v5, 0xffffff91, v16
	v_lshrrev_b32_e32 v16, 23, v20
	v_cndmask_b32_e64 v5, v5, 0xffffff92, vcc_lo
	v_xor_b32_e32 v16, 1, v16
	v_add_nc_u32_e32 v5, v17, v5
	v_bfe_u32 v17, v20, 21, 1
	v_add_nc_u32_e32 v17, -1, v17
	v_cndmask_b32_e64 v17, 0, v17, s16
	s_mov_b32 s16, exec_lo
	v_add_nc_u32_e32 v17, v17, v20
	v_and_b32_e32 v17, 0x1fffff, v17
	v_add_nc_u32_e32 v17, v17, v20
                                        ; implicit-def: $vgpr20
	v_cmpx_ne_u32_e64 v5, v16
	s_xor_b32 s16, exec_lo, s16
; %bb.7947:                             ;   in Loop: Header=BB4_7456 Depth=3
	v_cmp_lt_u32_e32 vcc_lo, 0xffffff, v17
	v_sub_nc_u32_e32 v5, v5, v16
	v_cndmask_b32_e64 v16, 0, 1, vcc_lo
	v_add_co_ci_u32_e64 v20, null, 0, v5, vcc_lo
	v_lshrrev_b32_e32 v17, v16, v17
; %bb.7948:                             ;   in Loop: Header=BB4_7456 Depth=3
	s_andn2_saveexec_b32 s16, s16
; %bb.7949:                             ;   in Loop: Header=BB4_7456 Depth=3
	v_bfe_u32 v20, v17, 23, 1
; %bb.7950:                             ;   in Loop: Header=BB4_7456 Depth=3
	s_or_b32 exec_lo, exec_lo, s16
	v_lshrrev_b32_e32 v5, 21, v17
	v_min_i32_e32 v16, 31, v20
	v_cmp_gt_i32_e32 vcc_lo, 32, v20
	v_and_b32_sdwa v4, v4, v101 dst_sel:DWORD dst_unused:UNUSED_PAD src0_sel:BYTE_3 src1_sel:DWORD
	v_lshlrev_b32_e32 v16, 2, v16
	v_cndmask_b32_e32 v5, 3, v5, vcc_lo
	v_and_b32_e32 v16, 0xfc, v16
	v_or_b32_e32 v17, v20, v5
	v_and_b32_e32 v5, 3, v5
	v_cmp_ne_u32_e32 vcc_lo, 0, v17
	v_or3_b32 v4, v4, v16, v5
	v_lshlrev_b32_e32 v4, 8, v4
	v_cndmask_b32_e32 v74, 0, v4, vcc_lo
.LBB4_7951:                             ;   in Loop: Header=BB4_7456 Depth=3
	s_or_b32 exec_lo, exec_lo, s72
.LBB4_7952:                             ;   in Loop: Header=BB4_7456 Depth=3
	s_or_b32 exec_lo, exec_lo, s23
	v_or_b32_e32 v5, v30, v79
	s_mov_b32 s23, 0
	v_cmp_gt_i16_sdwa s16, v5, v100 src0_sel:BYTE_0 src1_sel:DWORD
	s_and_saveexec_b32 s72, s16
	s_xor_b32 s16, exec_lo, s72
	s_cbranch_execz .LBB4_8622
; %bb.7953:                             ;   in Loop: Header=BB4_7456 Depth=3
	v_cmp_eq_u16_sdwa s73, v5, v101 src0_sel:BYTE_0 src1_sel:DWORD
	s_mov_b32 s23, -1
	s_and_saveexec_b32 s72, s73
; %bb.7954:                             ;   in Loop: Header=BB4_7456 Depth=3
	s_xor_b32 s23, exec_lo, -1
; %bb.7955:                             ;   in Loop: Header=BB4_7456 Depth=3
	s_or_b32 exec_lo, exec_lo, s72
	s_and_b32 s23, s23, exec_lo
	s_or_saveexec_b32 s16, s16
	v_mov_b32_e32 v4, 0x7f800001
	s_xor_b32 exec_lo, exec_lo, s16
	s_cbranch_execnz .LBB4_8623
.LBB4_7956:                             ;   in Loop: Header=BB4_7456 Depth=3
	s_or_b32 exec_lo, exec_lo, s16
	v_lshl_or_b32 v1, v5, 16, v1
	s_and_saveexec_b32 s16, s23
	s_cbranch_execz .LBB4_7958
.LBB4_7957:                             ;   in Loop: Header=BB4_7456 Depth=3
	v_bfe_u32 v4, v1, 16, 2
	v_bfe_u32 v5, v1, 18, 5
	v_ffbh_u32_e32 v16, v4
	v_cmp_eq_u32_e32 vcc_lo, 0, v5
	v_min_u32_e32 v16, 32, v16
	v_subrev_nc_u32_e32 v17, 29, v16
	v_sub_nc_u32_e32 v16, 30, v16
	v_lshlrev_b32_sdwa v17, v17, v1 dst_sel:DWORD dst_unused:UNUSED_PAD src0_sel:DWORD src1_sel:WORD_1
	v_cndmask_b32_e32 v5, v5, v16, vcc_lo
	v_lshlrev_b32_e32 v16, 8, v1
	v_and_b32_e32 v17, 3, v17
	v_lshl_add_u32 v5, v5, 23, 0x37800000
	v_and_b32_e32 v16, 0x80000000, v16
	v_cndmask_b32_e32 v4, v4, v17, vcc_lo
	v_lshlrev_b32_e32 v4, 21, v4
	v_or3_b32 v4, v16, v5, v4
.LBB4_7958:                             ;   in Loop: Header=BB4_7456 Depth=3
	s_or_b32 exec_lo, exec_lo, s16
	v_and_b32_sdwa v16, v12, v112 dst_sel:DWORD dst_unused:UNUSED_PAD src0_sel:WORD_1 src1_sel:DWORD
	s_mov_b32 s23, 0
	s_mov_b32 s16, exec_lo
	v_cmpx_lt_i16_e32 0x7f, v16
	s_xor_b32 s16, exec_lo, s16
	s_cbranch_execz .LBB4_8624
; %bb.7959:                             ;   in Loop: Header=BB4_7456 Depth=3
	s_mov_b32 s23, -1
	s_mov_b32 s72, exec_lo
	v_cmpx_eq_u16_e32 0x80, v16
; %bb.7960:                             ;   in Loop: Header=BB4_7456 Depth=3
	s_xor_b32 s23, exec_lo, -1
; %bb.7961:                             ;   in Loop: Header=BB4_7456 Depth=3
	s_or_b32 exec_lo, exec_lo, s72
	s_and_b32 s23, s23, exec_lo
                                        ; implicit-def: $vgpr16
	s_or_saveexec_b32 s16, s16
	v_mov_b32_e32 v5, 0x7f800001
	s_xor_b32 exec_lo, exec_lo, s16
	s_cbranch_execnz .LBB4_8625
.LBB4_7962:                             ;   in Loop: Header=BB4_7456 Depth=3
	s_or_b32 exec_lo, exec_lo, s16
	s_and_saveexec_b32 s16, s23
	s_cbranch_execz .LBB4_7964
.LBB4_7963:                             ;   in Loop: Header=BB4_7456 Depth=3
	v_bfe_u32 v5, v12, 16, 2
	v_bfe_u32 v16, v12, 18, 5
	v_ffbh_u32_e32 v17, v5
	v_cmp_eq_u32_e32 vcc_lo, 0, v16
	v_min_u32_e32 v17, 32, v17
	v_subrev_nc_u32_e32 v20, 29, v17
	v_sub_nc_u32_e32 v17, 30, v17
	v_lshlrev_b32_sdwa v20, v20, v12 dst_sel:DWORD dst_unused:UNUSED_PAD src0_sel:DWORD src1_sel:WORD_1
	v_cndmask_b32_e32 v16, v16, v17, vcc_lo
	v_lshlrev_b32_e32 v17, 8, v12
	v_and_b32_e32 v20, 3, v20
	v_lshl_add_u32 v16, v16, 23, 0x37800000
	v_and_b32_e32 v17, 0x80000000, v17
	v_cndmask_b32_e32 v5, v5, v20, vcc_lo
	v_lshlrev_b32_e32 v5, 21, v5
	v_or3_b32 v5, v17, v16, v5
.LBB4_7964:                             ;   in Loop: Header=BB4_7456 Depth=3
	s_or_b32 exec_lo, exec_lo, s16
	v_add_f32_e32 v4, v4, v5
	v_mov_b32_e32 v79, 0x80
	s_mov_b32 s23, exec_lo
	v_and_b32_e32 v5, 0x7f800000, v4
	v_cmpx_ne_u32_e32 0x7f800000, v5
	s_cbranch_execz .LBB4_7972
; %bb.7965:                             ;   in Loop: Header=BB4_7456 Depth=3
	v_mov_b32_e32 v79, 0
	s_mov_b32 s72, exec_lo
	v_cmpx_ne_u32_e32 0, v4
	s_cbranch_execz .LBB4_7971
; %bb.7966:                             ;   in Loop: Header=BB4_7456 Depth=3
	v_bfe_u32 v16, v4, 23, 8
	v_and_b32_e32 v5, 0x7fffff, v4
	v_cmp_gt_u32_e64 s16, 0x71, v16
	v_sub_nc_u32_e32 v17, 0x70, v16
	v_cmp_eq_u32_e32 vcc_lo, 0, v16
	v_or_b32_e32 v20, 0x800000, v5
	v_cndmask_b32_e64 v17, 0, v17, s16
	v_cndmask_b32_e32 v5, v20, v5, vcc_lo
	v_cndmask_b32_e64 v17, v17, 0x6f, vcc_lo
	v_lshl_add_u32 v20, 0x200000, v17, -1
	v_lshlrev_b32_e64 v21, v17, 0x100000
	v_and_b32_e32 v20, v20, v5
	v_cmp_eq_u32_e64 s16, v20, v21
	v_lshrrev_b32_e32 v20, v17, v5
	v_add_nc_u32_e32 v5, 0xffffff91, v16
	v_lshrrev_b32_e32 v16, 23, v20
	v_cndmask_b32_e64 v5, v5, 0xffffff92, vcc_lo
	v_xor_b32_e32 v16, 1, v16
	v_add_nc_u32_e32 v5, v17, v5
	v_bfe_u32 v17, v20, 21, 1
	v_add_nc_u32_e32 v17, -1, v17
	v_cndmask_b32_e64 v17, 0, v17, s16
	s_mov_b32 s16, exec_lo
	v_add_nc_u32_e32 v17, v17, v20
	v_and_b32_e32 v17, 0x1fffff, v17
	v_add_nc_u32_e32 v17, v17, v20
                                        ; implicit-def: $vgpr20
	v_cmpx_ne_u32_e64 v5, v16
	s_xor_b32 s16, exec_lo, s16
; %bb.7967:                             ;   in Loop: Header=BB4_7456 Depth=3
	v_cmp_lt_u32_e32 vcc_lo, 0xffffff, v17
	v_sub_nc_u32_e32 v5, v5, v16
	v_cndmask_b32_e64 v16, 0, 1, vcc_lo
	v_add_co_ci_u32_e64 v20, null, 0, v5, vcc_lo
	v_lshrrev_b32_e32 v17, v16, v17
; %bb.7968:                             ;   in Loop: Header=BB4_7456 Depth=3
	s_andn2_saveexec_b32 s16, s16
; %bb.7969:                             ;   in Loop: Header=BB4_7456 Depth=3
	v_bfe_u32 v20, v17, 23, 1
; %bb.7970:                             ;   in Loop: Header=BB4_7456 Depth=3
	s_or_b32 exec_lo, exec_lo, s16
	v_lshrrev_b32_e32 v5, 21, v17
	v_min_i32_e32 v16, 31, v20
	v_cmp_gt_i32_e32 vcc_lo, 32, v20
	v_and_b32_sdwa v4, v4, v101 dst_sel:DWORD dst_unused:UNUSED_PAD src0_sel:BYTE_3 src1_sel:DWORD
	v_lshlrev_b32_e32 v16, 2, v16
	v_cndmask_b32_e32 v5, 3, v5, vcc_lo
	v_and_b32_e32 v16, 0xfc, v16
	v_or_b32_e32 v17, v20, v5
	v_and_b32_e32 v5, 3, v5
	v_cmp_ne_u32_e32 vcc_lo, 0, v17
	v_or3_b32 v4, v16, v4, v5
	v_cndmask_b32_e32 v79, 0, v4, vcc_lo
.LBB4_7971:                             ;   in Loop: Header=BB4_7456 Depth=3
	s_or_b32 exec_lo, exec_lo, s72
.LBB4_7972:                             ;   in Loop: Header=BB4_7456 Depth=3
	s_or_b32 exec_lo, exec_lo, s23
	v_cmp_gt_i16_sdwa s16, v1, v100 src0_sel:BYTE_3 src1_sel:DWORD
	s_mov_b32 s23, 0
	s_and_saveexec_b32 s72, s16
	s_xor_b32 s16, exec_lo, s72
	s_cbranch_execz .LBB4_8626
; %bb.7973:                             ;   in Loop: Header=BB4_7456 Depth=3
	v_cmp_eq_u16_sdwa s73, v1, v101 src0_sel:BYTE_3 src1_sel:DWORD
	s_mov_b32 s23, -1
	s_and_saveexec_b32 s72, s73
; %bb.7974:                             ;   in Loop: Header=BB4_7456 Depth=3
	s_xor_b32 s23, exec_lo, -1
; %bb.7975:                             ;   in Loop: Header=BB4_7456 Depth=3
	s_or_b32 exec_lo, exec_lo, s72
	s_and_b32 s23, s23, exec_lo
	s_or_saveexec_b32 s16, s16
	v_mov_b32_e32 v4, 0x7f800001
	s_xor_b32 exec_lo, exec_lo, s16
	s_cbranch_execnz .LBB4_8627
.LBB4_7976:                             ;   in Loop: Header=BB4_7456 Depth=3
	s_or_b32 exec_lo, exec_lo, s16
	s_and_saveexec_b32 s16, s23
	s_cbranch_execz .LBB4_7978
.LBB4_7977:                             ;   in Loop: Header=BB4_7456 Depth=3
	v_bfe_u32 v4, v1, 24, 2
	v_bfe_u32 v17, v1, 26, 5
	v_ffbh_u32_e32 v5, v4
	v_cmp_eq_u32_e32 vcc_lo, 0, v17
	v_min_u32_e32 v5, 32, v5
	v_subrev_nc_u32_e32 v16, 29, v5
	v_sub_nc_u32_e32 v5, 30, v5
	v_lshlrev_b32_sdwa v16, v16, v1 dst_sel:DWORD dst_unused:UNUSED_PAD src0_sel:DWORD src1_sel:BYTE_3
	v_cndmask_b32_e32 v5, v17, v5, vcc_lo
	v_and_b32_e32 v1, 0x80000000, v1
	v_and_b32_e32 v16, 3, v16
	v_lshl_add_u32 v5, v5, 23, 0x37800000
	v_cndmask_b32_e32 v4, v4, v16, vcc_lo
	v_lshlrev_b32_e32 v4, 21, v4
	v_or3_b32 v4, v1, v5, v4
.LBB4_7978:                             ;   in Loop: Header=BB4_7456 Depth=3
	s_or_b32 exec_lo, exec_lo, s16
	v_cmp_gt_i16_sdwa s16, v12, v100 src0_sel:BYTE_3 src1_sel:DWORD
	s_mov_b32 s23, 0
	s_and_saveexec_b32 s72, s16
	s_xor_b32 s16, exec_lo, s72
	s_cbranch_execz .LBB4_8628
; %bb.7979:                             ;   in Loop: Header=BB4_7456 Depth=3
	v_cmp_eq_u16_sdwa s73, v12, v101 src0_sel:BYTE_3 src1_sel:DWORD
	s_mov_b32 s23, -1
	s_and_saveexec_b32 s72, s73
; %bb.7980:                             ;   in Loop: Header=BB4_7456 Depth=3
	s_xor_b32 s23, exec_lo, -1
; %bb.7981:                             ;   in Loop: Header=BB4_7456 Depth=3
	s_or_b32 exec_lo, exec_lo, s72
	s_and_b32 s23, s23, exec_lo
	s_or_saveexec_b32 s16, s16
	v_mov_b32_e32 v1, 0x7f800001
	s_xor_b32 exec_lo, exec_lo, s16
	s_cbranch_execnz .LBB4_8629
.LBB4_7982:                             ;   in Loop: Header=BB4_7456 Depth=3
	s_or_b32 exec_lo, exec_lo, s16
	s_and_saveexec_b32 s16, s23
	s_cbranch_execz .LBB4_7984
.LBB4_7983:                             ;   in Loop: Header=BB4_7456 Depth=3
	v_bfe_u32 v1, v12, 24, 2
	v_bfe_u32 v17, v12, 26, 5
	v_ffbh_u32_e32 v5, v1
	v_cmp_eq_u32_e32 vcc_lo, 0, v17
	v_min_u32_e32 v5, 32, v5
	v_subrev_nc_u32_e32 v16, 29, v5
	v_sub_nc_u32_e32 v5, 30, v5
	v_lshlrev_b32_sdwa v16, v16, v12 dst_sel:DWORD dst_unused:UNUSED_PAD src0_sel:DWORD src1_sel:BYTE_3
	v_cndmask_b32_e32 v5, v17, v5, vcc_lo
	v_and_b32_e32 v12, 0x80000000, v12
	v_and_b32_e32 v16, 3, v16
	v_lshl_add_u32 v5, v5, 23, 0x37800000
	v_cndmask_b32_e32 v1, v1, v16, vcc_lo
	v_lshlrev_b32_e32 v1, 21, v1
	v_or3_b32 v1, v12, v5, v1
.LBB4_7984:                             ;   in Loop: Header=BB4_7456 Depth=3
	s_or_b32 exec_lo, exec_lo, s16
	v_add_f32_e32 v1, v4, v1
	v_mov_b32_e32 v12, 0x8000
	s_mov_b32 s23, exec_lo
	v_and_b32_e32 v4, 0x7f800000, v1
	v_cmpx_ne_u32_e32 0x7f800000, v4
	s_cbranch_execz .LBB4_7992
; %bb.7985:                             ;   in Loop: Header=BB4_7456 Depth=3
	v_mov_b32_e32 v12, 0
	s_mov_b32 s72, exec_lo
	v_cmpx_ne_u32_e32 0, v1
	s_cbranch_execz .LBB4_7991
; %bb.7986:                             ;   in Loop: Header=BB4_7456 Depth=3
	v_bfe_u32 v5, v1, 23, 8
	v_and_b32_e32 v4, 0x7fffff, v1
	v_cmp_gt_u32_e64 s16, 0x71, v5
	v_sub_nc_u32_e32 v12, 0x70, v5
	v_cmp_eq_u32_e32 vcc_lo, 0, v5
	v_or_b32_e32 v16, 0x800000, v4
	v_cndmask_b32_e64 v12, 0, v12, s16
	v_cndmask_b32_e32 v4, v16, v4, vcc_lo
	v_cndmask_b32_e64 v12, v12, 0x6f, vcc_lo
	v_lshl_add_u32 v16, 0x200000, v12, -1
	v_lshlrev_b32_e64 v17, v12, 0x100000
	v_and_b32_e32 v16, v16, v4
	v_cmp_eq_u32_e64 s16, v16, v17
	v_lshrrev_b32_e32 v16, v12, v4
	v_add_nc_u32_e32 v4, 0xffffff91, v5
	v_lshrrev_b32_e32 v5, 23, v16
	v_cndmask_b32_e64 v4, v4, 0xffffff92, vcc_lo
	v_xor_b32_e32 v5, 1, v5
	v_add_nc_u32_e32 v4, v12, v4
	v_bfe_u32 v12, v16, 21, 1
	v_add_nc_u32_e32 v12, -1, v12
	v_cndmask_b32_e64 v12, 0, v12, s16
	s_mov_b32 s16, exec_lo
	v_add_nc_u32_e32 v12, v12, v16
	v_and_b32_e32 v12, 0x1fffff, v12
	v_add_nc_u32_e32 v12, v12, v16
                                        ; implicit-def: $vgpr16
	v_cmpx_ne_u32_e64 v4, v5
	s_xor_b32 s16, exec_lo, s16
; %bb.7987:                             ;   in Loop: Header=BB4_7456 Depth=3
	v_cmp_lt_u32_e32 vcc_lo, 0xffffff, v12
	v_sub_nc_u32_e32 v4, v4, v5
	v_cndmask_b32_e64 v5, 0, 1, vcc_lo
	v_add_co_ci_u32_e64 v16, null, 0, v4, vcc_lo
	v_lshrrev_b32_e32 v12, v5, v12
; %bb.7988:                             ;   in Loop: Header=BB4_7456 Depth=3
	s_andn2_saveexec_b32 s16, s16
; %bb.7989:                             ;   in Loop: Header=BB4_7456 Depth=3
	v_bfe_u32 v16, v12, 23, 1
; %bb.7990:                             ;   in Loop: Header=BB4_7456 Depth=3
	s_or_b32 exec_lo, exec_lo, s16
	v_lshrrev_b32_e32 v4, 21, v12
	v_min_i32_e32 v5, 31, v16
	v_cmp_gt_i32_e32 vcc_lo, 32, v16
	v_and_b32_sdwa v1, v1, v101 dst_sel:DWORD dst_unused:UNUSED_PAD src0_sel:BYTE_3 src1_sel:DWORD
	v_lshlrev_b32_e32 v5, 2, v5
	v_cndmask_b32_e32 v4, 3, v4, vcc_lo
	v_and_b32_e32 v5, 0xfc, v5
	v_or_b32_e32 v12, v16, v4
	v_and_b32_e32 v4, 3, v4
	v_cmp_ne_u32_e32 vcc_lo, 0, v12
	v_or3_b32 v1, v1, v5, v4
	v_lshlrev_b32_e32 v1, 8, v1
	v_cndmask_b32_e32 v12, 0, v1, vcc_lo
.LBB4_7991:                             ;   in Loop: Header=BB4_7456 Depth=3
	s_or_b32 exec_lo, exec_lo, s72
.LBB4_7992:                             ;   in Loop: Header=BB4_7456 Depth=3
	s_or_b32 exec_lo, exec_lo, s23
	v_or_b32_e32 v1, v19, v18
	s_mov_b32 s23, 0
	v_cmp_gt_i16_sdwa s16, v1, v100 src0_sel:BYTE_0 src1_sel:DWORD
	s_and_saveexec_b32 s72, s16
	s_xor_b32 s16, exec_lo, s72
	s_cbranch_execz .LBB4_8630
; %bb.7993:                             ;   in Loop: Header=BB4_7456 Depth=3
	v_cmp_eq_u16_sdwa s73, v1, v101 src0_sel:BYTE_0 src1_sel:DWORD
	s_mov_b32 s23, -1
	s_and_saveexec_b32 s72, s73
; %bb.7994:                             ;   in Loop: Header=BB4_7456 Depth=3
	s_xor_b32 s23, exec_lo, -1
; %bb.7995:                             ;   in Loop: Header=BB4_7456 Depth=3
	s_or_b32 exec_lo, exec_lo, s72
	s_and_b32 s23, s23, exec_lo
	s_or_saveexec_b32 s16, s16
	v_mov_b32_e32 v4, 0x7f800001
	s_xor_b32 exec_lo, exec_lo, s16
	s_cbranch_execnz .LBB4_8631
.LBB4_7996:                             ;   in Loop: Header=BB4_7456 Depth=3
	s_or_b32 exec_lo, exec_lo, s16
	s_and_saveexec_b32 s16, s23
	s_cbranch_execz .LBB4_7998
.LBB4_7997:                             ;   in Loop: Header=BB4_7456 Depth=3
	v_and_b32_e32 v4, 3, v1
	v_bfe_u32 v5, v1, 2, 5
	v_ffbh_u32_e32 v16, v4
	v_cmp_eq_u32_e32 vcc_lo, 0, v5
	v_min_u32_e32 v16, 32, v16
	v_subrev_nc_u32_e32 v17, 29, v16
	v_sub_nc_u32_e32 v16, 30, v16
	v_lshlrev_b32_e32 v17, v17, v1
	v_cndmask_b32_e32 v5, v5, v16, vcc_lo
	v_lshlrev_b32_e32 v16, 24, v1
	v_and_b32_e32 v17, 3, v17
	v_lshl_add_u32 v5, v5, 23, 0x37800000
	v_and_b32_e32 v16, 0x80000000, v16
	v_cndmask_b32_e32 v4, v4, v17, vcc_lo
	v_lshlrev_b32_e32 v4, 21, v4
	v_or3_b32 v4, v16, v5, v4
.LBB4_7998:                             ;   in Loop: Header=BB4_7456 Depth=3
	s_or_b32 exec_lo, exec_lo, s16
	v_cmp_gt_i16_sdwa s16, v13, v100 src0_sel:BYTE_0 src1_sel:DWORD
	s_mov_b32 s23, 0
	s_and_saveexec_b32 s72, s16
	s_xor_b32 s16, exec_lo, s72
	s_cbranch_execz .LBB4_8632
; %bb.7999:                             ;   in Loop: Header=BB4_7456 Depth=3
	v_cmp_eq_u16_sdwa s73, v13, v101 src0_sel:BYTE_0 src1_sel:DWORD
	s_mov_b32 s23, -1
	s_and_saveexec_b32 s72, s73
; %bb.8000:                             ;   in Loop: Header=BB4_7456 Depth=3
	s_xor_b32 s23, exec_lo, -1
; %bb.8001:                             ;   in Loop: Header=BB4_7456 Depth=3
	s_or_b32 exec_lo, exec_lo, s72
	s_and_b32 s23, s23, exec_lo
	s_or_saveexec_b32 s16, s16
	v_mov_b32_e32 v5, 0x7f800001
	s_xor_b32 exec_lo, exec_lo, s16
	s_cbranch_execnz .LBB4_8633
.LBB4_8002:                             ;   in Loop: Header=BB4_7456 Depth=3
	s_or_b32 exec_lo, exec_lo, s16
	s_and_saveexec_b32 s16, s23
	s_cbranch_execz .LBB4_8004
.LBB4_8003:                             ;   in Loop: Header=BB4_7456 Depth=3
	v_and_b32_e32 v5, 3, v13
	v_bfe_u32 v16, v13, 2, 5
	v_ffbh_u32_e32 v17, v5
	v_cmp_eq_u32_e32 vcc_lo, 0, v16
	v_min_u32_e32 v17, 32, v17
	v_subrev_nc_u32_e32 v18, 29, v17
	v_sub_nc_u32_e32 v17, 30, v17
	v_lshlrev_b32_e32 v18, v18, v13
	v_cndmask_b32_e32 v16, v16, v17, vcc_lo
	v_lshlrev_b32_e32 v17, 24, v13
	v_and_b32_e32 v18, 3, v18
	v_lshl_add_u32 v16, v16, 23, 0x37800000
	v_and_b32_e32 v17, 0x80000000, v17
	v_cndmask_b32_e32 v5, v5, v18, vcc_lo
	v_lshlrev_b32_e32 v5, 21, v5
	v_or3_b32 v5, v17, v16, v5
.LBB4_8004:                             ;   in Loop: Header=BB4_7456 Depth=3
	s_or_b32 exec_lo, exec_lo, s16
	v_add_f32_e32 v4, v4, v5
	v_mov_b32_e32 v95, 0x80
	s_mov_b32 s23, exec_lo
	v_and_b32_e32 v5, 0x7f800000, v4
	v_cmpx_ne_u32_e32 0x7f800000, v5
	s_cbranch_execz .LBB4_8012
; %bb.8005:                             ;   in Loop: Header=BB4_7456 Depth=3
	v_mov_b32_e32 v95, 0
	s_mov_b32 s72, exec_lo
	v_cmpx_ne_u32_e32 0, v4
	s_cbranch_execz .LBB4_8011
; %bb.8006:                             ;   in Loop: Header=BB4_7456 Depth=3
	v_bfe_u32 v16, v4, 23, 8
	v_and_b32_e32 v5, 0x7fffff, v4
	v_cmp_gt_u32_e64 s16, 0x71, v16
	v_sub_nc_u32_e32 v17, 0x70, v16
	v_cmp_eq_u32_e32 vcc_lo, 0, v16
	v_or_b32_e32 v18, 0x800000, v5
	v_cndmask_b32_e64 v17, 0, v17, s16
	v_cndmask_b32_e32 v5, v18, v5, vcc_lo
	v_cndmask_b32_e64 v17, v17, 0x6f, vcc_lo
	v_lshl_add_u32 v18, 0x200000, v17, -1
	v_lshlrev_b32_e64 v19, v17, 0x100000
	v_and_b32_e32 v18, v18, v5
	v_cmp_eq_u32_e64 s16, v18, v19
	v_lshrrev_b32_e32 v18, v17, v5
	v_add_nc_u32_e32 v5, 0xffffff91, v16
	v_lshrrev_b32_e32 v16, 23, v18
	v_cndmask_b32_e64 v5, v5, 0xffffff92, vcc_lo
	v_xor_b32_e32 v16, 1, v16
	v_add_nc_u32_e32 v5, v17, v5
	v_bfe_u32 v17, v18, 21, 1
	v_add_nc_u32_e32 v17, -1, v17
	v_cndmask_b32_e64 v17, 0, v17, s16
	s_mov_b32 s16, exec_lo
	v_add_nc_u32_e32 v17, v17, v18
	v_and_b32_e32 v17, 0x1fffff, v17
	v_add_nc_u32_e32 v17, v17, v18
                                        ; implicit-def: $vgpr18
	v_cmpx_ne_u32_e64 v5, v16
	s_xor_b32 s16, exec_lo, s16
; %bb.8007:                             ;   in Loop: Header=BB4_7456 Depth=3
	v_cmp_lt_u32_e32 vcc_lo, 0xffffff, v17
	v_sub_nc_u32_e32 v5, v5, v16
	v_cndmask_b32_e64 v16, 0, 1, vcc_lo
	v_add_co_ci_u32_e64 v18, null, 0, v5, vcc_lo
	v_lshrrev_b32_e32 v17, v16, v17
; %bb.8008:                             ;   in Loop: Header=BB4_7456 Depth=3
	s_andn2_saveexec_b32 s16, s16
; %bb.8009:                             ;   in Loop: Header=BB4_7456 Depth=3
	v_bfe_u32 v18, v17, 23, 1
; %bb.8010:                             ;   in Loop: Header=BB4_7456 Depth=3
	s_or_b32 exec_lo, exec_lo, s16
	v_lshrrev_b32_e32 v5, 21, v17
	v_min_i32_e32 v16, 31, v18
	v_cmp_gt_i32_e32 vcc_lo, 32, v18
	v_and_b32_sdwa v4, v4, v101 dst_sel:DWORD dst_unused:UNUSED_PAD src0_sel:BYTE_3 src1_sel:DWORD
	v_lshlrev_b32_e32 v16, 2, v16
	v_cndmask_b32_e32 v5, 3, v5, vcc_lo
	v_and_b32_e32 v16, 0xfc, v16
	v_or_b32_e32 v17, v18, v5
	v_and_b32_e32 v5, 3, v5
	v_cmp_ne_u32_e32 vcc_lo, 0, v17
	v_or3_b32 v4, v16, v4, v5
	v_cndmask_b32_e32 v95, 0, v4, vcc_lo
.LBB4_8011:                             ;   in Loop: Header=BB4_7456 Depth=3
	s_or_b32 exec_lo, exec_lo, s72
.LBB4_8012:                             ;   in Loop: Header=BB4_7456 Depth=3
	s_or_b32 exec_lo, exec_lo, s23
	v_cmp_gt_i16_sdwa s16, v1, v100 src0_sel:BYTE_1 src1_sel:DWORD
	s_mov_b32 s23, 0
	s_and_saveexec_b32 s72, s16
	s_xor_b32 s16, exec_lo, s72
	s_cbranch_execz .LBB4_8634
; %bb.8013:                             ;   in Loop: Header=BB4_7456 Depth=3
	v_cmp_eq_u16_sdwa s73, v1, v101 src0_sel:BYTE_1 src1_sel:DWORD
	s_mov_b32 s23, -1
	s_and_saveexec_b32 s72, s73
; %bb.8014:                             ;   in Loop: Header=BB4_7456 Depth=3
	s_xor_b32 s23, exec_lo, -1
; %bb.8015:                             ;   in Loop: Header=BB4_7456 Depth=3
	s_or_b32 exec_lo, exec_lo, s72
	s_and_b32 s23, s23, exec_lo
	s_or_saveexec_b32 s16, s16
	v_mov_b32_e32 v4, 0x7f800001
	s_xor_b32 exec_lo, exec_lo, s16
	s_cbranch_execnz .LBB4_8635
.LBB4_8016:                             ;   in Loop: Header=BB4_7456 Depth=3
	s_or_b32 exec_lo, exec_lo, s16
	s_and_saveexec_b32 s16, s23
	s_cbranch_execz .LBB4_8018
.LBB4_8017:                             ;   in Loop: Header=BB4_7456 Depth=3
	v_and_b32_sdwa v4, v102, v1 dst_sel:DWORD dst_unused:UNUSED_PAD src0_sel:DWORD src1_sel:BYTE_1
	v_and_b32_e32 v5, 3, v4
	v_bfe_u32 v18, v4, 2, 5
	v_ffbh_u32_e32 v16, v5
	v_cmp_eq_u32_e32 vcc_lo, 0, v18
	v_min_u32_e32 v16, 32, v16
	v_subrev_nc_u32_e32 v17, 29, v16
	v_sub_nc_u32_e32 v16, 30, v16
	v_lshlrev_b32_e32 v4, v17, v4
	v_lshlrev_b32_sdwa v17, v103, v1 dst_sel:DWORD dst_unused:UNUSED_PAD src0_sel:DWORD src1_sel:BYTE_1
	v_cndmask_b32_e32 v16, v18, v16, vcc_lo
	v_and_b32_e32 v4, 3, v4
	v_lshl_add_u32 v16, v16, 23, 0x37800000
	v_cndmask_b32_e32 v4, v5, v4, vcc_lo
	v_and_b32_e32 v5, 0x80000000, v17
	v_lshlrev_b32_e32 v4, 21, v4
	v_or3_b32 v4, v5, v16, v4
.LBB4_8018:                             ;   in Loop: Header=BB4_7456 Depth=3
	s_or_b32 exec_lo, exec_lo, s16
	v_cmp_gt_i16_sdwa s16, v13, v100 src0_sel:BYTE_1 src1_sel:DWORD
	s_mov_b32 s23, 0
	s_and_saveexec_b32 s72, s16
	s_xor_b32 s16, exec_lo, s72
	s_cbranch_execz .LBB4_8636
; %bb.8019:                             ;   in Loop: Header=BB4_7456 Depth=3
	v_cmp_eq_u16_sdwa s73, v13, v101 src0_sel:BYTE_1 src1_sel:DWORD
	s_mov_b32 s23, -1
	s_and_saveexec_b32 s72, s73
; %bb.8020:                             ;   in Loop: Header=BB4_7456 Depth=3
	s_xor_b32 s23, exec_lo, -1
; %bb.8021:                             ;   in Loop: Header=BB4_7456 Depth=3
	s_or_b32 exec_lo, exec_lo, s72
	s_and_b32 s23, s23, exec_lo
	s_or_saveexec_b32 s16, s16
	v_mov_b32_e32 v5, 0x7f800001
	s_xor_b32 exec_lo, exec_lo, s16
	s_cbranch_execnz .LBB4_8637
.LBB4_8022:                             ;   in Loop: Header=BB4_7456 Depth=3
	s_or_b32 exec_lo, exec_lo, s16
	s_and_saveexec_b32 s16, s23
	s_cbranch_execz .LBB4_8024
.LBB4_8023:                             ;   in Loop: Header=BB4_7456 Depth=3
	v_and_b32_sdwa v5, v102, v13 dst_sel:DWORD dst_unused:UNUSED_PAD src0_sel:DWORD src1_sel:BYTE_1
	v_and_b32_e32 v16, 3, v5
	v_bfe_u32 v19, v5, 2, 5
	v_ffbh_u32_e32 v17, v16
	v_cmp_eq_u32_e32 vcc_lo, 0, v19
	v_min_u32_e32 v17, 32, v17
	v_subrev_nc_u32_e32 v18, 29, v17
	v_sub_nc_u32_e32 v17, 30, v17
	v_lshlrev_b32_e32 v5, v18, v5
	v_lshlrev_b32_sdwa v18, v103, v13 dst_sel:DWORD dst_unused:UNUSED_PAD src0_sel:DWORD src1_sel:BYTE_1
	v_cndmask_b32_e32 v17, v19, v17, vcc_lo
	v_and_b32_e32 v5, 3, v5
	v_lshl_add_u32 v17, v17, 23, 0x37800000
	v_cndmask_b32_e32 v5, v16, v5, vcc_lo
	v_and_b32_e32 v16, 0x80000000, v18
	v_lshlrev_b32_e32 v5, 21, v5
	v_or3_b32 v5, v16, v17, v5
.LBB4_8024:                             ;   in Loop: Header=BB4_7456 Depth=3
	s_or_b32 exec_lo, exec_lo, s16
	v_add_f32_e32 v4, v4, v5
	v_mov_b32_e32 v107, 0x8000
	s_mov_b32 s23, exec_lo
	v_and_b32_e32 v5, 0x7f800000, v4
	v_cmpx_ne_u32_e32 0x7f800000, v5
	s_cbranch_execz .LBB4_8032
; %bb.8025:                             ;   in Loop: Header=BB4_7456 Depth=3
	v_mov_b32_e32 v107, 0
	s_mov_b32 s72, exec_lo
	v_cmpx_ne_u32_e32 0, v4
	s_cbranch_execz .LBB4_8031
; %bb.8026:                             ;   in Loop: Header=BB4_7456 Depth=3
	v_bfe_u32 v16, v4, 23, 8
	v_and_b32_e32 v5, 0x7fffff, v4
	v_cmp_gt_u32_e64 s16, 0x71, v16
	v_sub_nc_u32_e32 v17, 0x70, v16
	v_cmp_eq_u32_e32 vcc_lo, 0, v16
	v_or_b32_e32 v18, 0x800000, v5
	v_cndmask_b32_e64 v17, 0, v17, s16
	v_cndmask_b32_e32 v5, v18, v5, vcc_lo
	v_cndmask_b32_e64 v17, v17, 0x6f, vcc_lo
	v_lshl_add_u32 v18, 0x200000, v17, -1
	v_lshlrev_b32_e64 v19, v17, 0x100000
	v_and_b32_e32 v18, v18, v5
	v_cmp_eq_u32_e64 s16, v18, v19
	v_lshrrev_b32_e32 v18, v17, v5
	v_add_nc_u32_e32 v5, 0xffffff91, v16
	v_lshrrev_b32_e32 v16, 23, v18
	v_cndmask_b32_e64 v5, v5, 0xffffff92, vcc_lo
	v_xor_b32_e32 v16, 1, v16
	v_add_nc_u32_e32 v5, v17, v5
	v_bfe_u32 v17, v18, 21, 1
	v_add_nc_u32_e32 v17, -1, v17
	v_cndmask_b32_e64 v17, 0, v17, s16
	s_mov_b32 s16, exec_lo
	v_add_nc_u32_e32 v17, v17, v18
	v_and_b32_e32 v17, 0x1fffff, v17
	v_add_nc_u32_e32 v17, v17, v18
                                        ; implicit-def: $vgpr18
	v_cmpx_ne_u32_e64 v5, v16
	s_xor_b32 s16, exec_lo, s16
; %bb.8027:                             ;   in Loop: Header=BB4_7456 Depth=3
	v_cmp_lt_u32_e32 vcc_lo, 0xffffff, v17
	v_sub_nc_u32_e32 v5, v5, v16
	v_cndmask_b32_e64 v16, 0, 1, vcc_lo
	v_add_co_ci_u32_e64 v18, null, 0, v5, vcc_lo
	v_lshrrev_b32_e32 v17, v16, v17
; %bb.8028:                             ;   in Loop: Header=BB4_7456 Depth=3
	s_andn2_saveexec_b32 s16, s16
; %bb.8029:                             ;   in Loop: Header=BB4_7456 Depth=3
	v_bfe_u32 v18, v17, 23, 1
; %bb.8030:                             ;   in Loop: Header=BB4_7456 Depth=3
	s_or_b32 exec_lo, exec_lo, s16
	v_lshrrev_b32_e32 v5, 21, v17
	v_min_i32_e32 v16, 31, v18
	v_cmp_gt_i32_e32 vcc_lo, 32, v18
	v_and_b32_sdwa v4, v4, v101 dst_sel:DWORD dst_unused:UNUSED_PAD src0_sel:BYTE_3 src1_sel:DWORD
	v_lshlrev_b32_e32 v16, 2, v16
	v_cndmask_b32_e32 v5, 3, v5, vcc_lo
	v_and_b32_e32 v16, 0xfc, v16
	v_or_b32_e32 v17, v18, v5
	v_and_b32_e32 v5, 3, v5
	v_cmp_ne_u32_e32 vcc_lo, 0, v17
	v_or3_b32 v4, v4, v16, v5
	v_lshlrev_b32_e32 v4, 8, v4
	v_cndmask_b32_e32 v107, 0, v4, vcc_lo
.LBB4_8031:                             ;   in Loop: Header=BB4_7456 Depth=3
	s_or_b32 exec_lo, exec_lo, s72
.LBB4_8032:                             ;   in Loop: Header=BB4_7456 Depth=3
	s_or_b32 exec_lo, exec_lo, s23
	v_or_b32_e32 v5, v122, v110
	s_mov_b32 s23, 0
	v_cmp_gt_i16_sdwa s16, v5, v100 src0_sel:BYTE_0 src1_sel:DWORD
	s_and_saveexec_b32 s72, s16
	s_xor_b32 s16, exec_lo, s72
	s_cbranch_execz .LBB4_8638
; %bb.8033:                             ;   in Loop: Header=BB4_7456 Depth=3
	v_cmp_eq_u16_sdwa s73, v5, v101 src0_sel:BYTE_0 src1_sel:DWORD
	s_mov_b32 s23, -1
	s_and_saveexec_b32 s72, s73
; %bb.8034:                             ;   in Loop: Header=BB4_7456 Depth=3
	s_xor_b32 s23, exec_lo, -1
; %bb.8035:                             ;   in Loop: Header=BB4_7456 Depth=3
	s_or_b32 exec_lo, exec_lo, s72
	s_and_b32 s23, s23, exec_lo
	s_or_saveexec_b32 s16, s16
	v_mov_b32_e32 v4, 0x7f800001
	s_xor_b32 exec_lo, exec_lo, s16
	s_cbranch_execnz .LBB4_8639
.LBB4_8036:                             ;   in Loop: Header=BB4_7456 Depth=3
	s_or_b32 exec_lo, exec_lo, s16
	v_lshl_or_b32 v1, v5, 16, v1
	s_and_saveexec_b32 s16, s23
	s_cbranch_execz .LBB4_8038
.LBB4_8037:                             ;   in Loop: Header=BB4_7456 Depth=3
	v_bfe_u32 v4, v1, 16, 2
	v_bfe_u32 v5, v1, 18, 5
	v_ffbh_u32_e32 v16, v4
	v_cmp_eq_u32_e32 vcc_lo, 0, v5
	v_min_u32_e32 v16, 32, v16
	v_subrev_nc_u32_e32 v17, 29, v16
	v_sub_nc_u32_e32 v16, 30, v16
	v_lshlrev_b32_sdwa v17, v17, v1 dst_sel:DWORD dst_unused:UNUSED_PAD src0_sel:DWORD src1_sel:WORD_1
	v_cndmask_b32_e32 v5, v5, v16, vcc_lo
	v_lshlrev_b32_e32 v16, 8, v1
	v_and_b32_e32 v17, 3, v17
	v_lshl_add_u32 v5, v5, 23, 0x37800000
	v_and_b32_e32 v16, 0x80000000, v16
	v_cndmask_b32_e32 v4, v4, v17, vcc_lo
	v_lshlrev_b32_e32 v4, 21, v4
	v_or3_b32 v4, v16, v5, v4
.LBB4_8038:                             ;   in Loop: Header=BB4_7456 Depth=3
	s_or_b32 exec_lo, exec_lo, s16
	v_and_b32_sdwa v16, v13, v112 dst_sel:DWORD dst_unused:UNUSED_PAD src0_sel:WORD_1 src1_sel:DWORD
	s_mov_b32 s23, 0
	s_mov_b32 s16, exec_lo
	v_cmpx_lt_i16_e32 0x7f, v16
	s_xor_b32 s16, exec_lo, s16
	s_cbranch_execz .LBB4_8640
; %bb.8039:                             ;   in Loop: Header=BB4_7456 Depth=3
	s_mov_b32 s23, -1
	s_mov_b32 s72, exec_lo
	v_cmpx_eq_u16_e32 0x80, v16
; %bb.8040:                             ;   in Loop: Header=BB4_7456 Depth=3
	s_xor_b32 s23, exec_lo, -1
; %bb.8041:                             ;   in Loop: Header=BB4_7456 Depth=3
	s_or_b32 exec_lo, exec_lo, s72
	s_and_b32 s23, s23, exec_lo
                                        ; implicit-def: $vgpr16
	s_or_saveexec_b32 s16, s16
	v_mov_b32_e32 v5, 0x7f800001
	s_xor_b32 exec_lo, exec_lo, s16
	s_cbranch_execnz .LBB4_8641
.LBB4_8042:                             ;   in Loop: Header=BB4_7456 Depth=3
	s_or_b32 exec_lo, exec_lo, s16
	s_and_saveexec_b32 s16, s23
	s_cbranch_execz .LBB4_8044
.LBB4_8043:                             ;   in Loop: Header=BB4_7456 Depth=3
	v_bfe_u32 v5, v13, 16, 2
	v_bfe_u32 v16, v13, 18, 5
	v_ffbh_u32_e32 v17, v5
	v_cmp_eq_u32_e32 vcc_lo, 0, v16
	v_min_u32_e32 v17, 32, v17
	v_subrev_nc_u32_e32 v18, 29, v17
	v_sub_nc_u32_e32 v17, 30, v17
	v_lshlrev_b32_sdwa v18, v18, v13 dst_sel:DWORD dst_unused:UNUSED_PAD src0_sel:DWORD src1_sel:WORD_1
	v_cndmask_b32_e32 v16, v16, v17, vcc_lo
	v_lshlrev_b32_e32 v17, 8, v13
	v_and_b32_e32 v18, 3, v18
	v_lshl_add_u32 v16, v16, 23, 0x37800000
	v_and_b32_e32 v17, 0x80000000, v17
	v_cndmask_b32_e32 v5, v5, v18, vcc_lo
	v_lshlrev_b32_e32 v5, 21, v5
	v_or3_b32 v5, v17, v16, v5
.LBB4_8044:                             ;   in Loop: Header=BB4_7456 Depth=3
	s_or_b32 exec_lo, exec_lo, s16
	v_add_f32_e32 v4, v4, v5
	v_mov_b32_e32 v110, 0x80
	s_mov_b32 s23, exec_lo
	v_and_b32_e32 v5, 0x7f800000, v4
	v_cmpx_ne_u32_e32 0x7f800000, v5
	s_cbranch_execz .LBB4_8052
; %bb.8045:                             ;   in Loop: Header=BB4_7456 Depth=3
	v_mov_b32_e32 v110, 0
	s_mov_b32 s72, exec_lo
	v_cmpx_ne_u32_e32 0, v4
	s_cbranch_execz .LBB4_8051
; %bb.8046:                             ;   in Loop: Header=BB4_7456 Depth=3
	v_bfe_u32 v16, v4, 23, 8
	v_and_b32_e32 v5, 0x7fffff, v4
	v_cmp_gt_u32_e64 s16, 0x71, v16
	v_sub_nc_u32_e32 v17, 0x70, v16
	v_cmp_eq_u32_e32 vcc_lo, 0, v16
	v_or_b32_e32 v18, 0x800000, v5
	v_cndmask_b32_e64 v17, 0, v17, s16
	v_cndmask_b32_e32 v5, v18, v5, vcc_lo
	v_cndmask_b32_e64 v17, v17, 0x6f, vcc_lo
	v_lshl_add_u32 v18, 0x200000, v17, -1
	v_lshlrev_b32_e64 v19, v17, 0x100000
	v_and_b32_e32 v18, v18, v5
	v_cmp_eq_u32_e64 s16, v18, v19
	v_lshrrev_b32_e32 v18, v17, v5
	v_add_nc_u32_e32 v5, 0xffffff91, v16
	v_lshrrev_b32_e32 v16, 23, v18
	v_cndmask_b32_e64 v5, v5, 0xffffff92, vcc_lo
	v_xor_b32_e32 v16, 1, v16
	v_add_nc_u32_e32 v5, v17, v5
	v_bfe_u32 v17, v18, 21, 1
	v_add_nc_u32_e32 v17, -1, v17
	v_cndmask_b32_e64 v17, 0, v17, s16
	s_mov_b32 s16, exec_lo
	v_add_nc_u32_e32 v17, v17, v18
	v_and_b32_e32 v17, 0x1fffff, v17
	v_add_nc_u32_e32 v17, v17, v18
                                        ; implicit-def: $vgpr18
	v_cmpx_ne_u32_e64 v5, v16
	s_xor_b32 s16, exec_lo, s16
; %bb.8047:                             ;   in Loop: Header=BB4_7456 Depth=3
	v_cmp_lt_u32_e32 vcc_lo, 0xffffff, v17
	v_sub_nc_u32_e32 v5, v5, v16
	v_cndmask_b32_e64 v16, 0, 1, vcc_lo
	v_add_co_ci_u32_e64 v18, null, 0, v5, vcc_lo
	v_lshrrev_b32_e32 v17, v16, v17
; %bb.8048:                             ;   in Loop: Header=BB4_7456 Depth=3
	s_andn2_saveexec_b32 s16, s16
; %bb.8049:                             ;   in Loop: Header=BB4_7456 Depth=3
	v_bfe_u32 v18, v17, 23, 1
; %bb.8050:                             ;   in Loop: Header=BB4_7456 Depth=3
	s_or_b32 exec_lo, exec_lo, s16
	v_lshrrev_b32_e32 v5, 21, v17
	v_min_i32_e32 v16, 31, v18
	v_cmp_gt_i32_e32 vcc_lo, 32, v18
	v_and_b32_sdwa v4, v4, v101 dst_sel:DWORD dst_unused:UNUSED_PAD src0_sel:BYTE_3 src1_sel:DWORD
	v_lshlrev_b32_e32 v16, 2, v16
	v_cndmask_b32_e32 v5, 3, v5, vcc_lo
	v_and_b32_e32 v16, 0xfc, v16
	v_or_b32_e32 v17, v18, v5
	v_and_b32_e32 v5, 3, v5
	v_cmp_ne_u32_e32 vcc_lo, 0, v17
	v_or3_b32 v4, v16, v4, v5
	v_cndmask_b32_e32 v110, 0, v4, vcc_lo
.LBB4_8051:                             ;   in Loop: Header=BB4_7456 Depth=3
	s_or_b32 exec_lo, exec_lo, s72
.LBB4_8052:                             ;   in Loop: Header=BB4_7456 Depth=3
	s_or_b32 exec_lo, exec_lo, s23
	v_cmp_gt_i16_sdwa s16, v1, v100 src0_sel:BYTE_3 src1_sel:DWORD
	s_mov_b32 s23, 0
	s_and_saveexec_b32 s72, s16
	s_xor_b32 s16, exec_lo, s72
	s_cbranch_execz .LBB4_8642
; %bb.8053:                             ;   in Loop: Header=BB4_7456 Depth=3
	v_cmp_eq_u16_sdwa s73, v1, v101 src0_sel:BYTE_3 src1_sel:DWORD
	s_mov_b32 s23, -1
	s_and_saveexec_b32 s72, s73
; %bb.8054:                             ;   in Loop: Header=BB4_7456 Depth=3
	s_xor_b32 s23, exec_lo, -1
; %bb.8055:                             ;   in Loop: Header=BB4_7456 Depth=3
	s_or_b32 exec_lo, exec_lo, s72
	s_and_b32 s23, s23, exec_lo
	s_or_saveexec_b32 s16, s16
	v_mov_b32_e32 v4, 0x7f800001
	s_xor_b32 exec_lo, exec_lo, s16
	s_cbranch_execnz .LBB4_8643
.LBB4_8056:                             ;   in Loop: Header=BB4_7456 Depth=3
	s_or_b32 exec_lo, exec_lo, s16
	s_and_saveexec_b32 s16, s23
	s_cbranch_execz .LBB4_8058
.LBB4_8057:                             ;   in Loop: Header=BB4_7456 Depth=3
	v_bfe_u32 v4, v1, 24, 2
	v_bfe_u32 v17, v1, 26, 5
	v_ffbh_u32_e32 v5, v4
	v_cmp_eq_u32_e32 vcc_lo, 0, v17
	v_min_u32_e32 v5, 32, v5
	v_subrev_nc_u32_e32 v16, 29, v5
	v_sub_nc_u32_e32 v5, 30, v5
	v_lshlrev_b32_sdwa v16, v16, v1 dst_sel:DWORD dst_unused:UNUSED_PAD src0_sel:DWORD src1_sel:BYTE_3
	v_cndmask_b32_e32 v5, v17, v5, vcc_lo
	v_and_b32_e32 v1, 0x80000000, v1
	v_and_b32_e32 v16, 3, v16
	v_lshl_add_u32 v5, v5, 23, 0x37800000
	v_cndmask_b32_e32 v4, v4, v16, vcc_lo
	v_lshlrev_b32_e32 v4, 21, v4
	v_or3_b32 v4, v1, v5, v4
.LBB4_8058:                             ;   in Loop: Header=BB4_7456 Depth=3
	s_or_b32 exec_lo, exec_lo, s16
	v_cmp_gt_i16_sdwa s16, v13, v100 src0_sel:BYTE_3 src1_sel:DWORD
	s_mov_b32 s23, 0
	s_and_saveexec_b32 s72, s16
	s_xor_b32 s16, exec_lo, s72
	s_cbranch_execz .LBB4_8644
; %bb.8059:                             ;   in Loop: Header=BB4_7456 Depth=3
	v_cmp_eq_u16_sdwa s73, v13, v101 src0_sel:BYTE_3 src1_sel:DWORD
	s_mov_b32 s23, -1
	s_and_saveexec_b32 s72, s73
; %bb.8060:                             ;   in Loop: Header=BB4_7456 Depth=3
	s_xor_b32 s23, exec_lo, -1
; %bb.8061:                             ;   in Loop: Header=BB4_7456 Depth=3
	s_or_b32 exec_lo, exec_lo, s72
	s_and_b32 s23, s23, exec_lo
	s_or_saveexec_b32 s16, s16
	v_mov_b32_e32 v1, 0x7f800001
	s_xor_b32 exec_lo, exec_lo, s16
	s_cbranch_execnz .LBB4_8645
.LBB4_8062:                             ;   in Loop: Header=BB4_7456 Depth=3
	s_or_b32 exec_lo, exec_lo, s16
	s_and_saveexec_b32 s16, s23
	s_cbranch_execz .LBB4_8064
.LBB4_8063:                             ;   in Loop: Header=BB4_7456 Depth=3
	v_bfe_u32 v1, v13, 24, 2
	v_bfe_u32 v17, v13, 26, 5
	v_ffbh_u32_e32 v5, v1
	v_cmp_eq_u32_e32 vcc_lo, 0, v17
	v_min_u32_e32 v5, 32, v5
	v_subrev_nc_u32_e32 v16, 29, v5
	v_sub_nc_u32_e32 v5, 30, v5
	v_lshlrev_b32_sdwa v16, v16, v13 dst_sel:DWORD dst_unused:UNUSED_PAD src0_sel:DWORD src1_sel:BYTE_3
	v_cndmask_b32_e32 v5, v17, v5, vcc_lo
	v_and_b32_e32 v13, 0x80000000, v13
	v_and_b32_e32 v16, 3, v16
	v_lshl_add_u32 v5, v5, 23, 0x37800000
	v_cndmask_b32_e32 v1, v1, v16, vcc_lo
	v_lshlrev_b32_e32 v1, 21, v1
	v_or3_b32 v1, v13, v5, v1
.LBB4_8064:                             ;   in Loop: Header=BB4_7456 Depth=3
	s_or_b32 exec_lo, exec_lo, s16
	v_add_f32_e32 v1, v4, v1
	v_mov_b32_e32 v13, 0x8000
	s_mov_b32 s23, exec_lo
	v_and_b32_e32 v4, 0x7f800000, v1
	v_cmpx_ne_u32_e32 0x7f800000, v4
	s_cbranch_execz .LBB4_8072
; %bb.8065:                             ;   in Loop: Header=BB4_7456 Depth=3
	v_mov_b32_e32 v13, 0
	s_mov_b32 s72, exec_lo
	v_cmpx_ne_u32_e32 0, v1
	s_cbranch_execz .LBB4_8071
; %bb.8066:                             ;   in Loop: Header=BB4_7456 Depth=3
	v_bfe_u32 v5, v1, 23, 8
	v_and_b32_e32 v4, 0x7fffff, v1
	v_cmp_gt_u32_e64 s16, 0x71, v5
	v_sub_nc_u32_e32 v13, 0x70, v5
	v_cmp_eq_u32_e32 vcc_lo, 0, v5
	v_or_b32_e32 v16, 0x800000, v4
	v_cndmask_b32_e64 v13, 0, v13, s16
	v_cndmask_b32_e32 v4, v16, v4, vcc_lo
	v_cndmask_b32_e64 v13, v13, 0x6f, vcc_lo
	v_lshl_add_u32 v16, 0x200000, v13, -1
	v_lshlrev_b32_e64 v17, v13, 0x100000
	v_and_b32_e32 v16, v16, v4
	v_cmp_eq_u32_e64 s16, v16, v17
	v_lshrrev_b32_e32 v16, v13, v4
	v_add_nc_u32_e32 v4, 0xffffff91, v5
	v_lshrrev_b32_e32 v5, 23, v16
	v_cndmask_b32_e64 v4, v4, 0xffffff92, vcc_lo
	v_xor_b32_e32 v5, 1, v5
	v_add_nc_u32_e32 v4, v13, v4
	v_bfe_u32 v13, v16, 21, 1
	v_add_nc_u32_e32 v13, -1, v13
	v_cndmask_b32_e64 v13, 0, v13, s16
	s_mov_b32 s16, exec_lo
	v_add_nc_u32_e32 v13, v13, v16
	v_and_b32_e32 v13, 0x1fffff, v13
	v_add_nc_u32_e32 v16, v13, v16
                                        ; implicit-def: $vgpr13
	v_cmpx_ne_u32_e64 v4, v5
	s_xor_b32 s16, exec_lo, s16
; %bb.8067:                             ;   in Loop: Header=BB4_7456 Depth=3
	v_cmp_lt_u32_e32 vcc_lo, 0xffffff, v16
	v_sub_nc_u32_e32 v4, v4, v5
	v_cndmask_b32_e64 v5, 0, 1, vcc_lo
	v_add_co_ci_u32_e64 v13, null, 0, v4, vcc_lo
	v_lshrrev_b32_e32 v16, v5, v16
; %bb.8068:                             ;   in Loop: Header=BB4_7456 Depth=3
	s_andn2_saveexec_b32 s16, s16
; %bb.8069:                             ;   in Loop: Header=BB4_7456 Depth=3
	v_bfe_u32 v13, v16, 23, 1
; %bb.8070:                             ;   in Loop: Header=BB4_7456 Depth=3
	s_or_b32 exec_lo, exec_lo, s16
	v_lshrrev_b32_e32 v4, 21, v16
	v_min_i32_e32 v5, 31, v13
	v_cmp_gt_i32_e32 vcc_lo, 32, v13
	v_and_b32_sdwa v1, v1, v101 dst_sel:DWORD dst_unused:UNUSED_PAD src0_sel:BYTE_3 src1_sel:DWORD
	v_lshlrev_b32_e32 v5, 2, v5
	v_cndmask_b32_e32 v4, 3, v4, vcc_lo
	v_and_b32_e32 v5, 0xfc, v5
	v_and_b32_e32 v16, 3, v4
	v_or_b32_e32 v4, v13, v4
	v_or3_b32 v1, v1, v5, v16
	v_cmp_ne_u32_e32 vcc_lo, 0, v4
	v_lshlrev_b32_e32 v1, 8, v1
	v_cndmask_b32_e32 v13, 0, v1, vcc_lo
.LBB4_8071:                             ;   in Loop: Header=BB4_7456 Depth=3
	s_or_b32 exec_lo, exec_lo, s72
.LBB4_8072:                             ;   in Loop: Header=BB4_7456 Depth=3
	s_or_b32 exec_lo, exec_lo, s23
	v_or_b32_e32 v1, v121, v120
	s_mov_b32 s16, 0
	v_cmp_gt_i16_sdwa s23, v1, v100 src0_sel:BYTE_0 src1_sel:DWORD
	s_and_saveexec_b32 s72, s23
	s_xor_b32 s23, exec_lo, s72
	s_cbranch_execz .LBB4_8646
; %bb.8073:                             ;   in Loop: Header=BB4_7456 Depth=3
	v_cmp_eq_u16_sdwa s73, v1, v101 src0_sel:BYTE_0 src1_sel:DWORD
	s_mov_b32 s16, -1
	s_and_saveexec_b32 s72, s73
; %bb.8074:                             ;   in Loop: Header=BB4_7456 Depth=3
	s_xor_b32 s16, exec_lo, -1
; %bb.8075:                             ;   in Loop: Header=BB4_7456 Depth=3
	s_or_b32 exec_lo, exec_lo, s72
	s_and_b32 s16, s16, exec_lo
	s_or_saveexec_b32 s23, s23
	v_mov_b32_e32 v4, 0x7f800001
	s_xor_b32 exec_lo, exec_lo, s23
	s_cbranch_execnz .LBB4_8647
.LBB4_8076:                             ;   in Loop: Header=BB4_7456 Depth=3
	s_or_b32 exec_lo, exec_lo, s23
	s_and_saveexec_b32 s23, s16
	s_cbranch_execz .LBB4_8078
.LBB4_8077:                             ;   in Loop: Header=BB4_7456 Depth=3
	v_and_b32_e32 v4, 3, v1
	v_bfe_u32 v17, v1, 2, 5
	v_lshlrev_b32_e32 v18, 24, v1
	v_ffbh_u32_e32 v5, v4
	v_cmp_eq_u32_e32 vcc_lo, 0, v17
	v_min_u32_e32 v5, 32, v5
	v_subrev_nc_u32_e32 v16, 29, v5
	v_sub_nc_u32_e32 v5, 30, v5
	v_lshlrev_b32_e32 v16, v16, v1
	v_cndmask_b32_e32 v5, v17, v5, vcc_lo
	v_and_b32_e32 v16, 3, v16
	v_lshl_add_u32 v5, v5, 23, 0x37800000
	v_cndmask_b32_e32 v4, v4, v16, vcc_lo
	v_and_b32_e32 v16, 0x80000000, v18
	v_lshlrev_b32_e32 v4, 21, v4
	v_or3_b32 v4, v16, v5, v4
.LBB4_8078:                             ;   in Loop: Header=BB4_7456 Depth=3
	s_or_b32 exec_lo, exec_lo, s23
	v_cmp_gt_i16_sdwa s16, v14, v100 src0_sel:BYTE_0 src1_sel:DWORD
	s_mov_b32 s23, 0
	s_and_saveexec_b32 s72, s16
	s_xor_b32 s16, exec_lo, s72
	s_cbranch_execz .LBB4_8648
; %bb.8079:                             ;   in Loop: Header=BB4_7456 Depth=3
	v_cmp_eq_u16_sdwa s73, v14, v101 src0_sel:BYTE_0 src1_sel:DWORD
	s_mov_b32 s23, -1
	s_and_saveexec_b32 s72, s73
; %bb.8080:                             ;   in Loop: Header=BB4_7456 Depth=3
	s_xor_b32 s23, exec_lo, -1
; %bb.8081:                             ;   in Loop: Header=BB4_7456 Depth=3
	s_or_b32 exec_lo, exec_lo, s72
	s_and_b32 s23, s23, exec_lo
	s_or_saveexec_b32 s16, s16
	v_mov_b32_e32 v5, 0x7f800001
	s_xor_b32 exec_lo, exec_lo, s16
	s_cbranch_execnz .LBB4_8649
.LBB4_8082:                             ;   in Loop: Header=BB4_7456 Depth=3
	s_or_b32 exec_lo, exec_lo, s16
	s_and_saveexec_b32 s16, s23
	s_cbranch_execz .LBB4_8084
.LBB4_8083:                             ;   in Loop: Header=BB4_7456 Depth=3
	v_and_b32_e32 v5, 3, v14
	v_bfe_u32 v16, v14, 2, 5
	v_ffbh_u32_e32 v17, v5
	v_cmp_eq_u32_e32 vcc_lo, 0, v16
	v_min_u32_e32 v17, 32, v17
	v_subrev_nc_u32_e32 v18, 29, v17
	v_sub_nc_u32_e32 v17, 30, v17
	v_lshlrev_b32_e32 v18, v18, v14
	v_cndmask_b32_e32 v16, v16, v17, vcc_lo
	v_lshlrev_b32_e32 v17, 24, v14
	v_and_b32_e32 v18, 3, v18
	v_lshl_add_u32 v16, v16, 23, 0x37800000
	v_and_b32_e32 v17, 0x80000000, v17
	v_cndmask_b32_e32 v5, v5, v18, vcc_lo
	v_lshlrev_b32_e32 v5, 21, v5
	v_or3_b32 v5, v17, v16, v5
.LBB4_8084:                             ;   in Loop: Header=BB4_7456 Depth=3
	s_or_b32 exec_lo, exec_lo, s16
	v_add_f32_e32 v4, v4, v5
	v_mov_b32_e32 v120, 0x80
	s_mov_b32 s23, exec_lo
	v_and_b32_e32 v5, 0x7f800000, v4
	v_cmpx_ne_u32_e32 0x7f800000, v5
	s_cbranch_execz .LBB4_8092
; %bb.8085:                             ;   in Loop: Header=BB4_7456 Depth=3
	v_mov_b32_e32 v120, 0
	s_mov_b32 s72, exec_lo
	v_cmpx_ne_u32_e32 0, v4
	s_cbranch_execz .LBB4_8091
; %bb.8086:                             ;   in Loop: Header=BB4_7456 Depth=3
	v_bfe_u32 v16, v4, 23, 8
	v_and_b32_e32 v5, 0x7fffff, v4
	v_cmp_gt_u32_e64 s16, 0x71, v16
	v_sub_nc_u32_e32 v17, 0x70, v16
	v_cmp_eq_u32_e32 vcc_lo, 0, v16
	v_or_b32_e32 v18, 0x800000, v5
	v_cndmask_b32_e64 v17, 0, v17, s16
	v_cndmask_b32_e32 v5, v18, v5, vcc_lo
	v_cndmask_b32_e64 v17, v17, 0x6f, vcc_lo
	v_lshl_add_u32 v18, 0x200000, v17, -1
	v_lshlrev_b32_e64 v19, v17, 0x100000
	v_and_b32_e32 v18, v18, v5
	v_cmp_eq_u32_e64 s16, v18, v19
	v_lshrrev_b32_e32 v18, v17, v5
	v_add_nc_u32_e32 v5, 0xffffff91, v16
	v_lshrrev_b32_e32 v16, 23, v18
	v_cndmask_b32_e64 v5, v5, 0xffffff92, vcc_lo
	v_xor_b32_e32 v16, 1, v16
	v_add_nc_u32_e32 v5, v17, v5
	v_bfe_u32 v17, v18, 21, 1
	v_add_nc_u32_e32 v17, -1, v17
	v_cndmask_b32_e64 v17, 0, v17, s16
	s_mov_b32 s16, exec_lo
	v_add_nc_u32_e32 v17, v17, v18
	v_and_b32_e32 v17, 0x1fffff, v17
	v_add_nc_u32_e32 v18, v17, v18
                                        ; implicit-def: $vgpr17
	v_cmpx_ne_u32_e64 v5, v16
	s_xor_b32 s16, exec_lo, s16
; %bb.8087:                             ;   in Loop: Header=BB4_7456 Depth=3
	v_cmp_lt_u32_e32 vcc_lo, 0xffffff, v18
	v_sub_nc_u32_e32 v5, v5, v16
	v_cndmask_b32_e64 v16, 0, 1, vcc_lo
	v_add_co_ci_u32_e64 v17, null, 0, v5, vcc_lo
	v_lshrrev_b32_e32 v18, v16, v18
; %bb.8088:                             ;   in Loop: Header=BB4_7456 Depth=3
	s_andn2_saveexec_b32 s16, s16
; %bb.8089:                             ;   in Loop: Header=BB4_7456 Depth=3
	v_bfe_u32 v17, v18, 23, 1
; %bb.8090:                             ;   in Loop: Header=BB4_7456 Depth=3
	s_or_b32 exec_lo, exec_lo, s16
	v_lshrrev_b32_e32 v5, 21, v18
	v_min_i32_e32 v16, 31, v17
	v_cmp_gt_i32_e32 vcc_lo, 32, v17
	v_and_b32_sdwa v4, v4, v101 dst_sel:DWORD dst_unused:UNUSED_PAD src0_sel:BYTE_3 src1_sel:DWORD
	v_lshlrev_b32_e32 v16, 2, v16
	v_cndmask_b32_e32 v5, 3, v5, vcc_lo
	v_and_b32_e32 v16, 0xfc, v16
	v_and_b32_e32 v18, 3, v5
	v_or_b32_e32 v5, v17, v5
	v_or3_b32 v4, v16, v4, v18
	v_cmp_ne_u32_e32 vcc_lo, 0, v5
	v_cndmask_b32_e32 v120, 0, v4, vcc_lo
.LBB4_8091:                             ;   in Loop: Header=BB4_7456 Depth=3
	s_or_b32 exec_lo, exec_lo, s72
.LBB4_8092:                             ;   in Loop: Header=BB4_7456 Depth=3
	s_or_b32 exec_lo, exec_lo, s23
	v_cmp_gt_i16_sdwa s16, v1, v100 src0_sel:BYTE_1 src1_sel:DWORD
	s_mov_b32 s23, 0
	s_and_saveexec_b32 s72, s16
	s_xor_b32 s16, exec_lo, s72
	s_cbranch_execz .LBB4_8650
; %bb.8093:                             ;   in Loop: Header=BB4_7456 Depth=3
	v_cmp_eq_u16_sdwa s73, v1, v101 src0_sel:BYTE_1 src1_sel:DWORD
	s_mov_b32 s23, -1
	s_and_saveexec_b32 s72, s73
; %bb.8094:                             ;   in Loop: Header=BB4_7456 Depth=3
	s_xor_b32 s23, exec_lo, -1
; %bb.8095:                             ;   in Loop: Header=BB4_7456 Depth=3
	s_or_b32 exec_lo, exec_lo, s72
	s_and_b32 s23, s23, exec_lo
	s_or_saveexec_b32 s16, s16
	v_mov_b32_e32 v4, 0x7f800001
	s_xor_b32 exec_lo, exec_lo, s16
	s_cbranch_execnz .LBB4_8651
.LBB4_8096:                             ;   in Loop: Header=BB4_7456 Depth=3
	s_or_b32 exec_lo, exec_lo, s16
	s_and_saveexec_b32 s16, s23
	s_cbranch_execz .LBB4_8098
.LBB4_8097:                             ;   in Loop: Header=BB4_7456 Depth=3
	v_and_b32_sdwa v4, v102, v1 dst_sel:DWORD dst_unused:UNUSED_PAD src0_sel:DWORD src1_sel:BYTE_1
	v_and_b32_e32 v5, 3, v4
	v_bfe_u32 v18, v4, 2, 5
	v_ffbh_u32_e32 v16, v5
	v_cmp_eq_u32_e32 vcc_lo, 0, v18
	v_min_u32_e32 v16, 32, v16
	v_subrev_nc_u32_e32 v17, 29, v16
	v_sub_nc_u32_e32 v16, 30, v16
	v_lshlrev_b32_e32 v4, v17, v4
	v_lshlrev_b32_sdwa v17, v103, v1 dst_sel:DWORD dst_unused:UNUSED_PAD src0_sel:DWORD src1_sel:BYTE_1
	v_cndmask_b32_e32 v16, v18, v16, vcc_lo
	v_and_b32_e32 v4, 3, v4
	v_lshl_add_u32 v16, v16, 23, 0x37800000
	v_cndmask_b32_e32 v4, v5, v4, vcc_lo
	v_and_b32_e32 v5, 0x80000000, v17
	v_lshlrev_b32_e32 v4, 21, v4
	v_or3_b32 v4, v5, v16, v4
.LBB4_8098:                             ;   in Loop: Header=BB4_7456 Depth=3
	s_or_b32 exec_lo, exec_lo, s16
	v_cmp_gt_i16_sdwa s16, v14, v100 src0_sel:BYTE_1 src1_sel:DWORD
	s_mov_b32 s23, 0
	s_and_saveexec_b32 s72, s16
	s_xor_b32 s16, exec_lo, s72
	s_cbranch_execz .LBB4_8652
; %bb.8099:                             ;   in Loop: Header=BB4_7456 Depth=3
	v_cmp_eq_u16_sdwa s73, v14, v101 src0_sel:BYTE_1 src1_sel:DWORD
	s_mov_b32 s23, -1
	s_and_saveexec_b32 s72, s73
; %bb.8100:                             ;   in Loop: Header=BB4_7456 Depth=3
	s_xor_b32 s23, exec_lo, -1
; %bb.8101:                             ;   in Loop: Header=BB4_7456 Depth=3
	s_or_b32 exec_lo, exec_lo, s72
	s_and_b32 s23, s23, exec_lo
	s_or_saveexec_b32 s16, s16
	v_mov_b32_e32 v5, 0x7f800001
	s_xor_b32 exec_lo, exec_lo, s16
	s_cbranch_execnz .LBB4_8653
.LBB4_8102:                             ;   in Loop: Header=BB4_7456 Depth=3
	s_or_b32 exec_lo, exec_lo, s16
	s_and_saveexec_b32 s16, s23
	s_cbranch_execz .LBB4_8104
.LBB4_8103:                             ;   in Loop: Header=BB4_7456 Depth=3
	v_and_b32_sdwa v5, v102, v14 dst_sel:DWORD dst_unused:UNUSED_PAD src0_sel:DWORD src1_sel:BYTE_1
	v_and_b32_e32 v16, 3, v5
	v_bfe_u32 v19, v5, 2, 5
	v_ffbh_u32_e32 v17, v16
	v_cmp_eq_u32_e32 vcc_lo, 0, v19
	v_min_u32_e32 v17, 32, v17
	v_subrev_nc_u32_e32 v18, 29, v17
	v_sub_nc_u32_e32 v17, 30, v17
	v_lshlrev_b32_e32 v5, v18, v5
	v_lshlrev_b32_sdwa v18, v103, v14 dst_sel:DWORD dst_unused:UNUSED_PAD src0_sel:DWORD src1_sel:BYTE_1
	v_cndmask_b32_e32 v17, v19, v17, vcc_lo
	v_and_b32_e32 v5, 3, v5
	v_lshl_add_u32 v17, v17, 23, 0x37800000
	v_cndmask_b32_e32 v5, v16, v5, vcc_lo
	v_and_b32_e32 v16, 0x80000000, v18
	v_lshlrev_b32_e32 v5, 21, v5
	v_or3_b32 v5, v16, v17, v5
.LBB4_8104:                             ;   in Loop: Header=BB4_7456 Depth=3
	s_or_b32 exec_lo, exec_lo, s16
	v_add_f32_e32 v4, v4, v5
	v_mov_b32_e32 v18, 0x8000
	s_mov_b32 s23, exec_lo
	v_and_b32_e32 v5, 0x7f800000, v4
	v_cmpx_ne_u32_e32 0x7f800000, v5
	s_cbranch_execz .LBB4_8112
; %bb.8105:                             ;   in Loop: Header=BB4_7456 Depth=3
	v_mov_b32_e32 v18, 0
	s_mov_b32 s72, exec_lo
	v_cmpx_ne_u32_e32 0, v4
	s_cbranch_execz .LBB4_8111
; %bb.8106:                             ;   in Loop: Header=BB4_7456 Depth=3
	v_bfe_u32 v16, v4, 23, 8
	v_and_b32_e32 v5, 0x7fffff, v4
	v_cmp_gt_u32_e64 s16, 0x71, v16
	v_sub_nc_u32_e32 v17, 0x70, v16
	v_cmp_eq_u32_e32 vcc_lo, 0, v16
	v_or_b32_e32 v18, 0x800000, v5
	v_cndmask_b32_e64 v17, 0, v17, s16
	v_cndmask_b32_e32 v5, v18, v5, vcc_lo
	v_cndmask_b32_e64 v17, v17, 0x6f, vcc_lo
	v_lshl_add_u32 v18, 0x200000, v17, -1
	v_lshlrev_b32_e64 v19, v17, 0x100000
	v_and_b32_e32 v18, v18, v5
	v_cmp_eq_u32_e64 s16, v18, v19
	v_lshrrev_b32_e32 v18, v17, v5
	v_add_nc_u32_e32 v5, 0xffffff91, v16
	v_lshrrev_b32_e32 v16, 23, v18
	v_cndmask_b32_e64 v5, v5, 0xffffff92, vcc_lo
	v_xor_b32_e32 v16, 1, v16
	v_add_nc_u32_e32 v5, v17, v5
	v_bfe_u32 v17, v18, 21, 1
	v_add_nc_u32_e32 v17, -1, v17
	v_cndmask_b32_e64 v17, 0, v17, s16
	s_mov_b32 s16, exec_lo
	v_add_nc_u32_e32 v17, v17, v18
	v_and_b32_e32 v17, 0x1fffff, v17
	v_add_nc_u32_e32 v17, v17, v18
                                        ; implicit-def: $vgpr18
	v_cmpx_ne_u32_e64 v5, v16
	s_xor_b32 s16, exec_lo, s16
; %bb.8107:                             ;   in Loop: Header=BB4_7456 Depth=3
	v_cmp_lt_u32_e32 vcc_lo, 0xffffff, v17
	v_sub_nc_u32_e32 v5, v5, v16
	v_cndmask_b32_e64 v16, 0, 1, vcc_lo
	v_add_co_ci_u32_e64 v18, null, 0, v5, vcc_lo
	v_lshrrev_b32_e32 v17, v16, v17
; %bb.8108:                             ;   in Loop: Header=BB4_7456 Depth=3
	s_andn2_saveexec_b32 s16, s16
; %bb.8109:                             ;   in Loop: Header=BB4_7456 Depth=3
	v_bfe_u32 v18, v17, 23, 1
; %bb.8110:                             ;   in Loop: Header=BB4_7456 Depth=3
	s_or_b32 exec_lo, exec_lo, s16
	v_lshrrev_b32_e32 v5, 21, v17
	v_min_i32_e32 v16, 31, v18
	v_cmp_gt_i32_e32 vcc_lo, 32, v18
	v_and_b32_sdwa v4, v4, v101 dst_sel:DWORD dst_unused:UNUSED_PAD src0_sel:BYTE_3 src1_sel:DWORD
	v_lshlrev_b32_e32 v16, 2, v16
	v_cndmask_b32_e32 v5, 3, v5, vcc_lo
	v_and_b32_e32 v16, 0xfc, v16
	v_or_b32_e32 v17, v18, v5
	v_and_b32_e32 v5, 3, v5
	v_cmp_ne_u32_e32 vcc_lo, 0, v17
	v_or3_b32 v4, v4, v16, v5
	v_lshlrev_b32_e32 v4, 8, v4
	v_cndmask_b32_e32 v18, 0, v4, vcc_lo
.LBB4_8111:                             ;   in Loop: Header=BB4_7456 Depth=3
	s_or_b32 exec_lo, exec_lo, s72
.LBB4_8112:                             ;   in Loop: Header=BB4_7456 Depth=3
	s_or_b32 exec_lo, exec_lo, s23
	v_or_b32_e32 v5, v111, v109
	s_mov_b32 s16, 0
	v_cmp_gt_i16_sdwa s23, v5, v100 src0_sel:BYTE_0 src1_sel:DWORD
	s_and_saveexec_b32 s72, s23
	s_xor_b32 s23, exec_lo, s72
	s_cbranch_execz .LBB4_8654
; %bb.8113:                             ;   in Loop: Header=BB4_7456 Depth=3
	v_cmp_eq_u16_sdwa s73, v5, v101 src0_sel:BYTE_0 src1_sel:DWORD
	s_mov_b32 s16, -1
	s_and_saveexec_b32 s72, s73
; %bb.8114:                             ;   in Loop: Header=BB4_7456 Depth=3
	s_xor_b32 s16, exec_lo, -1
; %bb.8115:                             ;   in Loop: Header=BB4_7456 Depth=3
	s_or_b32 exec_lo, exec_lo, s72
	s_and_b32 s16, s16, exec_lo
	s_or_saveexec_b32 s23, s23
	v_mov_b32_e32 v4, 0x7f800001
	s_xor_b32 exec_lo, exec_lo, s23
	s_cbranch_execnz .LBB4_8655
.LBB4_8116:                             ;   in Loop: Header=BB4_7456 Depth=3
	s_or_b32 exec_lo, exec_lo, s23
	v_lshl_or_b32 v1, v5, 16, v1
	s_and_saveexec_b32 s23, s16
	s_cbranch_execz .LBB4_8118
.LBB4_8117:                             ;   in Loop: Header=BB4_7456 Depth=3
	v_bfe_u32 v4, v1, 16, 2
	v_bfe_u32 v17, v1, 18, 5
	v_lshlrev_b32_e32 v19, 8, v1
	v_ffbh_u32_e32 v5, v4
	v_cmp_eq_u32_e32 vcc_lo, 0, v17
	v_min_u32_e32 v5, 32, v5
	v_subrev_nc_u32_e32 v16, 29, v5
	v_sub_nc_u32_e32 v5, 30, v5
	v_lshlrev_b32_sdwa v16, v16, v1 dst_sel:DWORD dst_unused:UNUSED_PAD src0_sel:DWORD src1_sel:WORD_1
	v_cndmask_b32_e32 v5, v17, v5, vcc_lo
	v_and_b32_e32 v16, 3, v16
	v_lshl_add_u32 v5, v5, 23, 0x37800000
	v_cndmask_b32_e32 v4, v4, v16, vcc_lo
	v_and_b32_e32 v16, 0x80000000, v19
	v_lshlrev_b32_e32 v4, 21, v4
	v_or3_b32 v4, v16, v5, v4
.LBB4_8118:                             ;   in Loop: Header=BB4_7456 Depth=3
	s_or_b32 exec_lo, exec_lo, s23
	v_and_b32_sdwa v16, v14, v112 dst_sel:DWORD dst_unused:UNUSED_PAD src0_sel:WORD_1 src1_sel:DWORD
	s_mov_b32 s23, 0
	s_mov_b32 s16, exec_lo
	v_cmpx_lt_i16_e32 0x7f, v16
	s_xor_b32 s16, exec_lo, s16
	s_cbranch_execz .LBB4_8656
; %bb.8119:                             ;   in Loop: Header=BB4_7456 Depth=3
	s_mov_b32 s23, -1
	s_mov_b32 s72, exec_lo
	v_cmpx_eq_u16_e32 0x80, v16
; %bb.8120:                             ;   in Loop: Header=BB4_7456 Depth=3
	s_xor_b32 s23, exec_lo, -1
; %bb.8121:                             ;   in Loop: Header=BB4_7456 Depth=3
	s_or_b32 exec_lo, exec_lo, s72
	s_and_b32 s23, s23, exec_lo
                                        ; implicit-def: $vgpr16
	s_or_saveexec_b32 s16, s16
	v_mov_b32_e32 v5, 0x7f800001
	s_xor_b32 exec_lo, exec_lo, s16
	s_cbranch_execnz .LBB4_8657
.LBB4_8122:                             ;   in Loop: Header=BB4_7456 Depth=3
	s_or_b32 exec_lo, exec_lo, s16
	s_and_saveexec_b32 s16, s23
	s_cbranch_execz .LBB4_8124
.LBB4_8123:                             ;   in Loop: Header=BB4_7456 Depth=3
	v_bfe_u32 v5, v14, 16, 2
	v_bfe_u32 v16, v14, 18, 5
	v_ffbh_u32_e32 v17, v5
	v_cmp_eq_u32_e32 vcc_lo, 0, v16
	v_min_u32_e32 v17, 32, v17
	v_subrev_nc_u32_e32 v19, 29, v17
	v_sub_nc_u32_e32 v17, 30, v17
	v_lshlrev_b32_sdwa v19, v19, v14 dst_sel:DWORD dst_unused:UNUSED_PAD src0_sel:DWORD src1_sel:WORD_1
	v_cndmask_b32_e32 v16, v16, v17, vcc_lo
	v_lshlrev_b32_e32 v17, 8, v14
	v_and_b32_e32 v19, 3, v19
	v_lshl_add_u32 v16, v16, 23, 0x37800000
	v_and_b32_e32 v17, 0x80000000, v17
	v_cndmask_b32_e32 v5, v5, v19, vcc_lo
	v_lshlrev_b32_e32 v5, 21, v5
	v_or3_b32 v5, v17, v16, v5
.LBB4_8124:                             ;   in Loop: Header=BB4_7456 Depth=3
	s_or_b32 exec_lo, exec_lo, s16
	v_add_f32_e32 v4, v4, v5
	v_mov_b32_e32 v19, 0x80
	s_mov_b32 s23, exec_lo
	v_and_b32_e32 v5, 0x7f800000, v4
	v_cmpx_ne_u32_e32 0x7f800000, v5
	s_cbranch_execz .LBB4_8132
; %bb.8125:                             ;   in Loop: Header=BB4_7456 Depth=3
	v_mov_b32_e32 v19, 0
	s_mov_b32 s72, exec_lo
	v_cmpx_ne_u32_e32 0, v4
	s_cbranch_execz .LBB4_8131
; %bb.8126:                             ;   in Loop: Header=BB4_7456 Depth=3
	v_bfe_u32 v16, v4, 23, 8
	v_and_b32_e32 v5, 0x7fffff, v4
	v_cmp_gt_u32_e64 s16, 0x71, v16
	v_sub_nc_u32_e32 v17, 0x70, v16
	v_cmp_eq_u32_e32 vcc_lo, 0, v16
	v_or_b32_e32 v19, 0x800000, v5
	v_cndmask_b32_e64 v17, 0, v17, s16
	v_cndmask_b32_e32 v5, v19, v5, vcc_lo
	v_cndmask_b32_e64 v17, v17, 0x6f, vcc_lo
	v_lshl_add_u32 v19, 0x200000, v17, -1
	v_lshlrev_b32_e64 v20, v17, 0x100000
	v_and_b32_e32 v19, v19, v5
	v_cmp_eq_u32_e64 s16, v19, v20
	v_lshrrev_b32_e32 v19, v17, v5
	v_add_nc_u32_e32 v5, 0xffffff91, v16
	v_lshrrev_b32_e32 v16, 23, v19
	v_cndmask_b32_e64 v5, v5, 0xffffff92, vcc_lo
	v_xor_b32_e32 v16, 1, v16
	v_add_nc_u32_e32 v5, v17, v5
	v_bfe_u32 v17, v19, 21, 1
	v_add_nc_u32_e32 v17, -1, v17
	v_cndmask_b32_e64 v17, 0, v17, s16
	s_mov_b32 s16, exec_lo
	v_add_nc_u32_e32 v17, v17, v19
	v_and_b32_e32 v17, 0x1fffff, v17
	v_add_nc_u32_e32 v19, v17, v19
                                        ; implicit-def: $vgpr17
	v_cmpx_ne_u32_e64 v5, v16
	s_xor_b32 s16, exec_lo, s16
; %bb.8127:                             ;   in Loop: Header=BB4_7456 Depth=3
	v_cmp_lt_u32_e32 vcc_lo, 0xffffff, v19
	v_sub_nc_u32_e32 v5, v5, v16
	v_cndmask_b32_e64 v16, 0, 1, vcc_lo
	v_add_co_ci_u32_e64 v17, null, 0, v5, vcc_lo
	v_lshrrev_b32_e32 v19, v16, v19
; %bb.8128:                             ;   in Loop: Header=BB4_7456 Depth=3
	s_andn2_saveexec_b32 s16, s16
; %bb.8129:                             ;   in Loop: Header=BB4_7456 Depth=3
	v_bfe_u32 v17, v19, 23, 1
; %bb.8130:                             ;   in Loop: Header=BB4_7456 Depth=3
	s_or_b32 exec_lo, exec_lo, s16
	v_lshrrev_b32_e32 v5, 21, v19
	v_min_i32_e32 v16, 31, v17
	v_cmp_gt_i32_e32 vcc_lo, 32, v17
	v_and_b32_sdwa v4, v4, v101 dst_sel:DWORD dst_unused:UNUSED_PAD src0_sel:BYTE_3 src1_sel:DWORD
	v_lshlrev_b32_e32 v16, 2, v16
	v_cndmask_b32_e32 v5, 3, v5, vcc_lo
	v_and_b32_e32 v16, 0xfc, v16
	v_and_b32_e32 v19, 3, v5
	v_or_b32_e32 v5, v17, v5
	v_or3_b32 v4, v16, v4, v19
	v_cmp_ne_u32_e32 vcc_lo, 0, v5
	v_cndmask_b32_e32 v19, 0, v4, vcc_lo
.LBB4_8131:                             ;   in Loop: Header=BB4_7456 Depth=3
	s_or_b32 exec_lo, exec_lo, s72
.LBB4_8132:                             ;   in Loop: Header=BB4_7456 Depth=3
	s_or_b32 exec_lo, exec_lo, s23
	v_cmp_gt_i16_sdwa s23, v1, v100 src0_sel:BYTE_3 src1_sel:DWORD
	s_mov_b32 s16, 0
	s_and_saveexec_b32 s72, s23
	s_xor_b32 s23, exec_lo, s72
	s_cbranch_execz .LBB4_8658
; %bb.8133:                             ;   in Loop: Header=BB4_7456 Depth=3
	v_cmp_eq_u16_sdwa s73, v1, v101 src0_sel:BYTE_3 src1_sel:DWORD
	s_mov_b32 s16, -1
	s_and_saveexec_b32 s72, s73
; %bb.8134:                             ;   in Loop: Header=BB4_7456 Depth=3
	s_xor_b32 s16, exec_lo, -1
; %bb.8135:                             ;   in Loop: Header=BB4_7456 Depth=3
	s_or_b32 exec_lo, exec_lo, s72
	s_and_b32 s16, s16, exec_lo
	s_or_saveexec_b32 s23, s23
	v_mov_b32_e32 v4, 0x7f800001
	s_xor_b32 exec_lo, exec_lo, s23
	s_cbranch_execnz .LBB4_8659
.LBB4_8136:                             ;   in Loop: Header=BB4_7456 Depth=3
	s_or_b32 exec_lo, exec_lo, s23
	s_and_saveexec_b32 s23, s16
	s_cbranch_execz .LBB4_8138
.LBB4_8137:                             ;   in Loop: Header=BB4_7456 Depth=3
	v_bfe_u32 v4, v1, 24, 2
	v_bfe_u32 v17, v1, 26, 5
	v_ffbh_u32_e32 v5, v4
	v_cmp_eq_u32_e32 vcc_lo, 0, v17
	v_min_u32_e32 v5, 32, v5
	v_subrev_nc_u32_e32 v16, 29, v5
	v_sub_nc_u32_e32 v5, 30, v5
	v_lshlrev_b32_sdwa v16, v16, v1 dst_sel:DWORD dst_unused:UNUSED_PAD src0_sel:DWORD src1_sel:BYTE_3
	v_cndmask_b32_e32 v5, v17, v5, vcc_lo
	v_and_b32_e32 v1, 0x80000000, v1
	v_and_b32_e32 v16, 3, v16
	v_lshl_add_u32 v5, v5, 23, 0x37800000
	v_cndmask_b32_e32 v4, v4, v16, vcc_lo
	v_lshlrev_b32_e32 v4, 21, v4
	v_or3_b32 v4, v1, v5, v4
.LBB4_8138:                             ;   in Loop: Header=BB4_7456 Depth=3
	s_or_b32 exec_lo, exec_lo, s23
	v_cmp_gt_i16_sdwa s23, v14, v100 src0_sel:BYTE_3 src1_sel:DWORD
	s_mov_b32 s16, 0
	s_and_saveexec_b32 s72, s23
	s_xor_b32 s23, exec_lo, s72
	s_cbranch_execz .LBB4_8660
; %bb.8139:                             ;   in Loop: Header=BB4_7456 Depth=3
	v_cmp_eq_u16_sdwa s73, v14, v101 src0_sel:BYTE_3 src1_sel:DWORD
	s_mov_b32 s16, -1
	s_and_saveexec_b32 s72, s73
; %bb.8140:                             ;   in Loop: Header=BB4_7456 Depth=3
	s_xor_b32 s16, exec_lo, -1
; %bb.8141:                             ;   in Loop: Header=BB4_7456 Depth=3
	s_or_b32 exec_lo, exec_lo, s72
	s_and_b32 s16, s16, exec_lo
	s_or_saveexec_b32 s23, s23
	v_mov_b32_e32 v1, 0x7f800001
	s_xor_b32 exec_lo, exec_lo, s23
	s_cbranch_execnz .LBB4_8661
.LBB4_8142:                             ;   in Loop: Header=BB4_7456 Depth=3
	s_or_b32 exec_lo, exec_lo, s23
	s_and_saveexec_b32 s23, s16
	s_cbranch_execz .LBB4_8144
.LBB4_8143:                             ;   in Loop: Header=BB4_7456 Depth=3
	v_bfe_u32 v1, v14, 24, 2
	v_bfe_u32 v17, v14, 26, 5
	v_ffbh_u32_e32 v5, v1
	v_cmp_eq_u32_e32 vcc_lo, 0, v17
	v_min_u32_e32 v5, 32, v5
	v_subrev_nc_u32_e32 v16, 29, v5
	v_sub_nc_u32_e32 v5, 30, v5
	v_lshlrev_b32_sdwa v16, v16, v14 dst_sel:DWORD dst_unused:UNUSED_PAD src0_sel:DWORD src1_sel:BYTE_3
	v_cndmask_b32_e32 v5, v17, v5, vcc_lo
	v_and_b32_e32 v14, 0x80000000, v14
	v_and_b32_e32 v16, 3, v16
	v_lshl_add_u32 v5, v5, 23, 0x37800000
	v_cndmask_b32_e32 v1, v1, v16, vcc_lo
	v_lshlrev_b32_e32 v1, 21, v1
	v_or3_b32 v1, v14, v5, v1
.LBB4_8144:                             ;   in Loop: Header=BB4_7456 Depth=3
	s_or_b32 exec_lo, exec_lo, s23
	v_add_f32_e32 v1, v4, v1
	v_mov_b32_e32 v14, 0x8000
	s_mov_b32 s23, exec_lo
	v_and_b32_e32 v4, 0x7f800000, v1
	v_cmpx_ne_u32_e32 0x7f800000, v4
	s_cbranch_execz .LBB4_8152
; %bb.8145:                             ;   in Loop: Header=BB4_7456 Depth=3
	v_mov_b32_e32 v14, 0
	s_mov_b32 s72, exec_lo
	v_cmpx_ne_u32_e32 0, v1
	s_cbranch_execz .LBB4_8151
; %bb.8146:                             ;   in Loop: Header=BB4_7456 Depth=3
	v_bfe_u32 v5, v1, 23, 8
	v_and_b32_e32 v4, 0x7fffff, v1
	v_cmp_gt_u32_e64 s16, 0x71, v5
	v_sub_nc_u32_e32 v14, 0x70, v5
	v_cmp_eq_u32_e32 vcc_lo, 0, v5
	v_or_b32_e32 v16, 0x800000, v4
	v_cndmask_b32_e64 v14, 0, v14, s16
	v_cndmask_b32_e32 v4, v16, v4, vcc_lo
	v_cndmask_b32_e64 v14, v14, 0x6f, vcc_lo
	v_lshl_add_u32 v16, 0x200000, v14, -1
	v_lshlrev_b32_e64 v17, v14, 0x100000
	v_and_b32_e32 v16, v16, v4
	v_cmp_eq_u32_e64 s16, v16, v17
	v_lshrrev_b32_e32 v16, v14, v4
	v_add_nc_u32_e32 v4, 0xffffff91, v5
	v_lshrrev_b32_e32 v5, 23, v16
	v_cndmask_b32_e64 v4, v4, 0xffffff92, vcc_lo
	v_xor_b32_e32 v5, 1, v5
	v_add_nc_u32_e32 v4, v14, v4
	v_bfe_u32 v14, v16, 21, 1
	v_add_nc_u32_e32 v14, -1, v14
	v_cndmask_b32_e64 v14, 0, v14, s16
	s_mov_b32 s16, exec_lo
	v_add_nc_u32_e32 v14, v14, v16
	v_and_b32_e32 v14, 0x1fffff, v14
	v_add_nc_u32_e32 v16, v14, v16
                                        ; implicit-def: $vgpr14
	v_cmpx_ne_u32_e64 v4, v5
	s_xor_b32 s16, exec_lo, s16
; %bb.8147:                             ;   in Loop: Header=BB4_7456 Depth=3
	v_cmp_lt_u32_e32 vcc_lo, 0xffffff, v16
	v_sub_nc_u32_e32 v4, v4, v5
	v_cndmask_b32_e64 v5, 0, 1, vcc_lo
	v_add_co_ci_u32_e64 v14, null, 0, v4, vcc_lo
	v_lshrrev_b32_e32 v16, v5, v16
; %bb.8148:                             ;   in Loop: Header=BB4_7456 Depth=3
	s_andn2_saveexec_b32 s16, s16
; %bb.8149:                             ;   in Loop: Header=BB4_7456 Depth=3
	v_bfe_u32 v14, v16, 23, 1
; %bb.8150:                             ;   in Loop: Header=BB4_7456 Depth=3
	s_or_b32 exec_lo, exec_lo, s16
	v_lshrrev_b32_e32 v4, 21, v16
	v_min_i32_e32 v5, 31, v14
	v_cmp_gt_i32_e32 vcc_lo, 32, v14
	v_and_b32_sdwa v1, v1, v101 dst_sel:DWORD dst_unused:UNUSED_PAD src0_sel:BYTE_3 src1_sel:DWORD
	v_lshlrev_b32_e32 v5, 2, v5
	v_cndmask_b32_e32 v4, 3, v4, vcc_lo
	v_and_b32_e32 v5, 0xfc, v5
	v_and_b32_e32 v16, 3, v4
	v_or_b32_e32 v4, v14, v4
	v_or3_b32 v1, v1, v5, v16
	v_cmp_ne_u32_e32 vcc_lo, 0, v4
	v_lshlrev_b32_e32 v1, 8, v1
	v_cndmask_b32_e32 v14, 0, v1, vcc_lo
.LBB4_8151:                             ;   in Loop: Header=BB4_7456 Depth=3
	s_or_b32 exec_lo, exec_lo, s72
.LBB4_8152:                             ;   in Loop: Header=BB4_7456 Depth=3
	s_or_b32 exec_lo, exec_lo, s23
	v_or_b32_e32 v1, v108, v106
	s_mov_b32 s16, 0
	v_cmp_gt_i16_sdwa s23, v1, v100 src0_sel:BYTE_0 src1_sel:DWORD
	s_and_saveexec_b32 s72, s23
	s_xor_b32 s23, exec_lo, s72
	s_cbranch_execz .LBB4_8662
; %bb.8153:                             ;   in Loop: Header=BB4_7456 Depth=3
	v_cmp_eq_u16_sdwa s73, v1, v101 src0_sel:BYTE_0 src1_sel:DWORD
	s_mov_b32 s16, -1
	s_and_saveexec_b32 s72, s73
; %bb.8154:                             ;   in Loop: Header=BB4_7456 Depth=3
	s_xor_b32 s16, exec_lo, -1
; %bb.8155:                             ;   in Loop: Header=BB4_7456 Depth=3
	s_or_b32 exec_lo, exec_lo, s72
	s_and_b32 s16, s16, exec_lo
	s_or_saveexec_b32 s23, s23
	v_mov_b32_e32 v4, 0x7f800001
	s_xor_b32 exec_lo, exec_lo, s23
	s_cbranch_execnz .LBB4_8663
.LBB4_8156:                             ;   in Loop: Header=BB4_7456 Depth=3
	s_or_b32 exec_lo, exec_lo, s23
	s_and_saveexec_b32 s23, s16
	s_cbranch_execz .LBB4_8158
.LBB4_8157:                             ;   in Loop: Header=BB4_7456 Depth=3
	v_and_b32_e32 v4, 3, v1
	v_bfe_u32 v17, v1, 2, 5
	v_lshlrev_b32_e32 v20, 24, v1
	v_ffbh_u32_e32 v5, v4
	v_cmp_eq_u32_e32 vcc_lo, 0, v17
	v_min_u32_e32 v5, 32, v5
	v_subrev_nc_u32_e32 v16, 29, v5
	v_sub_nc_u32_e32 v5, 30, v5
	v_lshlrev_b32_e32 v16, v16, v1
	v_cndmask_b32_e32 v5, v17, v5, vcc_lo
	v_and_b32_e32 v16, 3, v16
	v_lshl_add_u32 v5, v5, 23, 0x37800000
	v_cndmask_b32_e32 v4, v4, v16, vcc_lo
	v_and_b32_e32 v16, 0x80000000, v20
	v_lshlrev_b32_e32 v4, 21, v4
	v_or3_b32 v4, v16, v5, v4
.LBB4_8158:                             ;   in Loop: Header=BB4_7456 Depth=3
	s_or_b32 exec_lo, exec_lo, s23
	v_cmp_gt_i16_sdwa s23, v15, v100 src0_sel:BYTE_0 src1_sel:DWORD
	s_mov_b32 s16, 0
	s_and_saveexec_b32 s72, s23
	s_xor_b32 s23, exec_lo, s72
	s_cbranch_execz .LBB4_8664
; %bb.8159:                             ;   in Loop: Header=BB4_7456 Depth=3
	v_cmp_eq_u16_sdwa s73, v15, v101 src0_sel:BYTE_0 src1_sel:DWORD
	s_mov_b32 s16, -1
	s_and_saveexec_b32 s72, s73
; %bb.8160:                             ;   in Loop: Header=BB4_7456 Depth=3
	s_xor_b32 s16, exec_lo, -1
; %bb.8161:                             ;   in Loop: Header=BB4_7456 Depth=3
	s_or_b32 exec_lo, exec_lo, s72
	s_and_b32 s16, s16, exec_lo
	s_or_saveexec_b32 s23, s23
	v_mov_b32_e32 v5, 0x7f800001
	s_xor_b32 exec_lo, exec_lo, s23
	s_cbranch_execnz .LBB4_8665
.LBB4_8162:                             ;   in Loop: Header=BB4_7456 Depth=3
	s_or_b32 exec_lo, exec_lo, s23
	s_and_saveexec_b32 s23, s16
	s_cbranch_execz .LBB4_8164
.LBB4_8163:                             ;   in Loop: Header=BB4_7456 Depth=3
	v_and_b32_e32 v5, 3, v15
	v_bfe_u32 v20, v15, 2, 5
	v_lshlrev_b32_e32 v21, 24, v15
	v_ffbh_u32_e32 v16, v5
	v_cmp_eq_u32_e32 vcc_lo, 0, v20
	v_min_u32_e32 v16, 32, v16
	v_subrev_nc_u32_e32 v17, 29, v16
	v_sub_nc_u32_e32 v16, 30, v16
	v_lshlrev_b32_e32 v17, v17, v15
	v_cndmask_b32_e32 v16, v20, v16, vcc_lo
	v_and_b32_e32 v17, 3, v17
	v_lshl_add_u32 v16, v16, 23, 0x37800000
	v_cndmask_b32_e32 v5, v5, v17, vcc_lo
	v_and_b32_e32 v17, 0x80000000, v21
	v_lshlrev_b32_e32 v5, 21, v5
	v_or3_b32 v5, v17, v16, v5
.LBB4_8164:                             ;   in Loop: Header=BB4_7456 Depth=3
	s_or_b32 exec_lo, exec_lo, s23
	v_add_f32_e32 v4, v4, v5
	v_mov_b32_e32 v20, 0x80
	s_mov_b32 s23, exec_lo
	v_and_b32_e32 v5, 0x7f800000, v4
	v_cmpx_ne_u32_e32 0x7f800000, v5
	s_cbranch_execz .LBB4_8172
; %bb.8165:                             ;   in Loop: Header=BB4_7456 Depth=3
	v_mov_b32_e32 v20, 0
	s_mov_b32 s72, exec_lo
	v_cmpx_ne_u32_e32 0, v4
	s_cbranch_execz .LBB4_8171
; %bb.8166:                             ;   in Loop: Header=BB4_7456 Depth=3
	v_bfe_u32 v16, v4, 23, 8
	v_and_b32_e32 v5, 0x7fffff, v4
	v_cmp_gt_u32_e64 s16, 0x71, v16
	v_sub_nc_u32_e32 v17, 0x70, v16
	v_cmp_eq_u32_e32 vcc_lo, 0, v16
	v_or_b32_e32 v20, 0x800000, v5
	v_cndmask_b32_e64 v17, 0, v17, s16
	v_cndmask_b32_e32 v5, v20, v5, vcc_lo
	v_cndmask_b32_e64 v17, v17, 0x6f, vcc_lo
	v_lshl_add_u32 v20, 0x200000, v17, -1
	v_lshlrev_b32_e64 v21, v17, 0x100000
	v_and_b32_e32 v20, v20, v5
	v_cmp_eq_u32_e64 s16, v20, v21
	v_lshrrev_b32_e32 v20, v17, v5
	v_add_nc_u32_e32 v5, 0xffffff91, v16
	v_lshrrev_b32_e32 v16, 23, v20
	v_cndmask_b32_e64 v5, v5, 0xffffff92, vcc_lo
	v_xor_b32_e32 v16, 1, v16
	v_add_nc_u32_e32 v5, v17, v5
	v_bfe_u32 v17, v20, 21, 1
	v_add_nc_u32_e32 v17, -1, v17
	v_cndmask_b32_e64 v17, 0, v17, s16
	s_mov_b32 s16, exec_lo
	v_add_nc_u32_e32 v17, v17, v20
	v_and_b32_e32 v17, 0x1fffff, v17
	v_add_nc_u32_e32 v20, v17, v20
                                        ; implicit-def: $vgpr17
	v_cmpx_ne_u32_e64 v5, v16
	s_xor_b32 s16, exec_lo, s16
; %bb.8167:                             ;   in Loop: Header=BB4_7456 Depth=3
	v_cmp_lt_u32_e32 vcc_lo, 0xffffff, v20
	v_sub_nc_u32_e32 v5, v5, v16
	v_cndmask_b32_e64 v16, 0, 1, vcc_lo
	v_add_co_ci_u32_e64 v17, null, 0, v5, vcc_lo
	v_lshrrev_b32_e32 v20, v16, v20
; %bb.8168:                             ;   in Loop: Header=BB4_7456 Depth=3
	s_andn2_saveexec_b32 s16, s16
; %bb.8169:                             ;   in Loop: Header=BB4_7456 Depth=3
	v_bfe_u32 v17, v20, 23, 1
; %bb.8170:                             ;   in Loop: Header=BB4_7456 Depth=3
	s_or_b32 exec_lo, exec_lo, s16
	v_lshrrev_b32_e32 v5, 21, v20
	v_min_i32_e32 v16, 31, v17
	v_cmp_gt_i32_e32 vcc_lo, 32, v17
	v_and_b32_sdwa v4, v4, v101 dst_sel:DWORD dst_unused:UNUSED_PAD src0_sel:BYTE_3 src1_sel:DWORD
	v_lshlrev_b32_e32 v16, 2, v16
	v_cndmask_b32_e32 v5, 3, v5, vcc_lo
	v_and_b32_e32 v16, 0xfc, v16
	v_and_b32_e32 v20, 3, v5
	v_or_b32_e32 v5, v17, v5
	v_or3_b32 v4, v16, v4, v20
	v_cmp_ne_u32_e32 vcc_lo, 0, v5
	v_cndmask_b32_e32 v20, 0, v4, vcc_lo
.LBB4_8171:                             ;   in Loop: Header=BB4_7456 Depth=3
	s_or_b32 exec_lo, exec_lo, s72
.LBB4_8172:                             ;   in Loop: Header=BB4_7456 Depth=3
	s_or_b32 exec_lo, exec_lo, s23
	v_cmp_gt_i16_sdwa s23, v1, v100 src0_sel:BYTE_1 src1_sel:DWORD
	s_mov_b32 s16, 0
	s_and_saveexec_b32 s72, s23
	s_xor_b32 s23, exec_lo, s72
	s_cbranch_execz .LBB4_8666
; %bb.8173:                             ;   in Loop: Header=BB4_7456 Depth=3
	v_cmp_eq_u16_sdwa s73, v1, v101 src0_sel:BYTE_1 src1_sel:DWORD
	s_mov_b32 s16, -1
	s_and_saveexec_b32 s72, s73
; %bb.8174:                             ;   in Loop: Header=BB4_7456 Depth=3
	s_xor_b32 s16, exec_lo, -1
; %bb.8175:                             ;   in Loop: Header=BB4_7456 Depth=3
	s_or_b32 exec_lo, exec_lo, s72
	s_and_b32 s16, s16, exec_lo
	s_or_saveexec_b32 s23, s23
	v_mov_b32_e32 v4, 0x7f800001
	s_xor_b32 exec_lo, exec_lo, s23
	s_cbranch_execnz .LBB4_8667
.LBB4_8176:                             ;   in Loop: Header=BB4_7456 Depth=3
	s_or_b32 exec_lo, exec_lo, s23
	s_and_saveexec_b32 s23, s16
	s_cbranch_execz .LBB4_8178
.LBB4_8177:                             ;   in Loop: Header=BB4_7456 Depth=3
	v_and_b32_sdwa v4, v102, v1 dst_sel:DWORD dst_unused:UNUSED_PAD src0_sel:DWORD src1_sel:BYTE_1
	v_and_b32_e32 v5, 3, v4
	v_bfe_u32 v21, v4, 2, 5
	v_ffbh_u32_e32 v16, v5
	v_cmp_eq_u32_e32 vcc_lo, 0, v21
	v_min_u32_e32 v16, 32, v16
	v_subrev_nc_u32_e32 v17, 29, v16
	v_sub_nc_u32_e32 v16, 30, v16
	v_lshlrev_b32_e32 v4, v17, v4
	v_lshlrev_b32_sdwa v17, v103, v1 dst_sel:DWORD dst_unused:UNUSED_PAD src0_sel:DWORD src1_sel:BYTE_1
	v_cndmask_b32_e32 v16, v21, v16, vcc_lo
	v_and_b32_e32 v4, 3, v4
	v_lshl_add_u32 v16, v16, 23, 0x37800000
	v_cndmask_b32_e32 v4, v5, v4, vcc_lo
	v_and_b32_e32 v5, 0x80000000, v17
	v_lshlrev_b32_e32 v4, 21, v4
	v_or3_b32 v4, v5, v16, v4
.LBB4_8178:                             ;   in Loop: Header=BB4_7456 Depth=3
	s_or_b32 exec_lo, exec_lo, s23
	v_cmp_gt_i16_sdwa s16, v15, v100 src0_sel:BYTE_1 src1_sel:DWORD
	s_mov_b32 s23, 0
	s_and_saveexec_b32 s72, s16
	s_xor_b32 s16, exec_lo, s72
	s_cbranch_execz .LBB4_8668
; %bb.8179:                             ;   in Loop: Header=BB4_7456 Depth=3
	v_cmp_eq_u16_sdwa s73, v15, v101 src0_sel:BYTE_1 src1_sel:DWORD
	s_mov_b32 s23, -1
	s_and_saveexec_b32 s72, s73
; %bb.8180:                             ;   in Loop: Header=BB4_7456 Depth=3
	s_xor_b32 s23, exec_lo, -1
; %bb.8181:                             ;   in Loop: Header=BB4_7456 Depth=3
	s_or_b32 exec_lo, exec_lo, s72
	s_and_b32 s23, s23, exec_lo
	s_or_saveexec_b32 s16, s16
	v_mov_b32_e32 v5, 0x7f800001
	s_xor_b32 exec_lo, exec_lo, s16
	s_cbranch_execnz .LBB4_8669
.LBB4_8182:                             ;   in Loop: Header=BB4_7456 Depth=3
	s_or_b32 exec_lo, exec_lo, s16
	s_and_saveexec_b32 s16, s23
	s_cbranch_execz .LBB4_8184
.LBB4_8183:                             ;   in Loop: Header=BB4_7456 Depth=3
	v_and_b32_sdwa v5, v102, v15 dst_sel:DWORD dst_unused:UNUSED_PAD src0_sel:DWORD src1_sel:BYTE_1
	v_and_b32_e32 v16, 3, v5
	v_bfe_u32 v30, v5, 2, 5
	v_ffbh_u32_e32 v17, v16
	v_cmp_eq_u32_e32 vcc_lo, 0, v30
	v_min_u32_e32 v17, 32, v17
	v_subrev_nc_u32_e32 v21, 29, v17
	v_sub_nc_u32_e32 v17, 30, v17
	v_lshlrev_b32_e32 v5, v21, v5
	v_lshlrev_b32_sdwa v21, v103, v15 dst_sel:DWORD dst_unused:UNUSED_PAD src0_sel:DWORD src1_sel:BYTE_1
	v_cndmask_b32_e32 v17, v30, v17, vcc_lo
	v_and_b32_e32 v5, 3, v5
	v_lshl_add_u32 v17, v17, 23, 0x37800000
	v_cndmask_b32_e32 v5, v16, v5, vcc_lo
	v_and_b32_e32 v16, 0x80000000, v21
	v_lshlrev_b32_e32 v5, 21, v5
	v_or3_b32 v5, v16, v17, v5
.LBB4_8184:                             ;   in Loop: Header=BB4_7456 Depth=3
	s_or_b32 exec_lo, exec_lo, s16
	v_add_f32_e32 v4, v4, v5
	v_mov_b32_e32 v16, 0x8000
	s_mov_b32 s23, exec_lo
	v_and_b32_e32 v5, 0x7f800000, v4
	v_cmpx_ne_u32_e32 0x7f800000, v5
	s_cbranch_execz .LBB4_8192
; %bb.8185:                             ;   in Loop: Header=BB4_7456 Depth=3
	v_mov_b32_e32 v16, 0
	s_mov_b32 s72, exec_lo
	v_cmpx_ne_u32_e32 0, v4
	s_cbranch_execz .LBB4_8191
; %bb.8186:                             ;   in Loop: Header=BB4_7456 Depth=3
	v_bfe_u32 v16, v4, 23, 8
	v_and_b32_e32 v5, 0x7fffff, v4
	v_cmp_gt_u32_e64 s16, 0x71, v16
	v_sub_nc_u32_e32 v17, 0x70, v16
	v_cmp_eq_u32_e32 vcc_lo, 0, v16
	v_or_b32_e32 v21, 0x800000, v5
	v_cndmask_b32_e64 v17, 0, v17, s16
	v_cndmask_b32_e32 v5, v21, v5, vcc_lo
	v_cndmask_b32_e64 v17, v17, 0x6f, vcc_lo
	v_lshl_add_u32 v21, 0x200000, v17, -1
	v_lshlrev_b32_e64 v30, v17, 0x100000
	v_and_b32_e32 v21, v21, v5
	v_cmp_eq_u32_e64 s16, v21, v30
	v_lshrrev_b32_e32 v21, v17, v5
	v_add_nc_u32_e32 v5, 0xffffff91, v16
	v_lshrrev_b32_e32 v16, 23, v21
	v_cndmask_b32_e64 v5, v5, 0xffffff92, vcc_lo
	v_xor_b32_e32 v16, 1, v16
	v_add_nc_u32_e32 v5, v17, v5
	v_bfe_u32 v17, v21, 21, 1
	v_add_nc_u32_e32 v17, -1, v17
	v_cndmask_b32_e64 v17, 0, v17, s16
	s_mov_b32 s16, exec_lo
	v_add_nc_u32_e32 v17, v17, v21
	v_and_b32_e32 v17, 0x1fffff, v17
	v_add_nc_u32_e32 v21, v17, v21
                                        ; implicit-def: $vgpr17
	v_cmpx_ne_u32_e64 v5, v16
	s_xor_b32 s16, exec_lo, s16
; %bb.8187:                             ;   in Loop: Header=BB4_7456 Depth=3
	v_cmp_lt_u32_e32 vcc_lo, 0xffffff, v21
	v_sub_nc_u32_e32 v5, v5, v16
	v_cndmask_b32_e64 v16, 0, 1, vcc_lo
	v_add_co_ci_u32_e64 v17, null, 0, v5, vcc_lo
	v_lshrrev_b32_e32 v21, v16, v21
; %bb.8188:                             ;   in Loop: Header=BB4_7456 Depth=3
	s_andn2_saveexec_b32 s16, s16
; %bb.8189:                             ;   in Loop: Header=BB4_7456 Depth=3
	v_bfe_u32 v17, v21, 23, 1
; %bb.8190:                             ;   in Loop: Header=BB4_7456 Depth=3
	s_or_b32 exec_lo, exec_lo, s16
	v_lshrrev_b32_e32 v5, 21, v21
	v_min_i32_e32 v16, 31, v17
	v_cmp_gt_i32_e32 vcc_lo, 32, v17
	v_and_b32_sdwa v4, v4, v101 dst_sel:DWORD dst_unused:UNUSED_PAD src0_sel:BYTE_3 src1_sel:DWORD
	v_lshlrev_b32_e32 v16, 2, v16
	v_cndmask_b32_e32 v5, 3, v5, vcc_lo
	v_and_b32_e32 v16, 0xfc, v16
	v_and_b32_e32 v21, 3, v5
	v_or_b32_e32 v5, v17, v5
	v_or3_b32 v4, v4, v16, v21
	v_cmp_ne_u32_e32 vcc_lo, 0, v5
	v_lshlrev_b32_e32 v4, 8, v4
	v_cndmask_b32_e32 v16, 0, v4, vcc_lo
.LBB4_8191:                             ;   in Loop: Header=BB4_7456 Depth=3
	s_or_b32 exec_lo, exec_lo, s72
.LBB4_8192:                             ;   in Loop: Header=BB4_7456 Depth=3
	s_or_b32 exec_lo, exec_lo, s23
	v_or_b32_e32 v5, v105, v104
	s_mov_b32 s16, 0
	v_cmp_gt_i16_sdwa s23, v5, v100 src0_sel:BYTE_0 src1_sel:DWORD
	s_and_saveexec_b32 s72, s23
	s_xor_b32 s23, exec_lo, s72
	s_cbranch_execz .LBB4_8670
; %bb.8193:                             ;   in Loop: Header=BB4_7456 Depth=3
	v_cmp_eq_u16_sdwa s73, v5, v101 src0_sel:BYTE_0 src1_sel:DWORD
	s_mov_b32 s16, -1
	s_and_saveexec_b32 s72, s73
; %bb.8194:                             ;   in Loop: Header=BB4_7456 Depth=3
	s_xor_b32 s16, exec_lo, -1
; %bb.8195:                             ;   in Loop: Header=BB4_7456 Depth=3
	s_or_b32 exec_lo, exec_lo, s72
	s_and_b32 s16, s16, exec_lo
	s_or_saveexec_b32 s23, s23
	v_mov_b32_e32 v4, 0x7f800001
	s_xor_b32 exec_lo, exec_lo, s23
	s_cbranch_execnz .LBB4_8671
.LBB4_8196:                             ;   in Loop: Header=BB4_7456 Depth=3
	s_or_b32 exec_lo, exec_lo, s23
	v_lshl_or_b32 v1, v5, 16, v1
	s_and_saveexec_b32 s23, s16
	s_cbranch_execz .LBB4_8198
.LBB4_8197:                             ;   in Loop: Header=BB4_7456 Depth=3
	v_bfe_u32 v4, v1, 16, 2
	v_bfe_u32 v21, v1, 18, 5
	v_lshlrev_b32_e32 v30, 8, v1
	v_ffbh_u32_e32 v5, v4
	v_cmp_eq_u32_e32 vcc_lo, 0, v21
	v_min_u32_e32 v5, 32, v5
	v_subrev_nc_u32_e32 v17, 29, v5
	v_sub_nc_u32_e32 v5, 30, v5
	v_lshlrev_b32_sdwa v17, v17, v1 dst_sel:DWORD dst_unused:UNUSED_PAD src0_sel:DWORD src1_sel:WORD_1
	v_cndmask_b32_e32 v5, v21, v5, vcc_lo
	v_and_b32_e32 v17, 3, v17
	v_lshl_add_u32 v5, v5, 23, 0x37800000
	v_cndmask_b32_e32 v4, v4, v17, vcc_lo
	v_and_b32_e32 v17, 0x80000000, v30
	v_lshlrev_b32_e32 v4, 21, v4
	v_or3_b32 v4, v17, v5, v4
.LBB4_8198:                             ;   in Loop: Header=BB4_7456 Depth=3
	s_or_b32 exec_lo, exec_lo, s23
	v_and_b32_sdwa v17, v15, v112 dst_sel:DWORD dst_unused:UNUSED_PAD src0_sel:WORD_1 src1_sel:DWORD
	s_mov_b32 s16, 0
	s_mov_b32 s23, exec_lo
	v_cmpx_lt_i16_e32 0x7f, v17
	s_xor_b32 s23, exec_lo, s23
	s_cbranch_execz .LBB4_8672
; %bb.8199:                             ;   in Loop: Header=BB4_7456 Depth=3
	s_mov_b32 s16, -1
	s_mov_b32 s72, exec_lo
	v_cmpx_eq_u16_e32 0x80, v17
; %bb.8200:                             ;   in Loop: Header=BB4_7456 Depth=3
	s_xor_b32 s16, exec_lo, -1
; %bb.8201:                             ;   in Loop: Header=BB4_7456 Depth=3
	s_or_b32 exec_lo, exec_lo, s72
	s_and_b32 s16, s16, exec_lo
                                        ; implicit-def: $vgpr17
	s_or_saveexec_b32 s23, s23
	v_mov_b32_e32 v5, 0x7f800001
	s_xor_b32 exec_lo, exec_lo, s23
	s_cbranch_execnz .LBB4_8673
.LBB4_8202:                             ;   in Loop: Header=BB4_7456 Depth=3
	s_or_b32 exec_lo, exec_lo, s23
	s_and_saveexec_b32 s23, s16
	s_cbranch_execz .LBB4_8204
.LBB4_8203:                             ;   in Loop: Header=BB4_7456 Depth=3
	v_bfe_u32 v5, v15, 16, 2
	v_bfe_u32 v30, v15, 18, 5
	v_lshlrev_b32_e32 v31, 8, v15
	v_ffbh_u32_e32 v17, v5
	v_cmp_eq_u32_e32 vcc_lo, 0, v30
	v_min_u32_e32 v17, 32, v17
	v_subrev_nc_u32_e32 v21, 29, v17
	v_sub_nc_u32_e32 v17, 30, v17
	v_lshlrev_b32_sdwa v21, v21, v15 dst_sel:DWORD dst_unused:UNUSED_PAD src0_sel:DWORD src1_sel:WORD_1
	v_cndmask_b32_e32 v17, v30, v17, vcc_lo
	v_and_b32_e32 v21, 3, v21
	v_lshl_add_u32 v17, v17, 23, 0x37800000
	v_cndmask_b32_e32 v5, v5, v21, vcc_lo
	v_and_b32_e32 v21, 0x80000000, v31
	v_lshlrev_b32_e32 v5, 21, v5
	v_or3_b32 v5, v21, v17, v5
.LBB4_8204:                             ;   in Loop: Header=BB4_7456 Depth=3
	s_or_b32 exec_lo, exec_lo, s23
	v_add_f32_e32 v4, v4, v5
	v_mov_b32_e32 v17, 0x80
	s_mov_b32 s23, exec_lo
	v_and_b32_e32 v5, 0x7f800000, v4
	v_cmpx_ne_u32_e32 0x7f800000, v5
	s_cbranch_execz .LBB4_8212
; %bb.8205:                             ;   in Loop: Header=BB4_7456 Depth=3
	v_mov_b32_e32 v17, 0
	s_mov_b32 s72, exec_lo
	v_cmpx_ne_u32_e32 0, v4
	s_cbranch_execz .LBB4_8211
; %bb.8206:                             ;   in Loop: Header=BB4_7456 Depth=3
	v_bfe_u32 v17, v4, 23, 8
	v_and_b32_e32 v5, 0x7fffff, v4
	v_cmp_gt_u32_e64 s16, 0x71, v17
	v_sub_nc_u32_e32 v21, 0x70, v17
	v_cmp_eq_u32_e32 vcc_lo, 0, v17
	v_or_b32_e32 v30, 0x800000, v5
	v_cndmask_b32_e64 v21, 0, v21, s16
	v_cndmask_b32_e32 v5, v30, v5, vcc_lo
	v_cndmask_b32_e64 v21, v21, 0x6f, vcc_lo
	v_lshl_add_u32 v30, 0x200000, v21, -1
	v_lshlrev_b32_e64 v31, v21, 0x100000
	v_and_b32_e32 v30, v30, v5
	v_cmp_eq_u32_e64 s16, v30, v31
	v_lshrrev_b32_e32 v30, v21, v5
	v_add_nc_u32_e32 v5, 0xffffff91, v17
	v_lshrrev_b32_e32 v17, 23, v30
	v_cndmask_b32_e64 v5, v5, 0xffffff92, vcc_lo
	v_xor_b32_e32 v17, 1, v17
	v_add_nc_u32_e32 v5, v21, v5
	v_bfe_u32 v21, v30, 21, 1
	v_add_nc_u32_e32 v21, -1, v21
	v_cndmask_b32_e64 v21, 0, v21, s16
	s_mov_b32 s16, exec_lo
	v_add_nc_u32_e32 v21, v21, v30
	v_and_b32_e32 v21, 0x1fffff, v21
	v_add_nc_u32_e32 v30, v21, v30
                                        ; implicit-def: $vgpr21
	v_cmpx_ne_u32_e64 v5, v17
	s_xor_b32 s16, exec_lo, s16
; %bb.8207:                             ;   in Loop: Header=BB4_7456 Depth=3
	v_cmp_lt_u32_e32 vcc_lo, 0xffffff, v30
	v_sub_nc_u32_e32 v5, v5, v17
	v_cndmask_b32_e64 v17, 0, 1, vcc_lo
	v_add_co_ci_u32_e64 v21, null, 0, v5, vcc_lo
	v_lshrrev_b32_e32 v30, v17, v30
; %bb.8208:                             ;   in Loop: Header=BB4_7456 Depth=3
	s_andn2_saveexec_b32 s16, s16
; %bb.8209:                             ;   in Loop: Header=BB4_7456 Depth=3
	v_bfe_u32 v21, v30, 23, 1
; %bb.8210:                             ;   in Loop: Header=BB4_7456 Depth=3
	s_or_b32 exec_lo, exec_lo, s16
	v_lshrrev_b32_e32 v5, 21, v30
	v_min_i32_e32 v17, 31, v21
	v_cmp_gt_i32_e32 vcc_lo, 32, v21
	v_and_b32_sdwa v4, v4, v101 dst_sel:DWORD dst_unused:UNUSED_PAD src0_sel:BYTE_3 src1_sel:DWORD
	v_lshlrev_b32_e32 v17, 2, v17
	v_cndmask_b32_e32 v5, 3, v5, vcc_lo
	v_and_b32_e32 v17, 0xfc, v17
	v_and_b32_e32 v30, 3, v5
	v_or_b32_e32 v5, v21, v5
	v_or3_b32 v4, v17, v4, v30
	v_cmp_ne_u32_e32 vcc_lo, 0, v5
	v_cndmask_b32_e32 v17, 0, v4, vcc_lo
.LBB4_8211:                             ;   in Loop: Header=BB4_7456 Depth=3
	s_or_b32 exec_lo, exec_lo, s72
.LBB4_8212:                             ;   in Loop: Header=BB4_7456 Depth=3
	s_or_b32 exec_lo, exec_lo, s23
	v_cmp_gt_i16_sdwa s23, v1, v100 src0_sel:BYTE_3 src1_sel:DWORD
	s_mov_b32 s16, 0
	s_and_saveexec_b32 s72, s23
	s_xor_b32 s23, exec_lo, s72
	s_cbranch_execz .LBB4_8674
; %bb.8213:                             ;   in Loop: Header=BB4_7456 Depth=3
	v_cmp_eq_u16_sdwa s73, v1, v101 src0_sel:BYTE_3 src1_sel:DWORD
	s_mov_b32 s16, -1
	s_and_saveexec_b32 s72, s73
; %bb.8214:                             ;   in Loop: Header=BB4_7456 Depth=3
	s_xor_b32 s16, exec_lo, -1
; %bb.8215:                             ;   in Loop: Header=BB4_7456 Depth=3
	s_or_b32 exec_lo, exec_lo, s72
	s_and_b32 s16, s16, exec_lo
	s_or_saveexec_b32 s23, s23
	v_mov_b32_e32 v4, 0x7f800001
	s_xor_b32 exec_lo, exec_lo, s23
	s_cbranch_execnz .LBB4_8675
.LBB4_8216:                             ;   in Loop: Header=BB4_7456 Depth=3
	s_or_b32 exec_lo, exec_lo, s23
	s_and_saveexec_b32 s23, s16
	s_cbranch_execz .LBB4_8218
.LBB4_8217:                             ;   in Loop: Header=BB4_7456 Depth=3
	v_bfe_u32 v4, v1, 24, 2
	v_bfe_u32 v30, v1, 26, 5
	v_ffbh_u32_e32 v5, v4
	v_cmp_eq_u32_e32 vcc_lo, 0, v30
	v_min_u32_e32 v5, 32, v5
	v_subrev_nc_u32_e32 v21, 29, v5
	v_sub_nc_u32_e32 v5, 30, v5
	v_lshlrev_b32_sdwa v21, v21, v1 dst_sel:DWORD dst_unused:UNUSED_PAD src0_sel:DWORD src1_sel:BYTE_3
	v_cndmask_b32_e32 v5, v30, v5, vcc_lo
	v_and_b32_e32 v1, 0x80000000, v1
	v_and_b32_e32 v21, 3, v21
	v_lshl_add_u32 v5, v5, 23, 0x37800000
	v_cndmask_b32_e32 v4, v4, v21, vcc_lo
	v_lshlrev_b32_e32 v4, 21, v4
	v_or3_b32 v4, v1, v5, v4
.LBB4_8218:                             ;   in Loop: Header=BB4_7456 Depth=3
	s_or_b32 exec_lo, exec_lo, s23
	v_cmp_gt_i16_sdwa s23, v15, v100 src0_sel:BYTE_3 src1_sel:DWORD
	s_mov_b32 s16, 0
	s_and_saveexec_b32 s72, s23
	s_xor_b32 s23, exec_lo, s72
	s_cbranch_execz .LBB4_8676
; %bb.8219:                             ;   in Loop: Header=BB4_7456 Depth=3
	v_cmp_eq_u16_sdwa s73, v15, v101 src0_sel:BYTE_3 src1_sel:DWORD
	s_mov_b32 s16, -1
	s_and_saveexec_b32 s72, s73
; %bb.8220:                             ;   in Loop: Header=BB4_7456 Depth=3
	s_xor_b32 s16, exec_lo, -1
; %bb.8221:                             ;   in Loop: Header=BB4_7456 Depth=3
	s_or_b32 exec_lo, exec_lo, s72
	s_and_b32 s16, s16, exec_lo
	s_or_saveexec_b32 s23, s23
	v_mov_b32_e32 v1, 0x7f800001
	s_xor_b32 exec_lo, exec_lo, s23
	s_cbranch_execnz .LBB4_8677
.LBB4_8222:                             ;   in Loop: Header=BB4_7456 Depth=3
	s_or_b32 exec_lo, exec_lo, s23
	s_and_saveexec_b32 s23, s16
	s_cbranch_execz .LBB4_8224
.LBB4_8223:                             ;   in Loop: Header=BB4_7456 Depth=3
	v_bfe_u32 v1, v15, 24, 2
	v_bfe_u32 v30, v15, 26, 5
	v_ffbh_u32_e32 v5, v1
	v_cmp_eq_u32_e32 vcc_lo, 0, v30
	v_min_u32_e32 v5, 32, v5
	v_subrev_nc_u32_e32 v21, 29, v5
	v_sub_nc_u32_e32 v5, 30, v5
	v_lshlrev_b32_sdwa v21, v21, v15 dst_sel:DWORD dst_unused:UNUSED_PAD src0_sel:DWORD src1_sel:BYTE_3
	v_cndmask_b32_e32 v5, v30, v5, vcc_lo
	v_and_b32_e32 v15, 0x80000000, v15
	v_and_b32_e32 v21, 3, v21
	v_lshl_add_u32 v5, v5, 23, 0x37800000
	v_cndmask_b32_e32 v1, v1, v21, vcc_lo
	v_lshlrev_b32_e32 v1, 21, v1
	v_or3_b32 v1, v15, v5, v1
.LBB4_8224:                             ;   in Loop: Header=BB4_7456 Depth=3
	s_or_b32 exec_lo, exec_lo, s23
	v_add_f32_e32 v1, v4, v1
	v_mov_b32_e32 v15, 0x8000
	s_mov_b32 s23, exec_lo
	v_and_b32_e32 v4, 0x7f800000, v1
	v_cmpx_ne_u32_e32 0x7f800000, v4
	s_cbranch_execz .LBB4_8232
; %bb.8225:                             ;   in Loop: Header=BB4_7456 Depth=3
	v_mov_b32_e32 v15, 0
	s_mov_b32 s72, exec_lo
	v_cmpx_ne_u32_e32 0, v1
	s_cbranch_execz .LBB4_8231
; %bb.8226:                             ;   in Loop: Header=BB4_7456 Depth=3
	v_bfe_u32 v5, v1, 23, 8
	v_and_b32_e32 v4, 0x7fffff, v1
	v_cmp_gt_u32_e64 s16, 0x71, v5
	v_sub_nc_u32_e32 v15, 0x70, v5
	v_cmp_eq_u32_e32 vcc_lo, 0, v5
	v_or_b32_e32 v21, 0x800000, v4
	v_cndmask_b32_e64 v15, 0, v15, s16
	v_cndmask_b32_e32 v4, v21, v4, vcc_lo
	v_cndmask_b32_e64 v15, v15, 0x6f, vcc_lo
	v_lshl_add_u32 v21, 0x200000, v15, -1
	v_lshlrev_b32_e64 v30, v15, 0x100000
	v_and_b32_e32 v21, v21, v4
	v_cmp_eq_u32_e64 s16, v21, v30
	v_lshrrev_b32_e32 v21, v15, v4
	v_add_nc_u32_e32 v4, 0xffffff91, v5
	v_lshrrev_b32_e32 v5, 23, v21
	v_cndmask_b32_e64 v4, v4, 0xffffff92, vcc_lo
	v_xor_b32_e32 v5, 1, v5
	v_add_nc_u32_e32 v4, v15, v4
	v_bfe_u32 v15, v21, 21, 1
	v_add_nc_u32_e32 v15, -1, v15
	v_cndmask_b32_e64 v15, 0, v15, s16
	s_mov_b32 s16, exec_lo
	v_add_nc_u32_e32 v15, v15, v21
	v_and_b32_e32 v15, 0x1fffff, v15
	v_add_nc_u32_e32 v21, v15, v21
                                        ; implicit-def: $vgpr15
	v_cmpx_ne_u32_e64 v4, v5
	s_xor_b32 s16, exec_lo, s16
; %bb.8227:                             ;   in Loop: Header=BB4_7456 Depth=3
	v_cmp_lt_u32_e32 vcc_lo, 0xffffff, v21
	v_sub_nc_u32_e32 v4, v4, v5
	v_cndmask_b32_e64 v5, 0, 1, vcc_lo
	v_add_co_ci_u32_e64 v15, null, 0, v4, vcc_lo
	v_lshrrev_b32_e32 v21, v5, v21
; %bb.8228:                             ;   in Loop: Header=BB4_7456 Depth=3
	s_andn2_saveexec_b32 s16, s16
; %bb.8229:                             ;   in Loop: Header=BB4_7456 Depth=3
	v_bfe_u32 v15, v21, 23, 1
; %bb.8230:                             ;   in Loop: Header=BB4_7456 Depth=3
	s_or_b32 exec_lo, exec_lo, s16
	v_lshrrev_b32_e32 v4, 21, v21
	v_min_i32_e32 v5, 31, v15
	v_cmp_gt_i32_e32 vcc_lo, 32, v15
	v_and_b32_sdwa v1, v1, v101 dst_sel:DWORD dst_unused:UNUSED_PAD src0_sel:BYTE_3 src1_sel:DWORD
	v_lshlrev_b32_e32 v5, 2, v5
	v_cndmask_b32_e32 v4, 3, v4, vcc_lo
	v_and_b32_e32 v5, 0xfc, v5
	v_and_b32_e32 v21, 3, v4
	v_or_b32_e32 v4, v15, v4
	v_or3_b32 v1, v1, v5, v21
	v_cmp_ne_u32_e32 vcc_lo, 0, v4
	v_lshlrev_b32_e32 v1, 8, v1
	v_cndmask_b32_e32 v15, 0, v1, vcc_lo
.LBB4_8231:                             ;   in Loop: Header=BB4_7456 Depth=3
	s_or_b32 exec_lo, exec_lo, s72
.LBB4_8232:                             ;   in Loop: Header=BB4_7456 Depth=3
	s_or_b32 exec_lo, exec_lo, s23
	v_or_b32_e32 v1, v94, v93
	s_mov_b32 s16, 0
	v_cmp_gt_i16_sdwa s23, v1, v100 src0_sel:BYTE_0 src1_sel:DWORD
	s_and_saveexec_b32 s72, s23
	s_xor_b32 s23, exec_lo, s72
	s_cbranch_execz .LBB4_8678
; %bb.8233:                             ;   in Loop: Header=BB4_7456 Depth=3
	v_cmp_eq_u16_sdwa s73, v1, v101 src0_sel:BYTE_0 src1_sel:DWORD
	s_mov_b32 s16, -1
	s_and_saveexec_b32 s72, s73
; %bb.8234:                             ;   in Loop: Header=BB4_7456 Depth=3
	s_xor_b32 s16, exec_lo, -1
; %bb.8235:                             ;   in Loop: Header=BB4_7456 Depth=3
	s_or_b32 exec_lo, exec_lo, s72
	s_and_b32 s16, s16, exec_lo
	s_or_saveexec_b32 s23, s23
	v_mov_b32_e32 v4, 0x7f800001
	s_xor_b32 exec_lo, exec_lo, s23
	s_cbranch_execnz .LBB4_8679
.LBB4_8236:                             ;   in Loop: Header=BB4_7456 Depth=3
	s_or_b32 exec_lo, exec_lo, s23
	s_and_saveexec_b32 s23, s16
	s_cbranch_execz .LBB4_8238
.LBB4_8237:                             ;   in Loop: Header=BB4_7456 Depth=3
	v_and_b32_e32 v4, 3, v1
	v_bfe_u32 v30, v1, 2, 5
	v_lshlrev_b32_e32 v31, 24, v1
	v_ffbh_u32_e32 v5, v4
	v_cmp_eq_u32_e32 vcc_lo, 0, v30
	v_min_u32_e32 v5, 32, v5
	v_subrev_nc_u32_e32 v21, 29, v5
	v_sub_nc_u32_e32 v5, 30, v5
	v_lshlrev_b32_e32 v21, v21, v1
	v_cndmask_b32_e32 v5, v30, v5, vcc_lo
	v_and_b32_e32 v21, 3, v21
	v_lshl_add_u32 v5, v5, 23, 0x37800000
	v_cndmask_b32_e32 v4, v4, v21, vcc_lo
	v_and_b32_e32 v21, 0x80000000, v31
	v_lshlrev_b32_e32 v4, 21, v4
	v_or3_b32 v4, v21, v5, v4
.LBB4_8238:                             ;   in Loop: Header=BB4_7456 Depth=3
	s_or_b32 exec_lo, exec_lo, s23
	s_waitcnt vmcnt(0)
	v_cmp_gt_i16_sdwa s23, v8, v100 src0_sel:BYTE_0 src1_sel:DWORD
	s_mov_b32 s16, 0
	s_and_saveexec_b32 s72, s23
	s_xor_b32 s23, exec_lo, s72
	s_cbranch_execz .LBB4_8680
; %bb.8239:                             ;   in Loop: Header=BB4_7456 Depth=3
	v_cmp_eq_u16_sdwa s73, v8, v101 src0_sel:BYTE_0 src1_sel:DWORD
	s_mov_b32 s16, -1
	s_and_saveexec_b32 s72, s73
; %bb.8240:                             ;   in Loop: Header=BB4_7456 Depth=3
	s_xor_b32 s16, exec_lo, -1
; %bb.8241:                             ;   in Loop: Header=BB4_7456 Depth=3
	s_or_b32 exec_lo, exec_lo, s72
	s_and_b32 s16, s16, exec_lo
	s_or_saveexec_b32 s23, s23
	v_mov_b32_e32 v5, 0x7f800001
	s_xor_b32 exec_lo, exec_lo, s23
	s_cbranch_execnz .LBB4_8681
.LBB4_8242:                             ;   in Loop: Header=BB4_7456 Depth=3
	s_or_b32 exec_lo, exec_lo, s23
	s_and_saveexec_b32 s23, s16
	s_cbranch_execz .LBB4_8244
.LBB4_8243:                             ;   in Loop: Header=BB4_7456 Depth=3
	v_and_b32_e32 v5, 3, v8
	v_bfe_u32 v31, v8, 2, 5
	v_lshlrev_b32_e32 v34, 24, v8
	v_ffbh_u32_e32 v21, v5
	v_cmp_eq_u32_e32 vcc_lo, 0, v31
	v_min_u32_e32 v21, 32, v21
	v_subrev_nc_u32_e32 v30, 29, v21
	v_sub_nc_u32_e32 v21, 30, v21
	v_lshlrev_b32_e32 v30, v30, v8
	v_cndmask_b32_e32 v21, v31, v21, vcc_lo
	v_and_b32_e32 v30, 3, v30
	v_lshl_add_u32 v21, v21, 23, 0x37800000
	v_cndmask_b32_e32 v5, v5, v30, vcc_lo
	v_and_b32_e32 v30, 0x80000000, v34
	v_lshlrev_b32_e32 v5, 21, v5
	v_or3_b32 v5, v30, v21, v5
.LBB4_8244:                             ;   in Loop: Header=BB4_7456 Depth=3
	s_or_b32 exec_lo, exec_lo, s23
	v_add_f32_e32 v4, v4, v5
	v_mov_b32_e32 v21, 0x80
	s_mov_b32 s23, exec_lo
	v_and_b32_e32 v5, 0x7f800000, v4
	v_cmpx_ne_u32_e32 0x7f800000, v5
	s_cbranch_execz .LBB4_8252
; %bb.8245:                             ;   in Loop: Header=BB4_7456 Depth=3
	v_mov_b32_e32 v21, 0
	s_mov_b32 s72, exec_lo
	v_cmpx_ne_u32_e32 0, v4
	s_cbranch_execz .LBB4_8251
; %bb.8246:                             ;   in Loop: Header=BB4_7456 Depth=3
	v_bfe_u32 v21, v4, 23, 8
	v_and_b32_e32 v5, 0x7fffff, v4
	v_cmp_gt_u32_e64 s16, 0x71, v21
	v_sub_nc_u32_e32 v30, 0x70, v21
	v_cmp_eq_u32_e32 vcc_lo, 0, v21
	v_or_b32_e32 v31, 0x800000, v5
	v_cndmask_b32_e64 v30, 0, v30, s16
	v_cndmask_b32_e32 v5, v31, v5, vcc_lo
	v_cndmask_b32_e64 v30, v30, 0x6f, vcc_lo
	v_lshl_add_u32 v31, 0x200000, v30, -1
	v_lshlrev_b32_e64 v34, v30, 0x100000
	v_and_b32_e32 v31, v31, v5
	v_cmp_eq_u32_e64 s16, v31, v34
	v_lshrrev_b32_e32 v31, v30, v5
	v_add_nc_u32_e32 v5, 0xffffff91, v21
	v_lshrrev_b32_e32 v21, 23, v31
	v_cndmask_b32_e64 v5, v5, 0xffffff92, vcc_lo
	v_xor_b32_e32 v21, 1, v21
	v_add_nc_u32_e32 v5, v30, v5
	v_bfe_u32 v30, v31, 21, 1
	v_add_nc_u32_e32 v30, -1, v30
	v_cndmask_b32_e64 v30, 0, v30, s16
	s_mov_b32 s16, exec_lo
	v_add_nc_u32_e32 v30, v30, v31
	v_and_b32_e32 v30, 0x1fffff, v30
	v_add_nc_u32_e32 v31, v30, v31
                                        ; implicit-def: $vgpr30
	v_cmpx_ne_u32_e64 v5, v21
	s_xor_b32 s16, exec_lo, s16
; %bb.8247:                             ;   in Loop: Header=BB4_7456 Depth=3
	v_cmp_lt_u32_e32 vcc_lo, 0xffffff, v31
	v_sub_nc_u32_e32 v5, v5, v21
	v_cndmask_b32_e64 v21, 0, 1, vcc_lo
	v_add_co_ci_u32_e64 v30, null, 0, v5, vcc_lo
	v_lshrrev_b32_e32 v31, v21, v31
; %bb.8248:                             ;   in Loop: Header=BB4_7456 Depth=3
	s_andn2_saveexec_b32 s16, s16
; %bb.8249:                             ;   in Loop: Header=BB4_7456 Depth=3
	v_bfe_u32 v30, v31, 23, 1
; %bb.8250:                             ;   in Loop: Header=BB4_7456 Depth=3
	s_or_b32 exec_lo, exec_lo, s16
	v_lshrrev_b32_e32 v5, 21, v31
	v_min_i32_e32 v21, 31, v30
	v_cmp_gt_i32_e32 vcc_lo, 32, v30
	v_and_b32_sdwa v4, v4, v101 dst_sel:DWORD dst_unused:UNUSED_PAD src0_sel:BYTE_3 src1_sel:DWORD
	v_lshlrev_b32_e32 v21, 2, v21
	v_cndmask_b32_e32 v5, 3, v5, vcc_lo
	v_and_b32_e32 v21, 0xfc, v21
	v_and_b32_e32 v31, 3, v5
	v_or_b32_e32 v5, v30, v5
	v_or3_b32 v4, v21, v4, v31
	v_cmp_ne_u32_e32 vcc_lo, 0, v5
	v_cndmask_b32_e32 v21, 0, v4, vcc_lo
.LBB4_8251:                             ;   in Loop: Header=BB4_7456 Depth=3
	s_or_b32 exec_lo, exec_lo, s72
.LBB4_8252:                             ;   in Loop: Header=BB4_7456 Depth=3
	s_or_b32 exec_lo, exec_lo, s23
	v_cmp_gt_i16_sdwa s23, v1, v100 src0_sel:BYTE_1 src1_sel:DWORD
	s_mov_b32 s16, 0
	s_and_saveexec_b32 s72, s23
	s_xor_b32 s23, exec_lo, s72
	s_cbranch_execz .LBB4_8682
; %bb.8253:                             ;   in Loop: Header=BB4_7456 Depth=3
	v_cmp_eq_u16_sdwa s73, v1, v101 src0_sel:BYTE_1 src1_sel:DWORD
	s_mov_b32 s16, -1
	s_and_saveexec_b32 s72, s73
; %bb.8254:                             ;   in Loop: Header=BB4_7456 Depth=3
	s_xor_b32 s16, exec_lo, -1
; %bb.8255:                             ;   in Loop: Header=BB4_7456 Depth=3
	s_or_b32 exec_lo, exec_lo, s72
	s_and_b32 s16, s16, exec_lo
	s_or_saveexec_b32 s23, s23
	v_mov_b32_e32 v4, 0x7f800001
	s_xor_b32 exec_lo, exec_lo, s23
	s_cbranch_execnz .LBB4_8683
.LBB4_8256:                             ;   in Loop: Header=BB4_7456 Depth=3
	s_or_b32 exec_lo, exec_lo, s23
	s_and_saveexec_b32 s23, s16
	s_cbranch_execz .LBB4_8258
.LBB4_8257:                             ;   in Loop: Header=BB4_7456 Depth=3
	v_and_b32_sdwa v4, v102, v1 dst_sel:DWORD dst_unused:UNUSED_PAD src0_sel:DWORD src1_sel:BYTE_1
	v_and_b32_e32 v5, 3, v4
	v_bfe_u32 v34, v4, 2, 5
	v_ffbh_u32_e32 v30, v5
	v_cmp_eq_u32_e32 vcc_lo, 0, v34
	v_min_u32_e32 v30, 32, v30
	v_subrev_nc_u32_e32 v31, 29, v30
	v_sub_nc_u32_e32 v30, 30, v30
	v_lshlrev_b32_e32 v4, v31, v4
	v_lshlrev_b32_sdwa v31, v103, v1 dst_sel:DWORD dst_unused:UNUSED_PAD src0_sel:DWORD src1_sel:BYTE_1
	v_cndmask_b32_e32 v30, v34, v30, vcc_lo
	v_and_b32_e32 v4, 3, v4
	v_lshl_add_u32 v30, v30, 23, 0x37800000
	v_cndmask_b32_e32 v4, v5, v4, vcc_lo
	v_and_b32_e32 v5, 0x80000000, v31
	v_lshlrev_b32_e32 v4, 21, v4
	v_or3_b32 v4, v5, v30, v4
.LBB4_8258:                             ;   in Loop: Header=BB4_7456 Depth=3
	s_or_b32 exec_lo, exec_lo, s23
	v_cmp_gt_i16_sdwa s23, v8, v100 src0_sel:BYTE_1 src1_sel:DWORD
	s_mov_b32 s16, 0
	s_and_saveexec_b32 s72, s23
	s_xor_b32 s23, exec_lo, s72
	s_cbranch_execz .LBB4_8684
; %bb.8259:                             ;   in Loop: Header=BB4_7456 Depth=3
	v_cmp_eq_u16_sdwa s73, v8, v101 src0_sel:BYTE_1 src1_sel:DWORD
	s_mov_b32 s16, -1
	s_and_saveexec_b32 s72, s73
; %bb.8260:                             ;   in Loop: Header=BB4_7456 Depth=3
	s_xor_b32 s16, exec_lo, -1
; %bb.8261:                             ;   in Loop: Header=BB4_7456 Depth=3
	s_or_b32 exec_lo, exec_lo, s72
	s_and_b32 s16, s16, exec_lo
	s_or_saveexec_b32 s23, s23
	v_mov_b32_e32 v5, 0x7f800001
	s_xor_b32 exec_lo, exec_lo, s23
	s_cbranch_execnz .LBB4_8685
.LBB4_8262:                             ;   in Loop: Header=BB4_7456 Depth=3
	s_or_b32 exec_lo, exec_lo, s23
	s_and_saveexec_b32 s23, s16
	s_cbranch_execz .LBB4_8264
.LBB4_8263:                             ;   in Loop: Header=BB4_7456 Depth=3
	v_and_b32_sdwa v5, v102, v8 dst_sel:DWORD dst_unused:UNUSED_PAD src0_sel:DWORD src1_sel:BYTE_1
	v_and_b32_e32 v30, 3, v5
	v_bfe_u32 v35, v5, 2, 5
	v_ffbh_u32_e32 v31, v30
	v_cmp_eq_u32_e32 vcc_lo, 0, v35
	v_min_u32_e32 v31, 32, v31
	v_subrev_nc_u32_e32 v34, 29, v31
	v_sub_nc_u32_e32 v31, 30, v31
	v_lshlrev_b32_e32 v5, v34, v5
	v_lshlrev_b32_sdwa v34, v103, v8 dst_sel:DWORD dst_unused:UNUSED_PAD src0_sel:DWORD src1_sel:BYTE_1
	v_cndmask_b32_e32 v31, v35, v31, vcc_lo
	v_and_b32_e32 v5, 3, v5
	v_lshl_add_u32 v31, v31, 23, 0x37800000
	v_cndmask_b32_e32 v5, v30, v5, vcc_lo
	v_and_b32_e32 v30, 0x80000000, v34
	v_lshlrev_b32_e32 v5, 21, v5
	v_or3_b32 v5, v30, v31, v5
.LBB4_8264:                             ;   in Loop: Header=BB4_7456 Depth=3
	s_or_b32 exec_lo, exec_lo, s23
	v_add_f32_e32 v4, v4, v5
	v_mov_b32_e32 v30, 0x8000
	s_mov_b32 s23, exec_lo
	v_and_b32_e32 v5, 0x7f800000, v4
	v_cmpx_ne_u32_e32 0x7f800000, v5
	s_cbranch_execz .LBB4_8272
; %bb.8265:                             ;   in Loop: Header=BB4_7456 Depth=3
	v_mov_b32_e32 v30, 0
	s_mov_b32 s72, exec_lo
	v_cmpx_ne_u32_e32 0, v4
	s_cbranch_execz .LBB4_8271
; %bb.8266:                             ;   in Loop: Header=BB4_7456 Depth=3
	v_bfe_u32 v30, v4, 23, 8
	v_and_b32_e32 v5, 0x7fffff, v4
	v_cmp_gt_u32_e64 s16, 0x71, v30
	v_sub_nc_u32_e32 v31, 0x70, v30
	v_cmp_eq_u32_e32 vcc_lo, 0, v30
	v_or_b32_e32 v34, 0x800000, v5
	v_cndmask_b32_e64 v31, 0, v31, s16
	v_cndmask_b32_e32 v5, v34, v5, vcc_lo
	v_cndmask_b32_e64 v31, v31, 0x6f, vcc_lo
	v_lshl_add_u32 v34, 0x200000, v31, -1
	v_lshlrev_b32_e64 v35, v31, 0x100000
	v_and_b32_e32 v34, v34, v5
	v_cmp_eq_u32_e64 s16, v34, v35
	v_lshrrev_b32_e32 v34, v31, v5
	v_add_nc_u32_e32 v5, 0xffffff91, v30
	v_lshrrev_b32_e32 v30, 23, v34
	v_cndmask_b32_e64 v5, v5, 0xffffff92, vcc_lo
	v_xor_b32_e32 v30, 1, v30
	v_add_nc_u32_e32 v5, v31, v5
	v_bfe_u32 v31, v34, 21, 1
	v_add_nc_u32_e32 v31, -1, v31
	v_cndmask_b32_e64 v31, 0, v31, s16
	s_mov_b32 s16, exec_lo
	v_add_nc_u32_e32 v31, v31, v34
	v_and_b32_e32 v31, 0x1fffff, v31
	v_add_nc_u32_e32 v34, v31, v34
                                        ; implicit-def: $vgpr31
	v_cmpx_ne_u32_e64 v5, v30
	s_xor_b32 s16, exec_lo, s16
; %bb.8267:                             ;   in Loop: Header=BB4_7456 Depth=3
	v_cmp_lt_u32_e32 vcc_lo, 0xffffff, v34
	v_sub_nc_u32_e32 v5, v5, v30
	v_cndmask_b32_e64 v30, 0, 1, vcc_lo
	v_add_co_ci_u32_e64 v31, null, 0, v5, vcc_lo
	v_lshrrev_b32_e32 v34, v30, v34
; %bb.8268:                             ;   in Loop: Header=BB4_7456 Depth=3
	s_andn2_saveexec_b32 s16, s16
; %bb.8269:                             ;   in Loop: Header=BB4_7456 Depth=3
	v_bfe_u32 v31, v34, 23, 1
; %bb.8270:                             ;   in Loop: Header=BB4_7456 Depth=3
	s_or_b32 exec_lo, exec_lo, s16
	v_lshrrev_b32_e32 v5, 21, v34
	v_min_i32_e32 v30, 31, v31
	v_cmp_gt_i32_e32 vcc_lo, 32, v31
	v_and_b32_sdwa v4, v4, v101 dst_sel:DWORD dst_unused:UNUSED_PAD src0_sel:BYTE_3 src1_sel:DWORD
	v_lshlrev_b32_e32 v30, 2, v30
	v_cndmask_b32_e32 v5, 3, v5, vcc_lo
	v_and_b32_e32 v30, 0xfc, v30
	v_and_b32_e32 v34, 3, v5
	v_or_b32_e32 v5, v31, v5
	v_or3_b32 v4, v4, v30, v34
	v_cmp_ne_u32_e32 vcc_lo, 0, v5
	v_lshlrev_b32_e32 v4, 8, v4
	v_cndmask_b32_e32 v30, 0, v4, vcc_lo
.LBB4_8271:                             ;   in Loop: Header=BB4_7456 Depth=3
	s_or_b32 exec_lo, exec_lo, s72
.LBB4_8272:                             ;   in Loop: Header=BB4_7456 Depth=3
	s_or_b32 exec_lo, exec_lo, s23
	v_or_b32_e32 v5, v92, v91
	s_mov_b32 s16, 0
	v_cmp_gt_i16_sdwa s23, v5, v100 src0_sel:BYTE_0 src1_sel:DWORD
	s_and_saveexec_b32 s72, s23
	s_xor_b32 s23, exec_lo, s72
	s_cbranch_execz .LBB4_8686
; %bb.8273:                             ;   in Loop: Header=BB4_7456 Depth=3
	v_cmp_eq_u16_sdwa s73, v5, v101 src0_sel:BYTE_0 src1_sel:DWORD
	s_mov_b32 s16, -1
	s_and_saveexec_b32 s72, s73
; %bb.8274:                             ;   in Loop: Header=BB4_7456 Depth=3
	s_xor_b32 s16, exec_lo, -1
; %bb.8275:                             ;   in Loop: Header=BB4_7456 Depth=3
	s_or_b32 exec_lo, exec_lo, s72
	s_and_b32 s16, s16, exec_lo
	s_or_saveexec_b32 s23, s23
	v_mov_b32_e32 v4, 0x7f800001
	s_xor_b32 exec_lo, exec_lo, s23
	s_cbranch_execnz .LBB4_8687
.LBB4_8276:                             ;   in Loop: Header=BB4_7456 Depth=3
	s_or_b32 exec_lo, exec_lo, s23
	v_lshl_or_b32 v1, v5, 16, v1
	s_and_saveexec_b32 s23, s16
	s_cbranch_execz .LBB4_8278
.LBB4_8277:                             ;   in Loop: Header=BB4_7456 Depth=3
	v_bfe_u32 v4, v1, 16, 2
	v_bfe_u32 v34, v1, 18, 5
	v_lshlrev_b32_e32 v35, 8, v1
	v_ffbh_u32_e32 v5, v4
	v_cmp_eq_u32_e32 vcc_lo, 0, v34
	v_min_u32_e32 v5, 32, v5
	v_subrev_nc_u32_e32 v31, 29, v5
	v_sub_nc_u32_e32 v5, 30, v5
	v_lshlrev_b32_sdwa v31, v31, v1 dst_sel:DWORD dst_unused:UNUSED_PAD src0_sel:DWORD src1_sel:WORD_1
	v_cndmask_b32_e32 v5, v34, v5, vcc_lo
	v_and_b32_e32 v31, 3, v31
	v_lshl_add_u32 v5, v5, 23, 0x37800000
	v_cndmask_b32_e32 v4, v4, v31, vcc_lo
	v_and_b32_e32 v31, 0x80000000, v35
	v_lshlrev_b32_e32 v4, 21, v4
	v_or3_b32 v4, v31, v5, v4
.LBB4_8278:                             ;   in Loop: Header=BB4_7456 Depth=3
	s_or_b32 exec_lo, exec_lo, s23
	v_and_b32_sdwa v31, v8, v112 dst_sel:DWORD dst_unused:UNUSED_PAD src0_sel:WORD_1 src1_sel:DWORD
	s_mov_b32 s16, 0
	s_mov_b32 s23, exec_lo
	v_cmpx_lt_i16_e32 0x7f, v31
	s_xor_b32 s23, exec_lo, s23
	s_cbranch_execz .LBB4_8688
; %bb.8279:                             ;   in Loop: Header=BB4_7456 Depth=3
	s_mov_b32 s16, -1
	s_mov_b32 s72, exec_lo
	v_cmpx_eq_u16_e32 0x80, v31
; %bb.8280:                             ;   in Loop: Header=BB4_7456 Depth=3
	s_xor_b32 s16, exec_lo, -1
; %bb.8281:                             ;   in Loop: Header=BB4_7456 Depth=3
	s_or_b32 exec_lo, exec_lo, s72
	s_and_b32 s16, s16, exec_lo
                                        ; implicit-def: $vgpr31
	s_or_saveexec_b32 s23, s23
	v_mov_b32_e32 v5, 0x7f800001
	s_xor_b32 exec_lo, exec_lo, s23
	s_cbranch_execnz .LBB4_8689
.LBB4_8282:                             ;   in Loop: Header=BB4_7456 Depth=3
	s_or_b32 exec_lo, exec_lo, s23
	s_and_saveexec_b32 s23, s16
	s_cbranch_execz .LBB4_8284
.LBB4_8283:                             ;   in Loop: Header=BB4_7456 Depth=3
	v_bfe_u32 v5, v8, 16, 2
	v_bfe_u32 v35, v8, 18, 5
	v_lshlrev_b32_e32 v36, 8, v8
	v_ffbh_u32_e32 v31, v5
	v_cmp_eq_u32_e32 vcc_lo, 0, v35
	v_min_u32_e32 v31, 32, v31
	v_subrev_nc_u32_e32 v34, 29, v31
	v_sub_nc_u32_e32 v31, 30, v31
	v_lshlrev_b32_sdwa v34, v34, v8 dst_sel:DWORD dst_unused:UNUSED_PAD src0_sel:DWORD src1_sel:WORD_1
	v_cndmask_b32_e32 v31, v35, v31, vcc_lo
	v_and_b32_e32 v34, 3, v34
	v_lshl_add_u32 v31, v31, 23, 0x37800000
	v_cndmask_b32_e32 v5, v5, v34, vcc_lo
	v_and_b32_e32 v34, 0x80000000, v36
	v_lshlrev_b32_e32 v5, 21, v5
	v_or3_b32 v5, v34, v31, v5
.LBB4_8284:                             ;   in Loop: Header=BB4_7456 Depth=3
	s_or_b32 exec_lo, exec_lo, s23
	v_add_f32_e32 v5, v4, v5
	v_and_b32_e32 v4, 0x7f800000, v5
	v_cmp_ne_u32_e32 vcc_lo, 0x7f800000, v4
	v_mov_b32_e32 v4, 0x80
	s_and_saveexec_b32 s23, vcc_lo
	s_cbranch_execz .LBB4_8292
; %bb.8285:                             ;   in Loop: Header=BB4_7456 Depth=3
	v_mov_b32_e32 v4, 0
	s_mov_b32 s72, exec_lo
	v_cmpx_ne_u32_e32 0, v5
	s_cbranch_execz .LBB4_8291
; %bb.8286:                             ;   in Loop: Header=BB4_7456 Depth=3
	v_bfe_u32 v31, v5, 23, 8
	v_and_b32_e32 v4, 0x7fffff, v5
	v_cmp_gt_u32_e64 s16, 0x71, v31
	v_sub_nc_u32_e32 v34, 0x70, v31
	v_cmp_eq_u32_e32 vcc_lo, 0, v31
	v_or_b32_e32 v35, 0x800000, v4
	v_cndmask_b32_e64 v34, 0, v34, s16
	v_cndmask_b32_e32 v4, v35, v4, vcc_lo
	v_cndmask_b32_e64 v34, v34, 0x6f, vcc_lo
	v_lshl_add_u32 v35, 0x200000, v34, -1
	v_lshlrev_b32_e64 v36, v34, 0x100000
	v_and_b32_e32 v35, v35, v4
	v_cmp_eq_u32_e64 s16, v35, v36
	v_lshrrev_b32_e32 v35, v34, v4
	v_add_nc_u32_e32 v4, 0xffffff91, v31
	v_lshrrev_b32_e32 v31, 23, v35
	v_cndmask_b32_e64 v4, v4, 0xffffff92, vcc_lo
	v_xor_b32_e32 v31, 1, v31
	v_add_nc_u32_e32 v4, v34, v4
	v_bfe_u32 v34, v35, 21, 1
	v_add_nc_u32_e32 v34, -1, v34
	v_cndmask_b32_e64 v34, 0, v34, s16
	s_mov_b32 s16, exec_lo
	v_add_nc_u32_e32 v34, v34, v35
	v_and_b32_e32 v34, 0x1fffff, v34
	v_add_nc_u32_e32 v35, v34, v35
                                        ; implicit-def: $vgpr34
	v_cmpx_ne_u32_e64 v4, v31
	s_xor_b32 s16, exec_lo, s16
; %bb.8287:                             ;   in Loop: Header=BB4_7456 Depth=3
	v_cmp_lt_u32_e32 vcc_lo, 0xffffff, v35
	v_sub_nc_u32_e32 v4, v4, v31
	v_cndmask_b32_e64 v31, 0, 1, vcc_lo
	v_add_co_ci_u32_e64 v34, null, 0, v4, vcc_lo
	v_lshrrev_b32_e32 v35, v31, v35
; %bb.8288:                             ;   in Loop: Header=BB4_7456 Depth=3
	s_andn2_saveexec_b32 s16, s16
; %bb.8289:                             ;   in Loop: Header=BB4_7456 Depth=3
	v_bfe_u32 v34, v35, 23, 1
; %bb.8290:                             ;   in Loop: Header=BB4_7456 Depth=3
	s_or_b32 exec_lo, exec_lo, s16
	v_lshrrev_b32_e32 v4, 21, v35
	v_min_i32_e32 v31, 31, v34
	v_cmp_gt_i32_e32 vcc_lo, 32, v34
	v_and_b32_sdwa v5, v5, v101 dst_sel:DWORD dst_unused:UNUSED_PAD src0_sel:BYTE_3 src1_sel:DWORD
	v_lshlrev_b32_e32 v31, 2, v31
	v_cndmask_b32_e32 v4, 3, v4, vcc_lo
	v_and_b32_e32 v31, 0xfc, v31
	v_and_b32_e32 v35, 3, v4
	v_or_b32_e32 v4, v34, v4
	v_or3_b32 v5, v31, v5, v35
	v_cmp_ne_u32_e32 vcc_lo, 0, v4
	v_cndmask_b32_e32 v4, 0, v5, vcc_lo
.LBB4_8291:                             ;   in Loop: Header=BB4_7456 Depth=3
	s_or_b32 exec_lo, exec_lo, s72
.LBB4_8292:                             ;   in Loop: Header=BB4_7456 Depth=3
	s_or_b32 exec_lo, exec_lo, s23
	v_cmp_gt_i16_sdwa s23, v1, v100 src0_sel:BYTE_3 src1_sel:DWORD
	s_mov_b32 s16, 0
	s_and_saveexec_b32 s72, s23
	s_xor_b32 s23, exec_lo, s72
	s_cbranch_execz .LBB4_8690
; %bb.8293:                             ;   in Loop: Header=BB4_7456 Depth=3
	v_cmp_eq_u16_sdwa s73, v1, v101 src0_sel:BYTE_3 src1_sel:DWORD
	s_mov_b32 s16, -1
	s_and_saveexec_b32 s72, s73
; %bb.8294:                             ;   in Loop: Header=BB4_7456 Depth=3
	s_xor_b32 s16, exec_lo, -1
; %bb.8295:                             ;   in Loop: Header=BB4_7456 Depth=3
	s_or_b32 exec_lo, exec_lo, s72
	s_and_b32 s16, s16, exec_lo
	s_or_saveexec_b32 s23, s23
	v_mov_b32_e32 v5, 0x7f800001
	s_xor_b32 exec_lo, exec_lo, s23
	s_cbranch_execnz .LBB4_8691
.LBB4_8296:                             ;   in Loop: Header=BB4_7456 Depth=3
	s_or_b32 exec_lo, exec_lo, s23
	s_and_saveexec_b32 s23, s16
	s_cbranch_execz .LBB4_8298
.LBB4_8297:                             ;   in Loop: Header=BB4_7456 Depth=3
	v_bfe_u32 v5, v1, 24, 2
	v_bfe_u32 v35, v1, 26, 5
	v_ffbh_u32_e32 v31, v5
	v_cmp_eq_u32_e32 vcc_lo, 0, v35
	v_min_u32_e32 v31, 32, v31
	v_subrev_nc_u32_e32 v34, 29, v31
	v_sub_nc_u32_e32 v31, 30, v31
	v_lshlrev_b32_sdwa v34, v34, v1 dst_sel:DWORD dst_unused:UNUSED_PAD src0_sel:DWORD src1_sel:BYTE_3
	v_cndmask_b32_e32 v31, v35, v31, vcc_lo
	v_and_b32_e32 v1, 0x80000000, v1
	v_and_b32_e32 v34, 3, v34
	v_lshl_add_u32 v31, v31, 23, 0x37800000
	v_cndmask_b32_e32 v5, v5, v34, vcc_lo
	v_lshlrev_b32_e32 v5, 21, v5
	v_or3_b32 v5, v1, v31, v5
.LBB4_8298:                             ;   in Loop: Header=BB4_7456 Depth=3
	s_or_b32 exec_lo, exec_lo, s23
	v_cmp_gt_i16_sdwa s23, v8, v100 src0_sel:BYTE_3 src1_sel:DWORD
	s_mov_b32 s16, 0
	s_and_saveexec_b32 s72, s23
	s_xor_b32 s23, exec_lo, s72
	s_cbranch_execz .LBB4_8692
; %bb.8299:                             ;   in Loop: Header=BB4_7456 Depth=3
	v_cmp_eq_u16_sdwa s73, v8, v101 src0_sel:BYTE_3 src1_sel:DWORD
	s_mov_b32 s16, -1
	s_and_saveexec_b32 s72, s73
; %bb.8300:                             ;   in Loop: Header=BB4_7456 Depth=3
	s_xor_b32 s16, exec_lo, -1
; %bb.8301:                             ;   in Loop: Header=BB4_7456 Depth=3
	s_or_b32 exec_lo, exec_lo, s72
	s_and_b32 s16, s16, exec_lo
	s_or_saveexec_b32 s23, s23
	v_mov_b32_e32 v1, 0x7f800001
	s_xor_b32 exec_lo, exec_lo, s23
	s_cbranch_execnz .LBB4_8693
.LBB4_8302:                             ;   in Loop: Header=BB4_7456 Depth=3
	s_or_b32 exec_lo, exec_lo, s23
	s_and_saveexec_b32 s23, s16
	s_cbranch_execz .LBB4_8304
.LBB4_8303:                             ;   in Loop: Header=BB4_7456 Depth=3
	v_bfe_u32 v1, v8, 24, 2
	v_bfe_u32 v35, v8, 26, 5
	v_ffbh_u32_e32 v31, v1
	v_cmp_eq_u32_e32 vcc_lo, 0, v35
	v_min_u32_e32 v31, 32, v31
	v_subrev_nc_u32_e32 v34, 29, v31
	v_sub_nc_u32_e32 v31, 30, v31
	v_lshlrev_b32_sdwa v34, v34, v8 dst_sel:DWORD dst_unused:UNUSED_PAD src0_sel:DWORD src1_sel:BYTE_3
	v_cndmask_b32_e32 v31, v35, v31, vcc_lo
	v_and_b32_e32 v8, 0x80000000, v8
	v_and_b32_e32 v34, 3, v34
	v_lshl_add_u32 v31, v31, 23, 0x37800000
	v_cndmask_b32_e32 v1, v1, v34, vcc_lo
	v_lshlrev_b32_e32 v1, 21, v1
	v_or3_b32 v1, v8, v31, v1
.LBB4_8304:                             ;   in Loop: Header=BB4_7456 Depth=3
	s_or_b32 exec_lo, exec_lo, s23
	v_add_f32_e32 v1, v5, v1
	v_and_b32_e32 v5, 0x7f800000, v1
	v_cmp_ne_u32_e32 vcc_lo, 0x7f800000, v5
	v_mov_b32_e32 v5, 0x8000
	s_and_saveexec_b32 s23, vcc_lo
	s_cbranch_execz .LBB4_8312
; %bb.8305:                             ;   in Loop: Header=BB4_7456 Depth=3
	v_mov_b32_e32 v5, 0
	s_mov_b32 s72, exec_lo
	v_cmpx_ne_u32_e32 0, v1
	s_cbranch_execz .LBB4_8311
; %bb.8306:                             ;   in Loop: Header=BB4_7456 Depth=3
	v_bfe_u32 v5, v1, 23, 8
	v_and_b32_e32 v8, 0x7fffff, v1
	v_sub_nc_u32_e32 v31, 0x70, v5
	v_cmp_gt_u32_e32 vcc_lo, 0x71, v5
	v_or_b32_e32 v34, 0x800000, v8
	v_cndmask_b32_e32 v31, 0, v31, vcc_lo
	v_cmp_eq_u32_e32 vcc_lo, 0, v5
	v_add_nc_u32_e32 v5, 0xffffff91, v5
	v_cndmask_b32_e64 v31, v31, 0x6f, vcc_lo
	v_cndmask_b32_e32 v8, v34, v8, vcc_lo
	v_cndmask_b32_e64 v5, v5, 0xffffff92, vcc_lo
	v_lshl_add_u32 v34, 0x200000, v31, -1
	v_lshrrev_b32_e32 v35, v31, v8
	v_lshlrev_b32_e64 v37, v31, 0x100000
	v_add_nc_u32_e32 v31, v31, v5
	v_and_b32_e32 v8, v34, v8
	v_bfe_u32 v36, v35, 21, 1
	v_cmp_eq_u32_e64 s16, v8, v37
	v_add_nc_u32_e32 v34, -1, v36
	v_cndmask_b32_e64 v8, 0, v34, s16
	v_lshrrev_b32_e32 v34, 23, v35
	s_mov_b32 s16, exec_lo
	v_add_nc_u32_e32 v8, v8, v35
	v_xor_b32_e32 v34, 1, v34
	v_and_b32_e32 v5, 0x1fffff, v8
	v_add_nc_u32_e32 v8, v5, v35
                                        ; implicit-def: $vgpr5
	v_cmpx_ne_u32_e64 v31, v34
	s_xor_b32 s16, exec_lo, s16
; %bb.8307:                             ;   in Loop: Header=BB4_7456 Depth=3
	v_cmp_lt_u32_e32 vcc_lo, 0xffffff, v8
	v_sub_nc_u32_e32 v5, v31, v34
	v_cndmask_b32_e64 v31, 0, 1, vcc_lo
	v_add_co_ci_u32_e64 v5, null, 0, v5, vcc_lo
	v_lshrrev_b32_e32 v8, v31, v8
; %bb.8308:                             ;   in Loop: Header=BB4_7456 Depth=3
	s_andn2_saveexec_b32 s16, s16
; %bb.8309:                             ;   in Loop: Header=BB4_7456 Depth=3
	v_bfe_u32 v5, v8, 23, 1
; %bb.8310:                             ;   in Loop: Header=BB4_7456 Depth=3
	s_or_b32 exec_lo, exec_lo, s16
	v_lshrrev_b32_e32 v8, 21, v8
	v_min_i32_e32 v31, 31, v5
	v_cmp_gt_i32_e32 vcc_lo, 32, v5
	v_and_b32_sdwa v1, v1, v101 dst_sel:DWORD dst_unused:UNUSED_PAD src0_sel:BYTE_3 src1_sel:DWORD
	v_lshlrev_b32_e32 v31, 2, v31
	v_cndmask_b32_e32 v8, 3, v8, vcc_lo
	v_and_b32_e32 v31, 0xfc, v31
	v_and_b32_e32 v34, 3, v8
	v_or_b32_e32 v5, v5, v8
	v_or3_b32 v1, v1, v31, v34
	v_cmp_ne_u32_e32 vcc_lo, 0, v5
	v_lshlrev_b32_e32 v1, 8, v1
	v_cndmask_b32_e32 v5, 0, v1, vcc_lo
.LBB4_8311:                             ;   in Loop: Header=BB4_7456 Depth=3
	s_or_b32 exec_lo, exec_lo, s72
.LBB4_8312:                             ;   in Loop: Header=BB4_7456 Depth=3
	s_or_b32 exec_lo, exec_lo, s23
	v_or_b32_e32 v1, v90, v89
	s_mov_b32 s16, 0
	v_cmp_gt_i16_sdwa s23, v1, v100 src0_sel:BYTE_0 src1_sel:DWORD
	s_and_saveexec_b32 s72, s23
	s_xor_b32 s23, exec_lo, s72
	s_cbranch_execz .LBB4_8694
; %bb.8313:                             ;   in Loop: Header=BB4_7456 Depth=3
	v_cmp_eq_u16_sdwa s73, v1, v101 src0_sel:BYTE_0 src1_sel:DWORD
	s_mov_b32 s16, -1
	s_and_saveexec_b32 s72, s73
; %bb.8314:                             ;   in Loop: Header=BB4_7456 Depth=3
	s_xor_b32 s16, exec_lo, -1
; %bb.8315:                             ;   in Loop: Header=BB4_7456 Depth=3
	s_or_b32 exec_lo, exec_lo, s72
	s_and_b32 s16, s16, exec_lo
	s_or_saveexec_b32 s23, s23
	v_mov_b32_e32 v8, 0x7f800001
	s_xor_b32 exec_lo, exec_lo, s23
	s_cbranch_execnz .LBB4_8695
.LBB4_8316:                             ;   in Loop: Header=BB4_7456 Depth=3
	s_or_b32 exec_lo, exec_lo, s23
	s_and_saveexec_b32 s23, s16
	s_cbranch_execz .LBB4_8318
.LBB4_8317:                             ;   in Loop: Header=BB4_7456 Depth=3
	v_and_b32_e32 v8, 3, v1
	v_bfe_u32 v35, v1, 2, 5
	v_lshlrev_b32_e32 v36, 24, v1
	v_ffbh_u32_e32 v31, v8
	v_cmp_eq_u32_e32 vcc_lo, 0, v35
	v_min_u32_e32 v31, 32, v31
	v_subrev_nc_u32_e32 v34, 29, v31
	v_sub_nc_u32_e32 v31, 30, v31
	v_lshlrev_b32_e32 v34, v34, v1
	v_cndmask_b32_e32 v31, v35, v31, vcc_lo
	v_and_b32_e32 v34, 3, v34
	v_lshl_add_u32 v31, v31, 23, 0x37800000
	v_cndmask_b32_e32 v8, v8, v34, vcc_lo
	v_and_b32_e32 v34, 0x80000000, v36
	v_lshlrev_b32_e32 v8, 21, v8
	v_or3_b32 v8, v34, v31, v8
.LBB4_8318:                             ;   in Loop: Header=BB4_7456 Depth=3
	s_or_b32 exec_lo, exec_lo, s23
	v_cmp_gt_i16_sdwa s23, v9, v100 src0_sel:BYTE_0 src1_sel:DWORD
	s_mov_b32 s16, 0
	s_and_saveexec_b32 s72, s23
	s_xor_b32 s23, exec_lo, s72
	s_cbranch_execz .LBB4_8696
; %bb.8319:                             ;   in Loop: Header=BB4_7456 Depth=3
	v_cmp_eq_u16_sdwa s73, v9, v101 src0_sel:BYTE_0 src1_sel:DWORD
	s_mov_b32 s16, -1
	s_and_saveexec_b32 s72, s73
; %bb.8320:                             ;   in Loop: Header=BB4_7456 Depth=3
	s_xor_b32 s16, exec_lo, -1
; %bb.8321:                             ;   in Loop: Header=BB4_7456 Depth=3
	s_or_b32 exec_lo, exec_lo, s72
	s_and_b32 s16, s16, exec_lo
	s_or_saveexec_b32 s23, s23
	v_mov_b32_e32 v31, 0x7f800001
	s_xor_b32 exec_lo, exec_lo, s23
	s_cbranch_execnz .LBB4_8697
.LBB4_8322:                             ;   in Loop: Header=BB4_7456 Depth=3
	s_or_b32 exec_lo, exec_lo, s23
	s_and_saveexec_b32 s23, s16
	s_cbranch_execz .LBB4_8324
.LBB4_8323:                             ;   in Loop: Header=BB4_7456 Depth=3
	v_and_b32_e32 v31, 3, v9
	v_bfe_u32 v36, v9, 2, 5
	v_lshlrev_b32_e32 v37, 24, v9
	v_ffbh_u32_e32 v34, v31
	v_cmp_eq_u32_e32 vcc_lo, 0, v36
	v_min_u32_e32 v34, 32, v34
	v_subrev_nc_u32_e32 v35, 29, v34
	v_sub_nc_u32_e32 v34, 30, v34
	v_lshlrev_b32_e32 v35, v35, v9
	v_cndmask_b32_e32 v34, v36, v34, vcc_lo
	v_and_b32_e32 v35, 3, v35
	v_lshl_add_u32 v34, v34, 23, 0x37800000
	v_cndmask_b32_e32 v31, v31, v35, vcc_lo
	v_and_b32_e32 v35, 0x80000000, v37
	v_lshlrev_b32_e32 v31, 21, v31
	v_or3_b32 v31, v35, v34, v31
.LBB4_8324:                             ;   in Loop: Header=BB4_7456 Depth=3
	s_or_b32 exec_lo, exec_lo, s23
	v_add_f32_e32 v31, v8, v31
	v_and_b32_e32 v8, 0x7f800000, v31
	v_cmp_ne_u32_e32 vcc_lo, 0x7f800000, v8
	v_mov_b32_e32 v8, 0x80
	s_and_saveexec_b32 s23, vcc_lo
	s_cbranch_execz .LBB4_8332
; %bb.8325:                             ;   in Loop: Header=BB4_7456 Depth=3
	v_mov_b32_e32 v8, 0
	s_mov_b32 s72, exec_lo
	v_cmpx_ne_u32_e32 0, v31
	s_cbranch_execz .LBB4_8331
; %bb.8326:                             ;   in Loop: Header=BB4_7456 Depth=3
	v_bfe_u32 v8, v31, 23, 8
	v_and_b32_e32 v34, 0x7fffff, v31
	v_sub_nc_u32_e32 v35, 0x70, v8
	v_cmp_gt_u32_e32 vcc_lo, 0x71, v8
	v_or_b32_e32 v36, 0x800000, v34
	v_cndmask_b32_e32 v35, 0, v35, vcc_lo
	v_cmp_eq_u32_e32 vcc_lo, 0, v8
	v_add_nc_u32_e32 v8, 0xffffff91, v8
	v_cndmask_b32_e64 v35, v35, 0x6f, vcc_lo
	v_cndmask_b32_e32 v34, v36, v34, vcc_lo
	v_cndmask_b32_e64 v8, v8, 0xffffff92, vcc_lo
	v_lshl_add_u32 v36, 0x200000, v35, -1
	v_lshrrev_b32_e32 v37, v35, v34
	v_lshlrev_b32_e64 v51, v35, 0x100000
	v_add_nc_u32_e32 v35, v35, v8
	v_and_b32_e32 v34, v36, v34
	v_bfe_u32 v50, v37, 21, 1
	v_cmp_eq_u32_e64 s16, v34, v51
	v_add_nc_u32_e32 v36, -1, v50
	v_cndmask_b32_e64 v34, 0, v36, s16
	v_lshrrev_b32_e32 v36, 23, v37
	s_mov_b32 s16, exec_lo
	v_add_nc_u32_e32 v34, v34, v37
	v_xor_b32_e32 v36, 1, v36
	v_and_b32_e32 v8, 0x1fffff, v34
	v_add_nc_u32_e32 v34, v8, v37
                                        ; implicit-def: $vgpr8
	v_cmpx_ne_u32_e64 v35, v36
	s_xor_b32 s16, exec_lo, s16
; %bb.8327:                             ;   in Loop: Header=BB4_7456 Depth=3
	v_cmp_lt_u32_e32 vcc_lo, 0xffffff, v34
	v_sub_nc_u32_e32 v8, v35, v36
	v_cndmask_b32_e64 v35, 0, 1, vcc_lo
	v_add_co_ci_u32_e64 v8, null, 0, v8, vcc_lo
	v_lshrrev_b32_e32 v34, v35, v34
; %bb.8328:                             ;   in Loop: Header=BB4_7456 Depth=3
	s_andn2_saveexec_b32 s16, s16
; %bb.8329:                             ;   in Loop: Header=BB4_7456 Depth=3
	v_bfe_u32 v8, v34, 23, 1
; %bb.8330:                             ;   in Loop: Header=BB4_7456 Depth=3
	s_or_b32 exec_lo, exec_lo, s16
	v_lshrrev_b32_e32 v34, 21, v34
	v_min_i32_e32 v35, 31, v8
	v_cmp_gt_i32_e32 vcc_lo, 32, v8
	v_and_b32_sdwa v31, v31, v101 dst_sel:DWORD dst_unused:UNUSED_PAD src0_sel:BYTE_3 src1_sel:DWORD
	v_lshlrev_b32_e32 v35, 2, v35
	v_cndmask_b32_e32 v34, 3, v34, vcc_lo
	v_and_b32_e32 v35, 0xfc, v35
	v_and_b32_e32 v36, 3, v34
	v_or_b32_e32 v8, v8, v34
	v_or3_b32 v31, v35, v31, v36
	v_cmp_ne_u32_e32 vcc_lo, 0, v8
	v_cndmask_b32_e32 v8, 0, v31, vcc_lo
.LBB4_8331:                             ;   in Loop: Header=BB4_7456 Depth=3
	s_or_b32 exec_lo, exec_lo, s72
.LBB4_8332:                             ;   in Loop: Header=BB4_7456 Depth=3
	s_or_b32 exec_lo, exec_lo, s23
	v_cmp_gt_i16_sdwa s23, v1, v100 src0_sel:BYTE_1 src1_sel:DWORD
	s_mov_b32 s16, 0
	s_and_saveexec_b32 s72, s23
	s_xor_b32 s23, exec_lo, s72
	s_cbranch_execz .LBB4_8698
; %bb.8333:                             ;   in Loop: Header=BB4_7456 Depth=3
	v_cmp_eq_u16_sdwa s73, v1, v101 src0_sel:BYTE_1 src1_sel:DWORD
	s_mov_b32 s16, -1
	s_and_saveexec_b32 s72, s73
; %bb.8334:                             ;   in Loop: Header=BB4_7456 Depth=3
	s_xor_b32 s16, exec_lo, -1
; %bb.8335:                             ;   in Loop: Header=BB4_7456 Depth=3
	s_or_b32 exec_lo, exec_lo, s72
	s_and_b32 s16, s16, exec_lo
	s_or_saveexec_b32 s23, s23
	v_mov_b32_e32 v31, 0x7f800001
	s_xor_b32 exec_lo, exec_lo, s23
	s_cbranch_execnz .LBB4_8699
.LBB4_8336:                             ;   in Loop: Header=BB4_7456 Depth=3
	s_or_b32 exec_lo, exec_lo, s23
	s_and_saveexec_b32 s23, s16
	s_cbranch_execz .LBB4_8338
.LBB4_8337:                             ;   in Loop: Header=BB4_7456 Depth=3
	v_and_b32_sdwa v31, v102, v1 dst_sel:DWORD dst_unused:UNUSED_PAD src0_sel:DWORD src1_sel:BYTE_1
	v_and_b32_e32 v34, 3, v31
	v_bfe_u32 v37, v31, 2, 5
	v_ffbh_u32_e32 v35, v34
	v_cmp_eq_u32_e32 vcc_lo, 0, v37
	v_min_u32_e32 v35, 32, v35
	v_subrev_nc_u32_e32 v36, 29, v35
	v_sub_nc_u32_e32 v35, 30, v35
	v_lshlrev_b32_e32 v31, v36, v31
	v_lshlrev_b32_sdwa v36, v103, v1 dst_sel:DWORD dst_unused:UNUSED_PAD src0_sel:DWORD src1_sel:BYTE_1
	v_cndmask_b32_e32 v35, v37, v35, vcc_lo
	v_and_b32_e32 v31, 3, v31
	v_lshl_add_u32 v35, v35, 23, 0x37800000
	v_cndmask_b32_e32 v31, v34, v31, vcc_lo
	v_and_b32_e32 v34, 0x80000000, v36
	v_lshlrev_b32_e32 v31, 21, v31
	v_or3_b32 v31, v34, v35, v31
.LBB4_8338:                             ;   in Loop: Header=BB4_7456 Depth=3
	s_or_b32 exec_lo, exec_lo, s23
	v_cmp_gt_i16_sdwa s23, v9, v100 src0_sel:BYTE_1 src1_sel:DWORD
	s_mov_b32 s16, 0
	s_and_saveexec_b32 s72, s23
	s_xor_b32 s23, exec_lo, s72
	s_cbranch_execz .LBB4_8700
; %bb.8339:                             ;   in Loop: Header=BB4_7456 Depth=3
	v_cmp_eq_u16_sdwa s73, v9, v101 src0_sel:BYTE_1 src1_sel:DWORD
	s_mov_b32 s16, -1
	s_and_saveexec_b32 s72, s73
; %bb.8340:                             ;   in Loop: Header=BB4_7456 Depth=3
	s_xor_b32 s16, exec_lo, -1
; %bb.8341:                             ;   in Loop: Header=BB4_7456 Depth=3
	s_or_b32 exec_lo, exec_lo, s72
	s_and_b32 s16, s16, exec_lo
	s_or_saveexec_b32 s23, s23
	v_mov_b32_e32 v34, 0x7f800001
	s_xor_b32 exec_lo, exec_lo, s23
	s_cbranch_execnz .LBB4_8701
.LBB4_8342:                             ;   in Loop: Header=BB4_7456 Depth=3
	s_or_b32 exec_lo, exec_lo, s23
	s_and_saveexec_b32 s23, s16
	s_cbranch_execz .LBB4_8344
.LBB4_8343:                             ;   in Loop: Header=BB4_7456 Depth=3
	v_and_b32_sdwa v34, v102, v9 dst_sel:DWORD dst_unused:UNUSED_PAD src0_sel:DWORD src1_sel:BYTE_1
	v_and_b32_e32 v35, 3, v34
	v_bfe_u32 v50, v34, 2, 5
	v_ffbh_u32_e32 v36, v35
	v_cmp_eq_u32_e32 vcc_lo, 0, v50
	v_min_u32_e32 v36, 32, v36
	v_subrev_nc_u32_e32 v37, 29, v36
	v_sub_nc_u32_e32 v36, 30, v36
	v_lshlrev_b32_e32 v34, v37, v34
	v_lshlrev_b32_sdwa v37, v103, v9 dst_sel:DWORD dst_unused:UNUSED_PAD src0_sel:DWORD src1_sel:BYTE_1
	v_cndmask_b32_e32 v36, v50, v36, vcc_lo
	v_and_b32_e32 v34, 3, v34
	v_lshl_add_u32 v36, v36, 23, 0x37800000
	v_cndmask_b32_e32 v34, v35, v34, vcc_lo
	v_and_b32_e32 v35, 0x80000000, v37
	v_lshlrev_b32_e32 v34, 21, v34
	v_or3_b32 v34, v35, v36, v34
.LBB4_8344:                             ;   in Loop: Header=BB4_7456 Depth=3
	s_or_b32 exec_lo, exec_lo, s23
	v_add_f32_e32 v31, v31, v34
	v_and_b32_e32 v34, 0x7f800000, v31
	v_cmp_ne_u32_e32 vcc_lo, 0x7f800000, v34
	v_mov_b32_e32 v34, 0x8000
	s_and_saveexec_b32 s23, vcc_lo
	s_cbranch_execz .LBB4_8352
; %bb.8345:                             ;   in Loop: Header=BB4_7456 Depth=3
	v_mov_b32_e32 v34, 0
	s_mov_b32 s72, exec_lo
	v_cmpx_ne_u32_e32 0, v31
	s_cbranch_execz .LBB4_8351
; %bb.8346:                             ;   in Loop: Header=BB4_7456 Depth=3
	v_bfe_u32 v35, v31, 23, 8
	v_and_b32_e32 v34, 0x7fffff, v31
	v_cmp_gt_u32_e64 s16, 0x71, v35
	v_sub_nc_u32_e32 v36, 0x70, v35
	v_cmp_eq_u32_e32 vcc_lo, 0, v35
	v_or_b32_e32 v37, 0x800000, v34
	v_cndmask_b32_e64 v36, 0, v36, s16
	v_cndmask_b32_e32 v34, v37, v34, vcc_lo
	v_cndmask_b32_e64 v36, v36, 0x6f, vcc_lo
	v_lshl_add_u32 v37, 0x200000, v36, -1
	v_lshlrev_b32_e64 v50, v36, 0x100000
	v_and_b32_e32 v37, v37, v34
	v_cmp_eq_u32_e64 s16, v37, v50
	v_lshrrev_b32_e32 v37, v36, v34
	v_add_nc_u32_e32 v34, 0xffffff91, v35
	v_lshrrev_b32_e32 v35, 23, v37
	v_cndmask_b32_e64 v34, v34, 0xffffff92, vcc_lo
	v_xor_b32_e32 v35, 1, v35
	v_add_nc_u32_e32 v34, v36, v34
	v_bfe_u32 v36, v37, 21, 1
	v_add_nc_u32_e32 v36, -1, v36
	v_cndmask_b32_e64 v36, 0, v36, s16
	s_mov_b32 s16, exec_lo
	v_add_nc_u32_e32 v36, v36, v37
	v_and_b32_e32 v36, 0x1fffff, v36
	v_add_nc_u32_e32 v37, v36, v37
                                        ; implicit-def: $vgpr36
	v_cmpx_ne_u32_e64 v34, v35
	s_xor_b32 s16, exec_lo, s16
; %bb.8347:                             ;   in Loop: Header=BB4_7456 Depth=3
	v_cmp_lt_u32_e32 vcc_lo, 0xffffff, v37
	v_sub_nc_u32_e32 v34, v34, v35
	v_cndmask_b32_e64 v35, 0, 1, vcc_lo
	v_add_co_ci_u32_e64 v36, null, 0, v34, vcc_lo
	v_lshrrev_b32_e32 v37, v35, v37
; %bb.8348:                             ;   in Loop: Header=BB4_7456 Depth=3
	s_andn2_saveexec_b32 s16, s16
; %bb.8349:                             ;   in Loop: Header=BB4_7456 Depth=3
	v_bfe_u32 v36, v37, 23, 1
; %bb.8350:                             ;   in Loop: Header=BB4_7456 Depth=3
	s_or_b32 exec_lo, exec_lo, s16
	v_lshrrev_b32_e32 v34, 21, v37
	v_min_i32_e32 v35, 31, v36
	v_cmp_gt_i32_e32 vcc_lo, 32, v36
	v_and_b32_sdwa v31, v31, v101 dst_sel:DWORD dst_unused:UNUSED_PAD src0_sel:BYTE_3 src1_sel:DWORD
	v_lshlrev_b32_e32 v35, 2, v35
	v_cndmask_b32_e32 v34, 3, v34, vcc_lo
	v_and_b32_e32 v35, 0xfc, v35
	v_and_b32_e32 v37, 3, v34
	v_or_b32_e32 v34, v36, v34
	v_or3_b32 v31, v31, v35, v37
	v_cmp_ne_u32_e32 vcc_lo, 0, v34
	v_lshlrev_b32_e32 v31, 8, v31
	v_cndmask_b32_e32 v34, 0, v31, vcc_lo
.LBB4_8351:                             ;   in Loop: Header=BB4_7456 Depth=3
	s_or_b32 exec_lo, exec_lo, s72
.LBB4_8352:                             ;   in Loop: Header=BB4_7456 Depth=3
	s_or_b32 exec_lo, exec_lo, s23
	v_or_b32_e32 v35, v88, v77
	s_mov_b32 s16, 0
	v_cmp_gt_i16_sdwa s23, v35, v100 src0_sel:BYTE_0 src1_sel:DWORD
	s_and_saveexec_b32 s72, s23
	s_xor_b32 s23, exec_lo, s72
	s_cbranch_execz .LBB4_8702
; %bb.8353:                             ;   in Loop: Header=BB4_7456 Depth=3
	v_cmp_eq_u16_sdwa s73, v35, v101 src0_sel:BYTE_0 src1_sel:DWORD
	s_mov_b32 s16, -1
	s_and_saveexec_b32 s72, s73
; %bb.8354:                             ;   in Loop: Header=BB4_7456 Depth=3
	s_xor_b32 s16, exec_lo, -1
; %bb.8355:                             ;   in Loop: Header=BB4_7456 Depth=3
	s_or_b32 exec_lo, exec_lo, s72
	s_and_b32 s16, s16, exec_lo
	s_or_saveexec_b32 s23, s23
	v_mov_b32_e32 v31, 0x7f800001
	s_xor_b32 exec_lo, exec_lo, s23
	s_cbranch_execnz .LBB4_8703
.LBB4_8356:                             ;   in Loop: Header=BB4_7456 Depth=3
	s_or_b32 exec_lo, exec_lo, s23
	v_lshl_or_b32 v1, v35, 16, v1
	s_and_saveexec_b32 s23, s16
	s_cbranch_execz .LBB4_8358
.LBB4_8357:                             ;   in Loop: Header=BB4_7456 Depth=3
	v_bfe_u32 v31, v1, 16, 2
	v_bfe_u32 v37, v1, 18, 5
	v_lshlrev_b32_e32 v50, 8, v1
	v_ffbh_u32_e32 v35, v31
	v_cmp_eq_u32_e32 vcc_lo, 0, v37
	v_min_u32_e32 v35, 32, v35
	v_subrev_nc_u32_e32 v36, 29, v35
	v_sub_nc_u32_e32 v35, 30, v35
	v_lshlrev_b32_sdwa v36, v36, v1 dst_sel:DWORD dst_unused:UNUSED_PAD src0_sel:DWORD src1_sel:WORD_1
	v_cndmask_b32_e32 v35, v37, v35, vcc_lo
	v_and_b32_e32 v36, 3, v36
	v_lshl_add_u32 v35, v35, 23, 0x37800000
	v_cndmask_b32_e32 v31, v31, v36, vcc_lo
	v_and_b32_e32 v36, 0x80000000, v50
	v_lshlrev_b32_e32 v31, 21, v31
	v_or3_b32 v31, v36, v35, v31
.LBB4_8358:                             ;   in Loop: Header=BB4_7456 Depth=3
	s_or_b32 exec_lo, exec_lo, s23
	v_and_b32_sdwa v36, v9, v112 dst_sel:DWORD dst_unused:UNUSED_PAD src0_sel:WORD_1 src1_sel:DWORD
	s_mov_b32 s16, 0
	s_mov_b32 s23, exec_lo
	v_cmpx_lt_i16_e32 0x7f, v36
	s_xor_b32 s23, exec_lo, s23
	s_cbranch_execz .LBB4_8704
; %bb.8359:                             ;   in Loop: Header=BB4_7456 Depth=3
	s_mov_b32 s16, -1
	s_mov_b32 s72, exec_lo
	v_cmpx_eq_u16_e32 0x80, v36
; %bb.8360:                             ;   in Loop: Header=BB4_7456 Depth=3
	s_xor_b32 s16, exec_lo, -1
; %bb.8361:                             ;   in Loop: Header=BB4_7456 Depth=3
	s_or_b32 exec_lo, exec_lo, s72
	s_and_b32 s16, s16, exec_lo
                                        ; implicit-def: $vgpr36
	s_or_saveexec_b32 s23, s23
	v_mov_b32_e32 v35, 0x7f800001
	s_xor_b32 exec_lo, exec_lo, s23
	s_cbranch_execnz .LBB4_8705
.LBB4_8362:                             ;   in Loop: Header=BB4_7456 Depth=3
	s_or_b32 exec_lo, exec_lo, s23
	s_and_saveexec_b32 s23, s16
	s_cbranch_execz .LBB4_8364
.LBB4_8363:                             ;   in Loop: Header=BB4_7456 Depth=3
	v_bfe_u32 v35, v9, 16, 2
	v_bfe_u32 v50, v9, 18, 5
	v_lshlrev_b32_e32 v51, 8, v9
	v_ffbh_u32_e32 v36, v35
	v_cmp_eq_u32_e32 vcc_lo, 0, v50
	v_min_u32_e32 v36, 32, v36
	v_subrev_nc_u32_e32 v37, 29, v36
	v_sub_nc_u32_e32 v36, 30, v36
	v_lshlrev_b32_sdwa v37, v37, v9 dst_sel:DWORD dst_unused:UNUSED_PAD src0_sel:DWORD src1_sel:WORD_1
	v_cndmask_b32_e32 v36, v50, v36, vcc_lo
	v_and_b32_e32 v37, 3, v37
	v_lshl_add_u32 v36, v36, 23, 0x37800000
	v_cndmask_b32_e32 v35, v35, v37, vcc_lo
	v_and_b32_e32 v37, 0x80000000, v51
	v_lshlrev_b32_e32 v35, 21, v35
	v_or3_b32 v35, v37, v36, v35
.LBB4_8364:                             ;   in Loop: Header=BB4_7456 Depth=3
	s_or_b32 exec_lo, exec_lo, s23
	v_add_f32_e32 v31, v31, v35
	v_and_b32_e32 v35, 0x7f800000, v31
	v_cmp_ne_u32_e32 vcc_lo, 0x7f800000, v35
	v_mov_b32_e32 v35, 0x80
	s_and_saveexec_b32 s23, vcc_lo
	s_cbranch_execz .LBB4_8372
; %bb.8365:                             ;   in Loop: Header=BB4_7456 Depth=3
	v_mov_b32_e32 v35, 0
	s_mov_b32 s72, exec_lo
	v_cmpx_ne_u32_e32 0, v31
	s_cbranch_execz .LBB4_8371
; %bb.8366:                             ;   in Loop: Header=BB4_7456 Depth=3
	v_bfe_u32 v35, v31, 23, 8
	v_and_b32_e32 v36, 0x7fffff, v31
	v_sub_nc_u32_e32 v37, 0x70, v35
	v_cmp_gt_u32_e32 vcc_lo, 0x71, v35
	v_or_b32_e32 v50, 0x800000, v36
	v_cndmask_b32_e32 v37, 0, v37, vcc_lo
	v_cmp_eq_u32_e32 vcc_lo, 0, v35
	v_add_nc_u32_e32 v35, 0xffffff91, v35
	v_cndmask_b32_e64 v37, v37, 0x6f, vcc_lo
	v_cndmask_b32_e32 v36, v50, v36, vcc_lo
	v_cndmask_b32_e64 v35, v35, 0xffffff92, vcc_lo
	v_lshl_add_u32 v50, 0x200000, v37, -1
	v_lshrrev_b32_e32 v51, v37, v36
	v_lshlrev_b32_e64 v97, v37, 0x100000
	v_add_nc_u32_e32 v37, v37, v35
	v_and_b32_e32 v36, v50, v36
	v_bfe_u32 v96, v51, 21, 1
	v_cmp_eq_u32_e64 s16, v36, v97
	v_add_nc_u32_e32 v50, -1, v96
	v_cndmask_b32_e64 v36, 0, v50, s16
	v_lshrrev_b32_e32 v50, 23, v51
	s_mov_b32 s16, exec_lo
	v_add_nc_u32_e32 v36, v36, v51
	v_xor_b32_e32 v50, 1, v50
	v_and_b32_e32 v35, 0x1fffff, v36
	v_add_nc_u32_e32 v36, v35, v51
                                        ; implicit-def: $vgpr35
	v_cmpx_ne_u32_e64 v37, v50
	s_xor_b32 s16, exec_lo, s16
; %bb.8367:                             ;   in Loop: Header=BB4_7456 Depth=3
	v_cmp_lt_u32_e32 vcc_lo, 0xffffff, v36
	v_sub_nc_u32_e32 v35, v37, v50
	v_cndmask_b32_e64 v37, 0, 1, vcc_lo
	v_add_co_ci_u32_e64 v35, null, 0, v35, vcc_lo
	v_lshrrev_b32_e32 v36, v37, v36
; %bb.8368:                             ;   in Loop: Header=BB4_7456 Depth=3
	s_andn2_saveexec_b32 s16, s16
; %bb.8369:                             ;   in Loop: Header=BB4_7456 Depth=3
	v_bfe_u32 v35, v36, 23, 1
; %bb.8370:                             ;   in Loop: Header=BB4_7456 Depth=3
	s_or_b32 exec_lo, exec_lo, s16
	v_lshrrev_b32_e32 v36, 21, v36
	v_min_i32_e32 v37, 31, v35
	v_cmp_gt_i32_e32 vcc_lo, 32, v35
	v_and_b32_sdwa v31, v31, v101 dst_sel:DWORD dst_unused:UNUSED_PAD src0_sel:BYTE_3 src1_sel:DWORD
	v_lshlrev_b32_e32 v37, 2, v37
	v_cndmask_b32_e32 v36, 3, v36, vcc_lo
	v_and_b32_e32 v37, 0xfc, v37
	v_and_b32_e32 v50, 3, v36
	v_or_b32_e32 v35, v35, v36
	v_or3_b32 v31, v37, v31, v50
	v_cmp_ne_u32_e32 vcc_lo, 0, v35
	v_cndmask_b32_e32 v35, 0, v31, vcc_lo
.LBB4_8371:                             ;   in Loop: Header=BB4_7456 Depth=3
	s_or_b32 exec_lo, exec_lo, s72
.LBB4_8372:                             ;   in Loop: Header=BB4_7456 Depth=3
	s_or_b32 exec_lo, exec_lo, s23
	v_cmp_gt_i16_sdwa s23, v1, v100 src0_sel:BYTE_3 src1_sel:DWORD
	s_mov_b32 s16, 0
	s_and_saveexec_b32 s72, s23
	s_xor_b32 s23, exec_lo, s72
	s_cbranch_execz .LBB4_8706
; %bb.8373:                             ;   in Loop: Header=BB4_7456 Depth=3
	v_cmp_eq_u16_sdwa s73, v1, v101 src0_sel:BYTE_3 src1_sel:DWORD
	s_mov_b32 s16, -1
	s_and_saveexec_b32 s72, s73
; %bb.8374:                             ;   in Loop: Header=BB4_7456 Depth=3
	s_xor_b32 s16, exec_lo, -1
; %bb.8375:                             ;   in Loop: Header=BB4_7456 Depth=3
	s_or_b32 exec_lo, exec_lo, s72
	s_and_b32 s16, s16, exec_lo
	s_or_saveexec_b32 s23, s23
	v_mov_b32_e32 v31, 0x7f800001
	s_xor_b32 exec_lo, exec_lo, s23
	s_cbranch_execnz .LBB4_8707
.LBB4_8376:                             ;   in Loop: Header=BB4_7456 Depth=3
	s_or_b32 exec_lo, exec_lo, s23
	s_and_saveexec_b32 s23, s16
	s_cbranch_execz .LBB4_8378
.LBB4_8377:                             ;   in Loop: Header=BB4_7456 Depth=3
	v_bfe_u32 v31, v1, 24, 2
	v_bfe_u32 v50, v1, 26, 5
	v_ffbh_u32_e32 v36, v31
	v_cmp_eq_u32_e32 vcc_lo, 0, v50
	v_min_u32_e32 v36, 32, v36
	v_subrev_nc_u32_e32 v37, 29, v36
	v_sub_nc_u32_e32 v36, 30, v36
	v_lshlrev_b32_sdwa v37, v37, v1 dst_sel:DWORD dst_unused:UNUSED_PAD src0_sel:DWORD src1_sel:BYTE_3
	v_cndmask_b32_e32 v36, v50, v36, vcc_lo
	v_and_b32_e32 v1, 0x80000000, v1
	v_and_b32_e32 v37, 3, v37
	v_lshl_add_u32 v36, v36, 23, 0x37800000
	v_cndmask_b32_e32 v31, v31, v37, vcc_lo
	v_lshlrev_b32_e32 v31, 21, v31
	v_or3_b32 v31, v1, v36, v31
.LBB4_8378:                             ;   in Loop: Header=BB4_7456 Depth=3
	s_or_b32 exec_lo, exec_lo, s23
	v_cmp_gt_i16_sdwa s23, v9, v100 src0_sel:BYTE_3 src1_sel:DWORD
	s_mov_b32 s16, 0
	s_and_saveexec_b32 s72, s23
	s_xor_b32 s23, exec_lo, s72
	s_cbranch_execz .LBB4_8708
; %bb.8379:                             ;   in Loop: Header=BB4_7456 Depth=3
	v_cmp_eq_u16_sdwa s73, v9, v101 src0_sel:BYTE_3 src1_sel:DWORD
	s_mov_b32 s16, -1
	s_and_saveexec_b32 s72, s73
; %bb.8380:                             ;   in Loop: Header=BB4_7456 Depth=3
	s_xor_b32 s16, exec_lo, -1
; %bb.8381:                             ;   in Loop: Header=BB4_7456 Depth=3
	s_or_b32 exec_lo, exec_lo, s72
	s_and_b32 s16, s16, exec_lo
	s_or_saveexec_b32 s23, s23
	v_mov_b32_e32 v1, 0x7f800001
	s_xor_b32 exec_lo, exec_lo, s23
	s_cbranch_execnz .LBB4_8709
.LBB4_8382:                             ;   in Loop: Header=BB4_7456 Depth=3
	s_or_b32 exec_lo, exec_lo, s23
	s_and_saveexec_b32 s23, s16
	s_cbranch_execz .LBB4_8384
.LBB4_8383:                             ;   in Loop: Header=BB4_7456 Depth=3
	v_bfe_u32 v1, v9, 24, 2
	v_bfe_u32 v50, v9, 26, 5
	v_ffbh_u32_e32 v36, v1
	v_cmp_eq_u32_e32 vcc_lo, 0, v50
	v_min_u32_e32 v36, 32, v36
	v_subrev_nc_u32_e32 v37, 29, v36
	v_sub_nc_u32_e32 v36, 30, v36
	v_lshlrev_b32_sdwa v37, v37, v9 dst_sel:DWORD dst_unused:UNUSED_PAD src0_sel:DWORD src1_sel:BYTE_3
	v_cndmask_b32_e32 v36, v50, v36, vcc_lo
	v_and_b32_e32 v9, 0x80000000, v9
	v_and_b32_e32 v37, 3, v37
	v_lshl_add_u32 v36, v36, 23, 0x37800000
	v_cndmask_b32_e32 v1, v1, v37, vcc_lo
	v_lshlrev_b32_e32 v1, 21, v1
	v_or3_b32 v1, v9, v36, v1
.LBB4_8384:                             ;   in Loop: Header=BB4_7456 Depth=3
	s_or_b32 exec_lo, exec_lo, s23
	v_add_f32_e32 v1, v31, v1
	v_and_b32_e32 v9, 0x7f800000, v1
	v_cmp_ne_u32_e32 vcc_lo, 0x7f800000, v9
	v_mov_b32_e32 v9, 0x8000
	s_and_saveexec_b32 s23, vcc_lo
	s_cbranch_execz .LBB4_8392
; %bb.8385:                             ;   in Loop: Header=BB4_7456 Depth=3
	v_mov_b32_e32 v9, 0
	s_mov_b32 s72, exec_lo
	v_cmpx_ne_u32_e32 0, v1
	s_cbranch_execz .LBB4_8391
; %bb.8386:                             ;   in Loop: Header=BB4_7456 Depth=3
	v_bfe_u32 v9, v1, 23, 8
	v_and_b32_e32 v31, 0x7fffff, v1
	v_sub_nc_u32_e32 v36, 0x70, v9
	v_cmp_gt_u32_e32 vcc_lo, 0x71, v9
	v_or_b32_e32 v37, 0x800000, v31
	v_cndmask_b32_e32 v36, 0, v36, vcc_lo
	v_cmp_eq_u32_e32 vcc_lo, 0, v9
	v_add_nc_u32_e32 v9, 0xffffff91, v9
	v_cndmask_b32_e64 v36, v36, 0x6f, vcc_lo
	v_cndmask_b32_e32 v31, v37, v31, vcc_lo
	v_cndmask_b32_e64 v9, v9, 0xffffff92, vcc_lo
	v_lshl_add_u32 v37, 0x200000, v36, -1
	v_lshrrev_b32_e32 v50, v36, v31
	v_lshlrev_b32_e64 v96, v36, 0x100000
	v_add_nc_u32_e32 v36, v36, v9
	v_and_b32_e32 v31, v37, v31
	v_bfe_u32 v51, v50, 21, 1
	v_cmp_eq_u32_e64 s16, v31, v96
	v_add_nc_u32_e32 v37, -1, v51
	v_cndmask_b32_e64 v31, 0, v37, s16
	v_lshrrev_b32_e32 v37, 23, v50
	s_mov_b32 s16, exec_lo
	v_add_nc_u32_e32 v31, v31, v50
	v_xor_b32_e32 v37, 1, v37
	v_and_b32_e32 v9, 0x1fffff, v31
	v_add_nc_u32_e32 v31, v9, v50
                                        ; implicit-def: $vgpr9
	v_cmpx_ne_u32_e64 v36, v37
	s_xor_b32 s16, exec_lo, s16
; %bb.8387:                             ;   in Loop: Header=BB4_7456 Depth=3
	v_cmp_lt_u32_e32 vcc_lo, 0xffffff, v31
	v_sub_nc_u32_e32 v9, v36, v37
	v_cndmask_b32_e64 v36, 0, 1, vcc_lo
	v_add_co_ci_u32_e64 v9, null, 0, v9, vcc_lo
	v_lshrrev_b32_e32 v31, v36, v31
; %bb.8388:                             ;   in Loop: Header=BB4_7456 Depth=3
	s_andn2_saveexec_b32 s16, s16
; %bb.8389:                             ;   in Loop: Header=BB4_7456 Depth=3
	v_bfe_u32 v9, v31, 23, 1
; %bb.8390:                             ;   in Loop: Header=BB4_7456 Depth=3
	s_or_b32 exec_lo, exec_lo, s16
	v_lshrrev_b32_e32 v31, 21, v31
	v_min_i32_e32 v36, 31, v9
	v_cmp_gt_i32_e32 vcc_lo, 32, v9
	v_and_b32_sdwa v1, v1, v101 dst_sel:DWORD dst_unused:UNUSED_PAD src0_sel:BYTE_3 src1_sel:DWORD
	v_lshlrev_b32_e32 v36, 2, v36
	v_cndmask_b32_e32 v31, 3, v31, vcc_lo
	v_and_b32_e32 v36, 0xfc, v36
	v_and_b32_e32 v37, 3, v31
	v_or_b32_e32 v9, v9, v31
	v_or3_b32 v1, v1, v36, v37
	v_cmp_ne_u32_e32 vcc_lo, 0, v9
	v_lshlrev_b32_e32 v1, 8, v1
	v_cndmask_b32_e32 v9, 0, v1, vcc_lo
.LBB4_8391:                             ;   in Loop: Header=BB4_7456 Depth=3
	s_or_b32 exec_lo, exec_lo, s72
.LBB4_8392:                             ;   in Loop: Header=BB4_7456 Depth=3
	s_or_b32 exec_lo, exec_lo, s23
	v_or_b32_e32 v1, v78, v75
	s_mov_b32 s16, 0
	v_cmp_gt_i16_sdwa s23, v1, v100 src0_sel:BYTE_0 src1_sel:DWORD
	s_and_saveexec_b32 s72, s23
	s_xor_b32 s23, exec_lo, s72
	s_cbranch_execz .LBB4_8710
; %bb.8393:                             ;   in Loop: Header=BB4_7456 Depth=3
	v_cmp_eq_u16_sdwa s73, v1, v101 src0_sel:BYTE_0 src1_sel:DWORD
	s_mov_b32 s16, -1
	s_and_saveexec_b32 s72, s73
; %bb.8394:                             ;   in Loop: Header=BB4_7456 Depth=3
	s_xor_b32 s16, exec_lo, -1
; %bb.8395:                             ;   in Loop: Header=BB4_7456 Depth=3
	s_or_b32 exec_lo, exec_lo, s72
	s_and_b32 s16, s16, exec_lo
	s_or_saveexec_b32 s23, s23
	v_mov_b32_e32 v31, 0x7f800001
	s_xor_b32 exec_lo, exec_lo, s23
	s_cbranch_execnz .LBB4_8711
.LBB4_8396:                             ;   in Loop: Header=BB4_7456 Depth=3
	s_or_b32 exec_lo, exec_lo, s23
	s_and_saveexec_b32 s23, s16
	s_cbranch_execz .LBB4_8398
.LBB4_8397:                             ;   in Loop: Header=BB4_7456 Depth=3
	v_and_b32_e32 v31, 3, v1
	v_bfe_u32 v50, v1, 2, 5
	v_lshlrev_b32_e32 v51, 24, v1
	v_ffbh_u32_e32 v36, v31
	v_cmp_eq_u32_e32 vcc_lo, 0, v50
	v_min_u32_e32 v36, 32, v36
	v_subrev_nc_u32_e32 v37, 29, v36
	v_sub_nc_u32_e32 v36, 30, v36
	v_lshlrev_b32_e32 v37, v37, v1
	v_cndmask_b32_e32 v36, v50, v36, vcc_lo
	v_and_b32_e32 v37, 3, v37
	v_lshl_add_u32 v36, v36, 23, 0x37800000
	v_cndmask_b32_e32 v31, v31, v37, vcc_lo
	v_and_b32_e32 v37, 0x80000000, v51
	v_lshlrev_b32_e32 v31, 21, v31
	v_or3_b32 v31, v37, v36, v31
.LBB4_8398:                             ;   in Loop: Header=BB4_7456 Depth=3
	s_or_b32 exec_lo, exec_lo, s23
	v_cmp_gt_i16_sdwa s23, v10, v100 src0_sel:BYTE_0 src1_sel:DWORD
	s_mov_b32 s16, 0
	s_and_saveexec_b32 s72, s23
	s_xor_b32 s23, exec_lo, s72
	s_cbranch_execz .LBB4_8712
; %bb.8399:                             ;   in Loop: Header=BB4_7456 Depth=3
	v_cmp_eq_u16_sdwa s73, v10, v101 src0_sel:BYTE_0 src1_sel:DWORD
	s_mov_b32 s16, -1
	s_and_saveexec_b32 s72, s73
; %bb.8400:                             ;   in Loop: Header=BB4_7456 Depth=3
	s_xor_b32 s16, exec_lo, -1
; %bb.8401:                             ;   in Loop: Header=BB4_7456 Depth=3
	s_or_b32 exec_lo, exec_lo, s72
	s_and_b32 s16, s16, exec_lo
	s_or_saveexec_b32 s23, s23
	v_mov_b32_e32 v36, 0x7f800001
	s_xor_b32 exec_lo, exec_lo, s23
	s_cbranch_execnz .LBB4_8713
.LBB4_8402:                             ;   in Loop: Header=BB4_7456 Depth=3
	s_or_b32 exec_lo, exec_lo, s23
	s_and_saveexec_b32 s23, s16
	s_cbranch_execz .LBB4_8404
.LBB4_8403:                             ;   in Loop: Header=BB4_7456 Depth=3
	v_and_b32_e32 v36, 3, v10
	v_bfe_u32 v51, v10, 2, 5
	v_lshlrev_b32_e32 v96, 24, v10
	v_ffbh_u32_e32 v37, v36
	v_cmp_eq_u32_e32 vcc_lo, 0, v51
	v_min_u32_e32 v37, 32, v37
	v_subrev_nc_u32_e32 v50, 29, v37
	v_sub_nc_u32_e32 v37, 30, v37
	v_lshlrev_b32_e32 v50, v50, v10
	v_cndmask_b32_e32 v37, v51, v37, vcc_lo
	v_and_b32_e32 v50, 3, v50
	v_lshl_add_u32 v37, v37, 23, 0x37800000
	v_cndmask_b32_e32 v36, v36, v50, vcc_lo
	v_and_b32_e32 v50, 0x80000000, v96
	v_lshlrev_b32_e32 v36, 21, v36
	v_or3_b32 v36, v50, v37, v36
.LBB4_8404:                             ;   in Loop: Header=BB4_7456 Depth=3
	s_or_b32 exec_lo, exec_lo, s23
	v_add_f32_e32 v31, v31, v36
	v_and_b32_e32 v36, 0x7f800000, v31
	v_cmp_ne_u32_e32 vcc_lo, 0x7f800000, v36
	v_mov_b32_e32 v36, 0x80
	s_and_saveexec_b32 s23, vcc_lo
	s_cbranch_execz .LBB4_8412
; %bb.8405:                             ;   in Loop: Header=BB4_7456 Depth=3
	v_mov_b32_e32 v36, 0
	s_mov_b32 s72, exec_lo
	v_cmpx_ne_u32_e32 0, v31
	s_cbranch_execz .LBB4_8411
; %bb.8406:                             ;   in Loop: Header=BB4_7456 Depth=3
	v_bfe_u32 v36, v31, 23, 8
	v_and_b32_e32 v37, 0x7fffff, v31
	v_sub_nc_u32_e32 v50, 0x70, v36
	v_cmp_gt_u32_e32 vcc_lo, 0x71, v36
	v_or_b32_e32 v51, 0x800000, v37
	v_cndmask_b32_e32 v50, 0, v50, vcc_lo
	v_cmp_eq_u32_e32 vcc_lo, 0, v36
	v_add_nc_u32_e32 v36, 0xffffff91, v36
	v_cndmask_b32_e64 v50, v50, 0x6f, vcc_lo
	v_cndmask_b32_e32 v37, v51, v37, vcc_lo
	v_cndmask_b32_e64 v36, v36, 0xffffff92, vcc_lo
	v_lshl_add_u32 v51, 0x200000, v50, -1
	v_lshrrev_b32_e32 v96, v50, v37
	v_lshlrev_b32_e64 v115, v50, 0x100000
	v_add_nc_u32_e32 v50, v50, v36
	v_and_b32_e32 v37, v51, v37
	v_bfe_u32 v97, v96, 21, 1
	v_cmp_eq_u32_e64 s16, v37, v115
	v_add_nc_u32_e32 v51, -1, v97
	v_cndmask_b32_e64 v37, 0, v51, s16
	v_lshrrev_b32_e32 v51, 23, v96
	s_mov_b32 s16, exec_lo
	v_add_nc_u32_e32 v37, v37, v96
	v_xor_b32_e32 v51, 1, v51
	v_and_b32_e32 v36, 0x1fffff, v37
	v_add_nc_u32_e32 v37, v36, v96
                                        ; implicit-def: $vgpr36
	v_cmpx_ne_u32_e64 v50, v51
	s_xor_b32 s16, exec_lo, s16
; %bb.8407:                             ;   in Loop: Header=BB4_7456 Depth=3
	v_cmp_lt_u32_e32 vcc_lo, 0xffffff, v37
	v_sub_nc_u32_e32 v36, v50, v51
	v_cndmask_b32_e64 v50, 0, 1, vcc_lo
	v_add_co_ci_u32_e64 v36, null, 0, v36, vcc_lo
	v_lshrrev_b32_e32 v37, v50, v37
; %bb.8408:                             ;   in Loop: Header=BB4_7456 Depth=3
	s_andn2_saveexec_b32 s16, s16
; %bb.8409:                             ;   in Loop: Header=BB4_7456 Depth=3
	v_bfe_u32 v36, v37, 23, 1
; %bb.8410:                             ;   in Loop: Header=BB4_7456 Depth=3
	s_or_b32 exec_lo, exec_lo, s16
	v_lshrrev_b32_e32 v37, 21, v37
	v_min_i32_e32 v50, 31, v36
	v_cmp_gt_i32_e32 vcc_lo, 32, v36
	v_and_b32_sdwa v31, v31, v101 dst_sel:DWORD dst_unused:UNUSED_PAD src0_sel:BYTE_3 src1_sel:DWORD
	v_lshlrev_b32_e32 v50, 2, v50
	v_cndmask_b32_e32 v37, 3, v37, vcc_lo
	v_and_b32_e32 v50, 0xfc, v50
	v_and_b32_e32 v51, 3, v37
	v_or_b32_e32 v36, v36, v37
	v_or3_b32 v31, v50, v31, v51
	v_cmp_ne_u32_e32 vcc_lo, 0, v36
	v_cndmask_b32_e32 v36, 0, v31, vcc_lo
.LBB4_8411:                             ;   in Loop: Header=BB4_7456 Depth=3
	s_or_b32 exec_lo, exec_lo, s72
.LBB4_8412:                             ;   in Loop: Header=BB4_7456 Depth=3
	s_or_b32 exec_lo, exec_lo, s23
	v_cmp_gt_i16_sdwa s23, v1, v100 src0_sel:BYTE_1 src1_sel:DWORD
	s_mov_b32 s16, 0
	s_and_saveexec_b32 s72, s23
	s_xor_b32 s23, exec_lo, s72
	s_cbranch_execz .LBB4_8714
; %bb.8413:                             ;   in Loop: Header=BB4_7456 Depth=3
	v_cmp_eq_u16_sdwa s73, v1, v101 src0_sel:BYTE_1 src1_sel:DWORD
	s_mov_b32 s16, -1
	s_and_saveexec_b32 s72, s73
; %bb.8414:                             ;   in Loop: Header=BB4_7456 Depth=3
	s_xor_b32 s16, exec_lo, -1
; %bb.8415:                             ;   in Loop: Header=BB4_7456 Depth=3
	s_or_b32 exec_lo, exec_lo, s72
	s_and_b32 s16, s16, exec_lo
	s_or_saveexec_b32 s23, s23
	v_mov_b32_e32 v31, 0x7f800001
	s_xor_b32 exec_lo, exec_lo, s23
	s_cbranch_execnz .LBB4_8715
.LBB4_8416:                             ;   in Loop: Header=BB4_7456 Depth=3
	s_or_b32 exec_lo, exec_lo, s23
	s_and_saveexec_b32 s23, s16
	s_cbranch_execz .LBB4_8418
.LBB4_8417:                             ;   in Loop: Header=BB4_7456 Depth=3
	v_and_b32_sdwa v31, v102, v1 dst_sel:DWORD dst_unused:UNUSED_PAD src0_sel:DWORD src1_sel:BYTE_1
	v_and_b32_e32 v37, 3, v31
	v_bfe_u32 v96, v31, 2, 5
	v_ffbh_u32_e32 v50, v37
	v_cmp_eq_u32_e32 vcc_lo, 0, v96
	v_min_u32_e32 v50, 32, v50
	v_subrev_nc_u32_e32 v51, 29, v50
	v_sub_nc_u32_e32 v50, 30, v50
	v_lshlrev_b32_e32 v31, v51, v31
	v_lshlrev_b32_sdwa v51, v103, v1 dst_sel:DWORD dst_unused:UNUSED_PAD src0_sel:DWORD src1_sel:BYTE_1
	v_cndmask_b32_e32 v50, v96, v50, vcc_lo
	v_and_b32_e32 v31, 3, v31
	v_lshl_add_u32 v50, v50, 23, 0x37800000
	v_cndmask_b32_e32 v31, v37, v31, vcc_lo
	v_and_b32_e32 v37, 0x80000000, v51
	v_lshlrev_b32_e32 v31, 21, v31
	v_or3_b32 v31, v37, v50, v31
.LBB4_8418:                             ;   in Loop: Header=BB4_7456 Depth=3
	s_or_b32 exec_lo, exec_lo, s23
	v_cmp_gt_i16_sdwa s23, v10, v100 src0_sel:BYTE_1 src1_sel:DWORD
	s_mov_b32 s16, 0
	s_and_saveexec_b32 s72, s23
	s_xor_b32 s23, exec_lo, s72
	s_cbranch_execz .LBB4_8716
; %bb.8419:                             ;   in Loop: Header=BB4_7456 Depth=3
	v_cmp_eq_u16_sdwa s73, v10, v101 src0_sel:BYTE_1 src1_sel:DWORD
	s_mov_b32 s16, -1
	s_and_saveexec_b32 s72, s73
; %bb.8420:                             ;   in Loop: Header=BB4_7456 Depth=3
	s_xor_b32 s16, exec_lo, -1
; %bb.8421:                             ;   in Loop: Header=BB4_7456 Depth=3
	s_or_b32 exec_lo, exec_lo, s72
	s_and_b32 s16, s16, exec_lo
	s_or_saveexec_b32 s23, s23
	v_mov_b32_e32 v37, 0x7f800001
	s_xor_b32 exec_lo, exec_lo, s23
	s_cbranch_execnz .LBB4_8717
.LBB4_8422:                             ;   in Loop: Header=BB4_7456 Depth=3
	s_or_b32 exec_lo, exec_lo, s23
	s_and_saveexec_b32 s23, s16
	s_cbranch_execz .LBB4_8424
.LBB4_8423:                             ;   in Loop: Header=BB4_7456 Depth=3
	v_and_b32_sdwa v37, v102, v10 dst_sel:DWORD dst_unused:UNUSED_PAD src0_sel:DWORD src1_sel:BYTE_1
	v_and_b32_e32 v50, 3, v37
	v_bfe_u32 v97, v37, 2, 5
	v_ffbh_u32_e32 v51, v50
	v_cmp_eq_u32_e32 vcc_lo, 0, v97
	v_min_u32_e32 v51, 32, v51
	v_subrev_nc_u32_e32 v96, 29, v51
	v_sub_nc_u32_e32 v51, 30, v51
	v_lshlrev_b32_e32 v37, v96, v37
	v_lshlrev_b32_sdwa v96, v103, v10 dst_sel:DWORD dst_unused:UNUSED_PAD src0_sel:DWORD src1_sel:BYTE_1
	v_cndmask_b32_e32 v51, v97, v51, vcc_lo
	v_and_b32_e32 v37, 3, v37
	v_lshl_add_u32 v51, v51, 23, 0x37800000
	v_cndmask_b32_e32 v37, v50, v37, vcc_lo
	v_and_b32_e32 v50, 0x80000000, v96
	v_lshlrev_b32_e32 v37, 21, v37
	v_or3_b32 v37, v50, v51, v37
.LBB4_8424:                             ;   in Loop: Header=BB4_7456 Depth=3
	s_or_b32 exec_lo, exec_lo, s23
	v_add_f32_e32 v37, v31, v37
	v_and_b32_e32 v31, 0x7f800000, v37
	v_cmp_ne_u32_e32 vcc_lo, 0x7f800000, v31
	v_mov_b32_e32 v31, 0x8000
	s_and_saveexec_b32 s23, vcc_lo
	s_cbranch_execz .LBB4_8432
; %bb.8425:                             ;   in Loop: Header=BB4_7456 Depth=3
	v_mov_b32_e32 v31, 0
	s_mov_b32 s72, exec_lo
	v_cmpx_ne_u32_e32 0, v37
	s_cbranch_execz .LBB4_8431
; %bb.8426:                             ;   in Loop: Header=BB4_7456 Depth=3
	v_bfe_u32 v31, v37, 23, 8
	v_and_b32_e32 v50, 0x7fffff, v37
	v_sub_nc_u32_e32 v51, 0x70, v31
	v_cmp_gt_u32_e32 vcc_lo, 0x71, v31
	v_or_b32_e32 v96, 0x800000, v50
	v_cndmask_b32_e32 v51, 0, v51, vcc_lo
	v_cmp_eq_u32_e32 vcc_lo, 0, v31
	v_add_nc_u32_e32 v31, 0xffffff91, v31
	v_cndmask_b32_e64 v51, v51, 0x6f, vcc_lo
	v_cndmask_b32_e32 v50, v96, v50, vcc_lo
	v_cndmask_b32_e64 v31, v31, 0xffffff92, vcc_lo
	v_lshl_add_u32 v96, 0x200000, v51, -1
	v_lshrrev_b32_e32 v97, v51, v50
	v_lshlrev_b32_e64 v40, v51, 0x100000
	v_add_nc_u32_e32 v51, v51, v31
	v_and_b32_e32 v50, v96, v50
	v_bfe_u32 v115, v97, 21, 1
	v_cmp_eq_u32_e64 s16, v50, v40
	v_add_nc_u32_e32 v96, -1, v115
	v_cndmask_b32_e64 v50, 0, v96, s16
	v_lshrrev_b32_e32 v96, 23, v97
	s_mov_b32 s16, exec_lo
	v_add_nc_u32_e32 v50, v50, v97
	v_xor_b32_e32 v96, 1, v96
	v_and_b32_e32 v31, 0x1fffff, v50
	v_add_nc_u32_e32 v50, v31, v97
                                        ; implicit-def: $vgpr31
	v_cmpx_ne_u32_e64 v51, v96
	s_xor_b32 s16, exec_lo, s16
; %bb.8427:                             ;   in Loop: Header=BB4_7456 Depth=3
	v_cmp_lt_u32_e32 vcc_lo, 0xffffff, v50
	v_sub_nc_u32_e32 v31, v51, v96
	v_cndmask_b32_e64 v51, 0, 1, vcc_lo
	v_add_co_ci_u32_e64 v31, null, 0, v31, vcc_lo
	v_lshrrev_b32_e32 v50, v51, v50
; %bb.8428:                             ;   in Loop: Header=BB4_7456 Depth=3
	s_andn2_saveexec_b32 s16, s16
; %bb.8429:                             ;   in Loop: Header=BB4_7456 Depth=3
	v_bfe_u32 v31, v50, 23, 1
; %bb.8430:                             ;   in Loop: Header=BB4_7456 Depth=3
	s_or_b32 exec_lo, exec_lo, s16
	v_lshrrev_b32_e32 v50, 21, v50
	v_min_i32_e32 v51, 31, v31
	v_cmp_gt_i32_e32 vcc_lo, 32, v31
	v_and_b32_sdwa v37, v37, v101 dst_sel:DWORD dst_unused:UNUSED_PAD src0_sel:BYTE_3 src1_sel:DWORD
	v_lshlrev_b32_e32 v51, 2, v51
	v_cndmask_b32_e32 v50, 3, v50, vcc_lo
	v_and_b32_e32 v51, 0xfc, v51
	v_and_b32_e32 v96, 3, v50
	v_or_b32_e32 v31, v31, v50
	v_or3_b32 v37, v37, v51, v96
	v_cmp_ne_u32_e32 vcc_lo, 0, v31
	v_lshlrev_b32_e32 v37, 8, v37
	v_cndmask_b32_e32 v31, 0, v37, vcc_lo
.LBB4_8431:                             ;   in Loop: Header=BB4_7456 Depth=3
	s_or_b32 exec_lo, exec_lo, s72
.LBB4_8432:                             ;   in Loop: Header=BB4_7456 Depth=3
	s_or_b32 exec_lo, exec_lo, s23
	v_or_b32_e32 v37, v76, v72
	s_mov_b32 s16, 0
	v_cmp_gt_i16_sdwa s23, v37, v100 src0_sel:BYTE_0 src1_sel:DWORD
	s_and_saveexec_b32 s72, s23
	s_xor_b32 s23, exec_lo, s72
	s_cbranch_execz .LBB4_8718
; %bb.8433:                             ;   in Loop: Header=BB4_7456 Depth=3
	v_cmp_eq_u16_sdwa s73, v37, v101 src0_sel:BYTE_0 src1_sel:DWORD
	s_mov_b32 s16, -1
	s_and_saveexec_b32 s72, s73
; %bb.8434:                             ;   in Loop: Header=BB4_7456 Depth=3
	s_xor_b32 s16, exec_lo, -1
; %bb.8435:                             ;   in Loop: Header=BB4_7456 Depth=3
	s_or_b32 exec_lo, exec_lo, s72
	s_and_b32 s16, s16, exec_lo
	s_or_saveexec_b32 s23, s23
	v_mov_b32_e32 v50, 0x7f800001
	s_xor_b32 exec_lo, exec_lo, s23
	s_cbranch_execnz .LBB4_8719
.LBB4_8436:                             ;   in Loop: Header=BB4_7456 Depth=3
	s_or_b32 exec_lo, exec_lo, s23
	v_lshl_or_b32 v37, v37, 16, v1
	s_and_saveexec_b32 s23, s16
	s_cbranch_execz .LBB4_8438
.LBB4_8437:                             ;   in Loop: Header=BB4_7456 Depth=3
	v_bfe_u32 v1, v37, 16, 2
	v_bfe_u32 v96, v37, 18, 5
	v_lshlrev_b32_e32 v97, 8, v37
	v_ffbh_u32_e32 v50, v1
	v_cmp_eq_u32_e32 vcc_lo, 0, v96
	v_min_u32_e32 v50, 32, v50
	v_subrev_nc_u32_e32 v51, 29, v50
	v_sub_nc_u32_e32 v50, 30, v50
	v_lshlrev_b32_sdwa v51, v51, v37 dst_sel:DWORD dst_unused:UNUSED_PAD src0_sel:DWORD src1_sel:WORD_1
	v_cndmask_b32_e32 v50, v96, v50, vcc_lo
	v_and_b32_e32 v51, 3, v51
	v_lshl_add_u32 v50, v50, 23, 0x37800000
	v_cndmask_b32_e32 v1, v1, v51, vcc_lo
	v_and_b32_e32 v51, 0x80000000, v97
	v_lshlrev_b32_e32 v1, 21, v1
	v_or3_b32 v50, v51, v50, v1
.LBB4_8438:                             ;   in Loop: Header=BB4_7456 Depth=3
	s_or_b32 exec_lo, exec_lo, s23
	v_and_b32_sdwa v51, v10, v112 dst_sel:DWORD dst_unused:UNUSED_PAD src0_sel:WORD_1 src1_sel:DWORD
	s_mov_b32 s16, 0
	s_mov_b32 s23, exec_lo
	v_cmpx_lt_i16_e32 0x7f, v51
	s_xor_b32 s23, exec_lo, s23
	s_cbranch_execz .LBB4_8720
; %bb.8439:                             ;   in Loop: Header=BB4_7456 Depth=3
	s_mov_b32 s16, -1
	s_mov_b32 s72, exec_lo
	v_cmpx_eq_u16_e32 0x80, v51
; %bb.8440:                             ;   in Loop: Header=BB4_7456 Depth=3
	s_xor_b32 s16, exec_lo, -1
; %bb.8441:                             ;   in Loop: Header=BB4_7456 Depth=3
	s_or_b32 exec_lo, exec_lo, s72
	s_and_b32 s16, s16, exec_lo
                                        ; implicit-def: $vgpr51
	s_or_saveexec_b32 s23, s23
	v_mov_b32_e32 v1, 0x7f800001
	s_xor_b32 exec_lo, exec_lo, s23
	s_cbranch_execnz .LBB4_8721
.LBB4_8442:                             ;   in Loop: Header=BB4_7456 Depth=3
	s_or_b32 exec_lo, exec_lo, s23
	s_and_saveexec_b32 s23, s16
	s_cbranch_execz .LBB4_8444
.LBB4_8443:                             ;   in Loop: Header=BB4_7456 Depth=3
	v_bfe_u32 v1, v10, 16, 2
	v_bfe_u32 v97, v10, 18, 5
	v_lshlrev_b32_e32 v115, 8, v10
	v_ffbh_u32_e32 v51, v1
	v_cmp_eq_u32_e32 vcc_lo, 0, v97
	v_min_u32_e32 v51, 32, v51
	v_subrev_nc_u32_e32 v96, 29, v51
	v_sub_nc_u32_e32 v51, 30, v51
	v_lshlrev_b32_sdwa v96, v96, v10 dst_sel:DWORD dst_unused:UNUSED_PAD src0_sel:DWORD src1_sel:WORD_1
	v_cndmask_b32_e32 v51, v97, v51, vcc_lo
	v_and_b32_e32 v96, 3, v96
	v_lshl_add_u32 v51, v51, 23, 0x37800000
	v_cndmask_b32_e32 v1, v1, v96, vcc_lo
	v_and_b32_e32 v96, 0x80000000, v115
	v_lshlrev_b32_e32 v1, 21, v1
	v_or3_b32 v1, v96, v51, v1
.LBB4_8444:                             ;   in Loop: Header=BB4_7456 Depth=3
	s_or_b32 exec_lo, exec_lo, s23
	v_add_f32_e32 v50, v50, v1
	v_and_b32_e32 v1, 0x7f800000, v50
	v_cmp_ne_u32_e32 vcc_lo, 0x7f800000, v1
	v_mov_b32_e32 v1, 0x80
	s_and_saveexec_b32 s23, vcc_lo
	s_cbranch_execz .LBB4_8452
; %bb.8445:                             ;   in Loop: Header=BB4_7456 Depth=3
	v_mov_b32_e32 v1, 0
	s_mov_b32 s72, exec_lo
	v_cmpx_ne_u32_e32 0, v50
	s_cbranch_execz .LBB4_8451
; %bb.8446:                             ;   in Loop: Header=BB4_7456 Depth=3
	v_bfe_u32 v1, v50, 23, 8
	v_and_b32_e32 v51, 0x7fffff, v50
	v_sub_nc_u32_e32 v96, 0x70, v1
	v_cmp_gt_u32_e32 vcc_lo, 0x71, v1
	v_or_b32_e32 v97, 0x800000, v51
	v_cndmask_b32_e32 v96, 0, v96, vcc_lo
	v_cmp_eq_u32_e32 vcc_lo, 0, v1
	v_add_nc_u32_e32 v1, 0xffffff91, v1
	v_cndmask_b32_e64 v96, v96, 0x6f, vcc_lo
	v_cndmask_b32_e32 v51, v97, v51, vcc_lo
	v_cndmask_b32_e64 v1, v1, 0xffffff92, vcc_lo
	v_lshl_add_u32 v97, 0x200000, v96, -1
	v_lshrrev_b32_e32 v115, v96, v51
	v_lshlrev_b32_e64 v72, v96, 0x100000
	v_add_nc_u32_e32 v96, v96, v1
	v_and_b32_e32 v51, v97, v51
	v_bfe_u32 v40, v115, 21, 1
	v_cmp_eq_u32_e64 s16, v51, v72
	v_add_nc_u32_e32 v97, -1, v40
	v_cndmask_b32_e64 v51, 0, v97, s16
	v_lshrrev_b32_e32 v97, 23, v115
	s_mov_b32 s16, exec_lo
	v_add_nc_u32_e32 v51, v51, v115
	v_xor_b32_e32 v97, 1, v97
	v_and_b32_e32 v1, 0x1fffff, v51
	v_add_nc_u32_e32 v51, v1, v115
                                        ; implicit-def: $vgpr1
	v_cmpx_ne_u32_e64 v96, v97
	s_xor_b32 s16, exec_lo, s16
; %bb.8447:                             ;   in Loop: Header=BB4_7456 Depth=3
	v_cmp_lt_u32_e32 vcc_lo, 0xffffff, v51
	v_sub_nc_u32_e32 v1, v96, v97
	v_cndmask_b32_e64 v96, 0, 1, vcc_lo
	v_add_co_ci_u32_e64 v1, null, 0, v1, vcc_lo
	v_lshrrev_b32_e32 v51, v96, v51
; %bb.8448:                             ;   in Loop: Header=BB4_7456 Depth=3
	s_andn2_saveexec_b32 s16, s16
; %bb.8449:                             ;   in Loop: Header=BB4_7456 Depth=3
	v_bfe_u32 v1, v51, 23, 1
; %bb.8450:                             ;   in Loop: Header=BB4_7456 Depth=3
	s_or_b32 exec_lo, exec_lo, s16
	v_lshrrev_b32_e32 v51, 21, v51
	v_min_i32_e32 v96, 31, v1
	v_cmp_gt_i32_e32 vcc_lo, 32, v1
	v_and_b32_sdwa v50, v50, v101 dst_sel:DWORD dst_unused:UNUSED_PAD src0_sel:BYTE_3 src1_sel:DWORD
	v_lshlrev_b32_e32 v96, 2, v96
	v_cndmask_b32_e32 v51, 3, v51, vcc_lo
	v_and_b32_e32 v96, 0xfc, v96
	v_and_b32_e32 v97, 3, v51
	v_or_b32_e32 v1, v1, v51
	v_or3_b32 v50, v96, v50, v97
	v_cmp_ne_u32_e32 vcc_lo, 0, v1
	v_cndmask_b32_e32 v1, 0, v50, vcc_lo
.LBB4_8451:                             ;   in Loop: Header=BB4_7456 Depth=3
	s_or_b32 exec_lo, exec_lo, s72
.LBB4_8452:                             ;   in Loop: Header=BB4_7456 Depth=3
	s_or_b32 exec_lo, exec_lo, s23
	v_cmp_gt_i16_sdwa s23, v37, v100 src0_sel:BYTE_3 src1_sel:DWORD
	s_mov_b32 s16, 0
	s_and_saveexec_b32 s72, s23
	s_xor_b32 s23, exec_lo, s72
	s_cbranch_execz .LBB4_8722
; %bb.8453:                             ;   in Loop: Header=BB4_7456 Depth=3
	v_cmp_eq_u16_sdwa s73, v37, v101 src0_sel:BYTE_3 src1_sel:DWORD
	s_mov_b32 s16, -1
	s_and_saveexec_b32 s72, s73
; %bb.8454:                             ;   in Loop: Header=BB4_7456 Depth=3
	s_xor_b32 s16, exec_lo, -1
; %bb.8455:                             ;   in Loop: Header=BB4_7456 Depth=3
	s_or_b32 exec_lo, exec_lo, s72
	s_and_b32 s16, s16, exec_lo
	s_or_saveexec_b32 s23, s23
	v_mov_b32_e32 v50, 0x7f800001
	s_xor_b32 exec_lo, exec_lo, s23
	s_cbranch_execnz .LBB4_8723
.LBB4_8456:                             ;   in Loop: Header=BB4_7456 Depth=3
	s_or_b32 exec_lo, exec_lo, s23
	s_and_saveexec_b32 s23, s16
	s_cbranch_execz .LBB4_8458
.LBB4_8457:                             ;   in Loop: Header=BB4_7456 Depth=3
	v_bfe_u32 v50, v37, 24, 2
	v_bfe_u32 v97, v37, 26, 5
	v_ffbh_u32_e32 v51, v50
	v_cmp_eq_u32_e32 vcc_lo, 0, v97
	v_min_u32_e32 v51, 32, v51
	v_subrev_nc_u32_e32 v96, 29, v51
	v_sub_nc_u32_e32 v51, 30, v51
	v_lshlrev_b32_sdwa v96, v96, v37 dst_sel:DWORD dst_unused:UNUSED_PAD src0_sel:DWORD src1_sel:BYTE_3
	v_cndmask_b32_e32 v51, v97, v51, vcc_lo
	v_and_b32_e32 v37, 0x80000000, v37
	v_and_b32_e32 v96, 3, v96
	v_lshl_add_u32 v51, v51, 23, 0x37800000
	v_cndmask_b32_e32 v50, v50, v96, vcc_lo
	v_lshlrev_b32_e32 v50, 21, v50
	v_or3_b32 v50, v37, v51, v50
.LBB4_8458:                             ;   in Loop: Header=BB4_7456 Depth=3
	s_or_b32 exec_lo, exec_lo, s23
	v_cmp_gt_i16_sdwa s23, v10, v100 src0_sel:BYTE_3 src1_sel:DWORD
	s_mov_b32 s16, 0
	s_and_saveexec_b32 s72, s23
	s_xor_b32 s23, exec_lo, s72
	s_cbranch_execz .LBB4_8724
; %bb.8459:                             ;   in Loop: Header=BB4_7456 Depth=3
	v_cmp_eq_u16_sdwa s73, v10, v101 src0_sel:BYTE_3 src1_sel:DWORD
	s_mov_b32 s16, -1
	s_and_saveexec_b32 s72, s73
; %bb.8460:                             ;   in Loop: Header=BB4_7456 Depth=3
	s_xor_b32 s16, exec_lo, -1
; %bb.8461:                             ;   in Loop: Header=BB4_7456 Depth=3
	s_or_b32 exec_lo, exec_lo, s72
	s_and_b32 s16, s16, exec_lo
	s_or_saveexec_b32 s23, s23
	v_mov_b32_e32 v37, 0x7f800001
	s_xor_b32 exec_lo, exec_lo, s23
	s_cbranch_execnz .LBB4_8725
.LBB4_8462:                             ;   in Loop: Header=BB4_7456 Depth=3
	s_or_b32 exec_lo, exec_lo, s23
	s_and_saveexec_b32 s23, s16
	s_cbranch_execz .LBB4_8464
.LBB4_8463:                             ;   in Loop: Header=BB4_7456 Depth=3
	v_bfe_u32 v37, v10, 24, 2
	v_bfe_u32 v97, v10, 26, 5
	v_ffbh_u32_e32 v51, v37
	v_cmp_eq_u32_e32 vcc_lo, 0, v97
	v_min_u32_e32 v51, 32, v51
	v_subrev_nc_u32_e32 v96, 29, v51
	v_sub_nc_u32_e32 v51, 30, v51
	v_lshlrev_b32_sdwa v96, v96, v10 dst_sel:DWORD dst_unused:UNUSED_PAD src0_sel:DWORD src1_sel:BYTE_3
	v_cndmask_b32_e32 v51, v97, v51, vcc_lo
	v_and_b32_e32 v10, 0x80000000, v10
	v_and_b32_e32 v96, 3, v96
	v_lshl_add_u32 v51, v51, 23, 0x37800000
	v_cndmask_b32_e32 v37, v37, v96, vcc_lo
	v_lshlrev_b32_e32 v37, 21, v37
	v_or3_b32 v37, v10, v51, v37
.LBB4_8464:                             ;   in Loop: Header=BB4_7456 Depth=3
	s_or_b32 exec_lo, exec_lo, s23
	v_add_f32_e32 v37, v50, v37
	v_and_b32_e32 v10, 0x7f800000, v37
	v_cmp_ne_u32_e32 vcc_lo, 0x7f800000, v10
	v_mov_b32_e32 v10, 0x8000
	s_and_saveexec_b32 s23, vcc_lo
	s_cbranch_execz .LBB4_8472
; %bb.8465:                             ;   in Loop: Header=BB4_7456 Depth=3
	v_mov_b32_e32 v10, 0
	s_mov_b32 s72, exec_lo
	v_cmpx_ne_u32_e32 0, v37
	s_cbranch_execz .LBB4_8471
; %bb.8466:                             ;   in Loop: Header=BB4_7456 Depth=3
	v_bfe_u32 v10, v37, 23, 8
	v_and_b32_e32 v50, 0x7fffff, v37
	v_sub_nc_u32_e32 v51, 0x70, v10
	v_cmp_gt_u32_e32 vcc_lo, 0x71, v10
	v_or_b32_e32 v96, 0x800000, v50
	v_cndmask_b32_e32 v51, 0, v51, vcc_lo
	v_cmp_eq_u32_e32 vcc_lo, 0, v10
	v_add_nc_u32_e32 v10, 0xffffff91, v10
	v_cndmask_b32_e64 v51, v51, 0x6f, vcc_lo
	v_cndmask_b32_e32 v50, v96, v50, vcc_lo
	v_cndmask_b32_e64 v10, v10, 0xffffff92, vcc_lo
	v_lshl_add_u32 v96, 0x200000, v51, -1
	v_lshrrev_b32_e32 v97, v51, v50
	v_lshlrev_b32_e64 v40, v51, 0x100000
	v_add_nc_u32_e32 v51, v51, v10
	v_and_b32_e32 v50, v96, v50
	v_bfe_u32 v115, v97, 21, 1
	v_cmp_eq_u32_e64 s16, v50, v40
	v_add_nc_u32_e32 v96, -1, v115
	v_cndmask_b32_e64 v50, 0, v96, s16
	v_lshrrev_b32_e32 v96, 23, v97
	s_mov_b32 s16, exec_lo
	v_add_nc_u32_e32 v50, v50, v97
	v_xor_b32_e32 v96, 1, v96
	v_and_b32_e32 v10, 0x1fffff, v50
	v_add_nc_u32_e32 v50, v10, v97
                                        ; implicit-def: $vgpr10
	v_cmpx_ne_u32_e64 v51, v96
	s_xor_b32 s16, exec_lo, s16
; %bb.8467:                             ;   in Loop: Header=BB4_7456 Depth=3
	v_cmp_lt_u32_e32 vcc_lo, 0xffffff, v50
	v_sub_nc_u32_e32 v10, v51, v96
	v_cndmask_b32_e64 v51, 0, 1, vcc_lo
	v_add_co_ci_u32_e64 v10, null, 0, v10, vcc_lo
	v_lshrrev_b32_e32 v50, v51, v50
; %bb.8468:                             ;   in Loop: Header=BB4_7456 Depth=3
	s_andn2_saveexec_b32 s16, s16
; %bb.8469:                             ;   in Loop: Header=BB4_7456 Depth=3
	v_bfe_u32 v10, v50, 23, 1
; %bb.8470:                             ;   in Loop: Header=BB4_7456 Depth=3
	s_or_b32 exec_lo, exec_lo, s16
	v_lshrrev_b32_e32 v50, 21, v50
	v_min_i32_e32 v51, 31, v10
	v_cmp_gt_i32_e32 vcc_lo, 32, v10
	v_and_b32_sdwa v37, v37, v101 dst_sel:DWORD dst_unused:UNUSED_PAD src0_sel:BYTE_3 src1_sel:DWORD
	v_lshlrev_b32_e32 v51, 2, v51
	v_cndmask_b32_e32 v50, 3, v50, vcc_lo
	v_and_b32_e32 v51, 0xfc, v51
	v_and_b32_e32 v96, 3, v50
	v_or_b32_e32 v10, v10, v50
	v_or3_b32 v37, v37, v51, v96
	v_cmp_ne_u32_e32 vcc_lo, 0, v10
	v_lshlrev_b32_e32 v37, 8, v37
	v_cndmask_b32_e32 v10, 0, v37, vcc_lo
.LBB4_8471:                             ;   in Loop: Header=BB4_7456 Depth=3
	s_or_b32 exec_lo, exec_lo, s72
.LBB4_8472:                             ;   in Loop: Header=BB4_7456 Depth=3
	s_or_b32 exec_lo, exec_lo, s23
	v_or_b32_e32 v96, v73, v62
	s_mov_b32 s16, 0
	v_cmp_gt_i16_sdwa s23, v96, v100 src0_sel:BYTE_0 src1_sel:DWORD
	s_and_saveexec_b32 s72, s23
	s_xor_b32 s23, exec_lo, s72
	s_cbranch_execz .LBB4_8726
; %bb.8473:                             ;   in Loop: Header=BB4_7456 Depth=3
	v_cmp_eq_u16_sdwa s73, v96, v101 src0_sel:BYTE_0 src1_sel:DWORD
	s_mov_b32 s16, -1
	s_and_saveexec_b32 s72, s73
; %bb.8474:                             ;   in Loop: Header=BB4_7456 Depth=3
	s_xor_b32 s16, exec_lo, -1
; %bb.8475:                             ;   in Loop: Header=BB4_7456 Depth=3
	s_or_b32 exec_lo, exec_lo, s72
	s_and_b32 s16, s16, exec_lo
	s_or_saveexec_b32 s23, s23
	v_mov_b32_e32 v37, 0x7f800001
	s_xor_b32 exec_lo, exec_lo, s23
	s_cbranch_execnz .LBB4_8727
.LBB4_8476:                             ;   in Loop: Header=BB4_7456 Depth=3
	s_or_b32 exec_lo, exec_lo, s23
	s_and_saveexec_b32 s23, s16
	s_cbranch_execz .LBB4_8478
.LBB4_8477:                             ;   in Loop: Header=BB4_7456 Depth=3
	v_and_b32_e32 v37, 3, v96
	v_bfe_u32 v97, v96, 2, 5
	v_lshlrev_b32_e32 v115, 24, v96
	v_ffbh_u32_e32 v50, v37
	v_cmp_eq_u32_e32 vcc_lo, 0, v97
	v_min_u32_e32 v50, 32, v50
	v_subrev_nc_u32_e32 v51, 29, v50
	v_sub_nc_u32_e32 v50, 30, v50
	v_lshlrev_b32_e32 v51, v51, v96
	v_cndmask_b32_e32 v50, v97, v50, vcc_lo
	v_and_b32_e32 v51, 3, v51
	v_lshl_add_u32 v50, v50, 23, 0x37800000
	v_cndmask_b32_e32 v37, v37, v51, vcc_lo
	v_and_b32_e32 v51, 0x80000000, v115
	v_lshlrev_b32_e32 v37, 21, v37
	v_or3_b32 v37, v51, v50, v37
.LBB4_8478:                             ;   in Loop: Header=BB4_7456 Depth=3
	s_or_b32 exec_lo, exec_lo, s23
	v_cmp_gt_i16_sdwa s23, v11, v100 src0_sel:BYTE_0 src1_sel:DWORD
	s_mov_b32 s16, 0
	s_and_saveexec_b32 s72, s23
	s_xor_b32 s23, exec_lo, s72
	s_cbranch_execz .LBB4_8728
; %bb.8479:                             ;   in Loop: Header=BB4_7456 Depth=3
	v_cmp_eq_u16_sdwa s73, v11, v101 src0_sel:BYTE_0 src1_sel:DWORD
	s_mov_b32 s16, -1
	s_and_saveexec_b32 s72, s73
; %bb.8480:                             ;   in Loop: Header=BB4_7456 Depth=3
	s_xor_b32 s16, exec_lo, -1
; %bb.8481:                             ;   in Loop: Header=BB4_7456 Depth=3
	s_or_b32 exec_lo, exec_lo, s72
	s_and_b32 s16, s16, exec_lo
	s_or_saveexec_b32 s23, s23
	v_mov_b32_e32 v50, 0x7f800001
	s_xor_b32 exec_lo, exec_lo, s23
	s_cbranch_execnz .LBB4_8729
.LBB4_8482:                             ;   in Loop: Header=BB4_7456 Depth=3
	s_or_b32 exec_lo, exec_lo, s23
	s_and_saveexec_b32 s23, s16
	s_cbranch_execz .LBB4_8484
.LBB4_8483:                             ;   in Loop: Header=BB4_7456 Depth=3
	v_and_b32_e32 v50, 3, v11
	v_bfe_u32 v115, v11, 2, 5
	v_lshlrev_b32_e32 v40, 24, v11
	v_ffbh_u32_e32 v51, v50
	v_cmp_eq_u32_e32 vcc_lo, 0, v115
	v_min_u32_e32 v51, 32, v51
	v_subrev_nc_u32_e32 v97, 29, v51
	v_sub_nc_u32_e32 v51, 30, v51
	v_lshlrev_b32_e32 v97, v97, v11
	v_cndmask_b32_e32 v51, v115, v51, vcc_lo
	v_and_b32_e32 v97, 3, v97
	v_lshl_add_u32 v51, v51, 23, 0x37800000
	v_cndmask_b32_e32 v50, v50, v97, vcc_lo
	v_and_b32_e32 v97, 0x80000000, v40
	v_lshlrev_b32_e32 v50, 21, v50
	v_or3_b32 v50, v97, v51, v50
.LBB4_8484:                             ;   in Loop: Header=BB4_7456 Depth=3
	s_or_b32 exec_lo, exec_lo, s23
	v_add_f32_e32 v50, v37, v50
	v_and_b32_e32 v37, 0x7f800000, v50
	v_cmp_ne_u32_e32 vcc_lo, 0x7f800000, v37
	v_mov_b32_e32 v37, 0x80
	s_and_saveexec_b32 s23, vcc_lo
	s_cbranch_execz .LBB4_8492
; %bb.8485:                             ;   in Loop: Header=BB4_7456 Depth=3
	v_mov_b32_e32 v37, 0
	s_mov_b32 s72, exec_lo
	v_cmpx_ne_u32_e32 0, v50
	s_cbranch_execz .LBB4_8491
; %bb.8486:                             ;   in Loop: Header=BB4_7456 Depth=3
	v_bfe_u32 v37, v50, 23, 8
	v_and_b32_e32 v51, 0x7fffff, v50
	v_sub_nc_u32_e32 v97, 0x70, v37
	v_cmp_gt_u32_e32 vcc_lo, 0x71, v37
	v_or_b32_e32 v115, 0x800000, v51
	v_cndmask_b32_e32 v97, 0, v97, vcc_lo
	v_cmp_eq_u32_e32 vcc_lo, 0, v37
	v_add_nc_u32_e32 v37, 0xffffff91, v37
	v_cndmask_b32_e64 v97, v97, 0x6f, vcc_lo
	v_cndmask_b32_e32 v51, v115, v51, vcc_lo
	v_cndmask_b32_e64 v37, v37, 0xffffff92, vcc_lo
	v_lshl_add_u32 v40, 0x200000, v97, -1
	v_lshrrev_b32_e32 v115, v97, v51
	v_lshlrev_b32_e64 v72, v97, 0x100000
	v_add_nc_u32_e32 v97, v97, v37
	v_and_b32_e32 v51, v40, v51
	v_bfe_u32 v62, v115, 21, 1
	v_cmp_eq_u32_e64 s16, v51, v72
	v_add_nc_u32_e32 v40, -1, v62
	v_cndmask_b32_e64 v51, 0, v40, s16
	v_lshrrev_b32_e32 v40, 23, v115
	s_mov_b32 s16, exec_lo
	v_add_nc_u32_e32 v51, v51, v115
	v_xor_b32_e32 v40, 1, v40
	v_and_b32_e32 v37, 0x1fffff, v51
	v_add_nc_u32_e32 v51, v37, v115
                                        ; implicit-def: $vgpr37
	v_cmpx_ne_u32_e64 v97, v40
	s_xor_b32 s16, exec_lo, s16
; %bb.8487:                             ;   in Loop: Header=BB4_7456 Depth=3
	v_cmp_lt_u32_e32 vcc_lo, 0xffffff, v51
	v_sub_nc_u32_e32 v37, v97, v40
	v_cndmask_b32_e64 v97, 0, 1, vcc_lo
	v_add_co_ci_u32_e64 v37, null, 0, v37, vcc_lo
	v_lshrrev_b32_e32 v51, v97, v51
; %bb.8488:                             ;   in Loop: Header=BB4_7456 Depth=3
	s_andn2_saveexec_b32 s16, s16
; %bb.8489:                             ;   in Loop: Header=BB4_7456 Depth=3
	v_bfe_u32 v37, v51, 23, 1
; %bb.8490:                             ;   in Loop: Header=BB4_7456 Depth=3
	s_or_b32 exec_lo, exec_lo, s16
	v_lshrrev_b32_e32 v51, 21, v51
	v_min_i32_e32 v97, 31, v37
	v_cmp_gt_i32_e32 vcc_lo, 32, v37
	v_and_b32_sdwa v50, v50, v101 dst_sel:DWORD dst_unused:UNUSED_PAD src0_sel:BYTE_3 src1_sel:DWORD
	v_lshlrev_b32_e32 v97, 2, v97
	v_cndmask_b32_e32 v51, 3, v51, vcc_lo
	v_and_b32_e32 v97, 0xfc, v97
	v_and_b32_e32 v115, 3, v51
	v_or_b32_e32 v37, v37, v51
	v_or3_b32 v50, v97, v50, v115
	v_cmp_ne_u32_e32 vcc_lo, 0, v37
	v_cndmask_b32_e32 v37, 0, v50, vcc_lo
.LBB4_8491:                             ;   in Loop: Header=BB4_7456 Depth=3
	s_or_b32 exec_lo, exec_lo, s72
.LBB4_8492:                             ;   in Loop: Header=BB4_7456 Depth=3
	s_or_b32 exec_lo, exec_lo, s23
	v_cmp_gt_i16_sdwa s23, v96, v100 src0_sel:BYTE_1 src1_sel:DWORD
	s_mov_b32 s16, 0
	s_and_saveexec_b32 s72, s23
	s_xor_b32 s23, exec_lo, s72
	s_cbranch_execz .LBB4_8730
; %bb.8493:                             ;   in Loop: Header=BB4_7456 Depth=3
	v_cmp_eq_u16_sdwa s73, v96, v101 src0_sel:BYTE_1 src1_sel:DWORD
	s_mov_b32 s16, -1
	s_and_saveexec_b32 s72, s73
; %bb.8494:                             ;   in Loop: Header=BB4_7456 Depth=3
	s_xor_b32 s16, exec_lo, -1
; %bb.8495:                             ;   in Loop: Header=BB4_7456 Depth=3
	s_or_b32 exec_lo, exec_lo, s72
	s_and_b32 s16, s16, exec_lo
	s_or_saveexec_b32 s23, s23
	v_mov_b32_e32 v50, 0x7f800001
	s_xor_b32 exec_lo, exec_lo, s23
	s_cbranch_execnz .LBB4_8731
.LBB4_8496:                             ;   in Loop: Header=BB4_7456 Depth=3
	s_or_b32 exec_lo, exec_lo, s23
	s_and_saveexec_b32 s23, s16
	s_cbranch_execz .LBB4_8498
.LBB4_8497:                             ;   in Loop: Header=BB4_7456 Depth=3
	v_and_b32_sdwa v50, v102, v96 dst_sel:DWORD dst_unused:UNUSED_PAD src0_sel:DWORD src1_sel:BYTE_1
	v_and_b32_e32 v51, 3, v50
	v_bfe_u32 v40, v50, 2, 5
	v_ffbh_u32_e32 v97, v51
	v_cmp_eq_u32_e32 vcc_lo, 0, v40
	v_min_u32_e32 v97, 32, v97
	v_subrev_nc_u32_e32 v115, 29, v97
	v_sub_nc_u32_e32 v97, 30, v97
	v_lshlrev_b32_e32 v50, v115, v50
	v_lshlrev_b32_sdwa v115, v103, v96 dst_sel:DWORD dst_unused:UNUSED_PAD src0_sel:DWORD src1_sel:BYTE_1
	v_cndmask_b32_e32 v97, v40, v97, vcc_lo
	v_and_b32_e32 v50, 3, v50
	v_lshl_add_u32 v97, v97, 23, 0x37800000
	v_cndmask_b32_e32 v50, v51, v50, vcc_lo
	v_and_b32_e32 v51, 0x80000000, v115
	v_lshlrev_b32_e32 v50, 21, v50
	v_or3_b32 v50, v51, v97, v50
.LBB4_8498:                             ;   in Loop: Header=BB4_7456 Depth=3
	s_or_b32 exec_lo, exec_lo, s23
	v_cmp_gt_i16_sdwa s23, v11, v100 src0_sel:BYTE_1 src1_sel:DWORD
	s_mov_b32 s16, 0
	s_and_saveexec_b32 s72, s23
	s_xor_b32 s23, exec_lo, s72
	s_cbranch_execz .LBB4_8732
; %bb.8499:                             ;   in Loop: Header=BB4_7456 Depth=3
	v_cmp_eq_u16_sdwa s73, v11, v101 src0_sel:BYTE_1 src1_sel:DWORD
	s_mov_b32 s16, -1
	s_and_saveexec_b32 s72, s73
; %bb.8500:                             ;   in Loop: Header=BB4_7456 Depth=3
	s_xor_b32 s16, exec_lo, -1
; %bb.8501:                             ;   in Loop: Header=BB4_7456 Depth=3
	s_or_b32 exec_lo, exec_lo, s72
	s_and_b32 s16, s16, exec_lo
	s_or_saveexec_b32 s23, s23
	v_mov_b32_e32 v51, 0x7f800001
	s_xor_b32 exec_lo, exec_lo, s23
	s_cbranch_execnz .LBB4_8733
.LBB4_8502:                             ;   in Loop: Header=BB4_7456 Depth=3
	s_or_b32 exec_lo, exec_lo, s23
	s_and_saveexec_b32 s23, s16
	s_cbranch_execz .LBB4_8504
.LBB4_8503:                             ;   in Loop: Header=BB4_7456 Depth=3
	v_and_b32_sdwa v51, v102, v11 dst_sel:DWORD dst_unused:UNUSED_PAD src0_sel:DWORD src1_sel:BYTE_1
	v_and_b32_e32 v97, 3, v51
	v_bfe_u32 v62, v51, 2, 5
	v_ffbh_u32_e32 v115, v97
	v_cmp_eq_u32_e32 vcc_lo, 0, v62
	v_min_u32_e32 v115, 32, v115
	v_subrev_nc_u32_e32 v40, 29, v115
	v_sub_nc_u32_e32 v115, 30, v115
	v_lshlrev_b32_e32 v51, v40, v51
	v_lshlrev_b32_sdwa v40, v103, v11 dst_sel:DWORD dst_unused:UNUSED_PAD src0_sel:DWORD src1_sel:BYTE_1
	v_cndmask_b32_e32 v115, v62, v115, vcc_lo
	v_and_b32_e32 v51, 3, v51
	v_lshl_add_u32 v115, v115, 23, 0x37800000
	v_cndmask_b32_e32 v51, v97, v51, vcc_lo
	v_and_b32_e32 v97, 0x80000000, v40
	v_lshlrev_b32_e32 v51, 21, v51
	v_or3_b32 v51, v97, v115, v51
.LBB4_8504:                             ;   in Loop: Header=BB4_7456 Depth=3
	s_or_b32 exec_lo, exec_lo, s23
	v_add_f32_e32 v50, v50, v51
	v_mov_b32_e32 v97, 0x8000
	s_mov_b32 s23, exec_lo
	v_and_b32_e32 v51, 0x7f800000, v50
	v_cmpx_ne_u32_e32 0x7f800000, v51
	s_cbranch_execz .LBB4_8512
; %bb.8505:                             ;   in Loop: Header=BB4_7456 Depth=3
	v_mov_b32_e32 v97, 0
	s_mov_b32 s72, exec_lo
	v_cmpx_ne_u32_e32 0, v50
	s_cbranch_execz .LBB4_8511
; %bb.8506:                             ;   in Loop: Header=BB4_7456 Depth=3
	v_bfe_u32 v51, v50, 23, 8
	v_and_b32_e32 v97, 0x7fffff, v50
	v_sub_nc_u32_e32 v115, 0x70, v51
	v_cmp_gt_u32_e32 vcc_lo, 0x71, v51
	v_or_b32_e32 v40, 0x800000, v97
	v_cndmask_b32_e32 v115, 0, v115, vcc_lo
	v_cmp_eq_u32_e32 vcc_lo, 0, v51
	v_add_nc_u32_e32 v51, 0xffffff91, v51
	v_cndmask_b32_e64 v115, v115, 0x6f, vcc_lo
	v_cndmask_b32_e32 v97, v40, v97, vcc_lo
	v_cndmask_b32_e64 v51, v51, 0xffffff92, vcc_lo
	v_lshl_add_u32 v40, 0x200000, v115, -1
	v_lshrrev_b32_e32 v72, v115, v97
	v_lshlrev_b32_e64 v73, v115, 0x100000
	v_and_b32_e32 v97, v40, v97
	v_bfe_u32 v62, v72, 21, 1
	v_cmp_eq_u32_e64 s16, v97, v73
	v_add_nc_u32_e32 v40, -1, v62
	v_lshrrev_b32_e32 v62, 23, v72
	v_cndmask_b32_e64 v97, 0, v40, s16
	v_add_nc_u32_e32 v40, v115, v51
	v_xor_b32_e32 v62, 1, v62
	s_mov_b32 s16, exec_lo
	v_add_nc_u32_e32 v97, v97, v72
	v_and_b32_e32 v51, 0x1fffff, v97
	v_add_nc_u32_e32 v97, v51, v72
                                        ; implicit-def: $vgpr51
	v_cmpx_ne_u32_e64 v40, v62
	s_xor_b32 s16, exec_lo, s16
; %bb.8507:                             ;   in Loop: Header=BB4_7456 Depth=3
	v_cmp_lt_u32_e32 vcc_lo, 0xffffff, v97
	v_sub_nc_u32_e32 v51, v40, v62
	v_cndmask_b32_e64 v115, 0, 1, vcc_lo
	v_add_co_ci_u32_e64 v51, null, 0, v51, vcc_lo
	v_lshrrev_b32_e32 v97, v115, v97
; %bb.8508:                             ;   in Loop: Header=BB4_7456 Depth=3
	s_andn2_saveexec_b32 s16, s16
; %bb.8509:                             ;   in Loop: Header=BB4_7456 Depth=3
	v_bfe_u32 v51, v97, 23, 1
; %bb.8510:                             ;   in Loop: Header=BB4_7456 Depth=3
	s_or_b32 exec_lo, exec_lo, s16
	v_lshrrev_b32_e32 v97, 21, v97
	v_min_i32_e32 v115, 31, v51
	v_cmp_gt_i32_e32 vcc_lo, 32, v51
	v_and_b32_sdwa v50, v50, v101 dst_sel:DWORD dst_unused:UNUSED_PAD src0_sel:BYTE_3 src1_sel:DWORD
	v_lshlrev_b32_e32 v115, 2, v115
	v_cndmask_b32_e32 v97, 3, v97, vcc_lo
	v_and_b32_e32 v115, 0xfc, v115
	v_and_b32_e32 v40, 3, v97
	v_or_b32_e32 v51, v51, v97
	v_or3_b32 v50, v50, v115, v40
	v_cmp_ne_u32_e32 vcc_lo, 0, v51
	v_lshlrev_b32_e32 v50, 8, v50
	v_cndmask_b32_e32 v97, 0, v50, vcc_lo
.LBB4_8511:                             ;   in Loop: Header=BB4_7456 Depth=3
	s_or_b32 exec_lo, exec_lo, s72
.LBB4_8512:                             ;   in Loop: Header=BB4_7456 Depth=3
	s_or_b32 exec_lo, exec_lo, s23
	v_or_b32_e32 v51, v63, v82
	s_mov_b32 s16, 0
	v_cmp_gt_i16_sdwa s23, v51, v100 src0_sel:BYTE_0 src1_sel:DWORD
	s_and_saveexec_b32 s72, s23
	s_xor_b32 s23, exec_lo, s72
	s_cbranch_execz .LBB4_8734
; %bb.8513:                             ;   in Loop: Header=BB4_7456 Depth=3
	v_cmp_eq_u16_sdwa s73, v51, v101 src0_sel:BYTE_0 src1_sel:DWORD
	s_mov_b32 s16, -1
	s_and_saveexec_b32 s72, s73
; %bb.8514:                             ;   in Loop: Header=BB4_7456 Depth=3
	s_xor_b32 s16, exec_lo, -1
; %bb.8515:                             ;   in Loop: Header=BB4_7456 Depth=3
	s_or_b32 exec_lo, exec_lo, s72
	s_and_b32 s16, s16, exec_lo
	s_or_saveexec_b32 s23, s23
	v_mov_b32_e32 v50, 0x7f800001
	s_xor_b32 exec_lo, exec_lo, s23
	s_cbranch_execnz .LBB4_8735
.LBB4_8516:                             ;   in Loop: Header=BB4_7456 Depth=3
	s_or_b32 exec_lo, exec_lo, s23
	v_lshl_or_b32 v51, v51, 16, v96
	s_and_saveexec_b32 s23, s16
	s_cbranch_execz .LBB4_8518
.LBB4_8517:                             ;   in Loop: Header=BB4_7456 Depth=3
	v_bfe_u32 v50, v51, 16, 2
	v_bfe_u32 v115, v51, 18, 5
	v_lshlrev_b32_e32 v40, 8, v51
	v_ffbh_u32_e32 v82, v50
	v_cmp_eq_u32_e32 vcc_lo, 0, v115
	v_min_u32_e32 v82, 32, v82
	v_subrev_nc_u32_e32 v96, 29, v82
	v_sub_nc_u32_e32 v82, 30, v82
	v_lshlrev_b32_sdwa v96, v96, v51 dst_sel:DWORD dst_unused:UNUSED_PAD src0_sel:DWORD src1_sel:WORD_1
	v_cndmask_b32_e32 v82, v115, v82, vcc_lo
	v_and_b32_e32 v96, 3, v96
	v_lshl_add_u32 v82, v82, 23, 0x37800000
	v_cndmask_b32_e32 v50, v50, v96, vcc_lo
	v_and_b32_e32 v96, 0x80000000, v40
	v_lshlrev_b32_e32 v50, 21, v50
	v_or3_b32 v50, v96, v82, v50
.LBB4_8518:                             ;   in Loop: Header=BB4_7456 Depth=3
	s_or_b32 exec_lo, exec_lo, s23
	v_and_b32_sdwa v96, v11, v112 dst_sel:DWORD dst_unused:UNUSED_PAD src0_sel:WORD_1 src1_sel:DWORD
	s_mov_b32 s16, 0
	s_mov_b32 s23, exec_lo
	v_cmpx_lt_i16_e32 0x7f, v96
	s_xor_b32 s23, exec_lo, s23
	s_cbranch_execz .LBB4_8736
; %bb.8519:                             ;   in Loop: Header=BB4_7456 Depth=3
	s_mov_b32 s16, -1
	s_mov_b32 s72, exec_lo
	v_cmpx_eq_u16_e32 0x80, v96
; %bb.8520:                             ;   in Loop: Header=BB4_7456 Depth=3
	s_xor_b32 s16, exec_lo, -1
; %bb.8521:                             ;   in Loop: Header=BB4_7456 Depth=3
	s_or_b32 exec_lo, exec_lo, s72
	s_and_b32 s16, s16, exec_lo
                                        ; implicit-def: $vgpr96
	s_or_saveexec_b32 s23, s23
	v_mov_b32_e32 v82, 0x7f800001
	s_xor_b32 exec_lo, exec_lo, s23
	s_cbranch_execnz .LBB4_8737
.LBB4_8522:                             ;   in Loop: Header=BB4_7456 Depth=3
	s_or_b32 exec_lo, exec_lo, s23
	s_and_saveexec_b32 s23, s16
	s_cbranch_execz .LBB4_8524
.LBB4_8523:                             ;   in Loop: Header=BB4_7456 Depth=3
	v_bfe_u32 v82, v11, 16, 2
	v_bfe_u32 v40, v11, 18, 5
	v_lshlrev_b32_e32 v62, 8, v11
	v_ffbh_u32_e32 v96, v82
	v_cmp_eq_u32_e32 vcc_lo, 0, v40
	v_min_u32_e32 v96, 32, v96
	v_subrev_nc_u32_e32 v115, 29, v96
	v_sub_nc_u32_e32 v96, 30, v96
	v_lshlrev_b32_sdwa v115, v115, v11 dst_sel:DWORD dst_unused:UNUSED_PAD src0_sel:DWORD src1_sel:WORD_1
	v_cndmask_b32_e32 v96, v40, v96, vcc_lo
	v_and_b32_e32 v115, 3, v115
	v_lshl_add_u32 v96, v96, 23, 0x37800000
	v_cndmask_b32_e32 v82, v82, v115, vcc_lo
	v_and_b32_e32 v115, 0x80000000, v62
	v_lshlrev_b32_e32 v82, 21, v82
	v_or3_b32 v82, v115, v96, v82
.LBB4_8524:                             ;   in Loop: Header=BB4_7456 Depth=3
	s_or_b32 exec_lo, exec_lo, s23
	v_add_f32_e32 v82, v50, v82
	v_and_b32_e32 v50, 0x7f800000, v82
	v_cmp_ne_u32_e32 vcc_lo, 0x7f800000, v50
	v_mov_b32_e32 v50, 0x80
	s_and_saveexec_b32 s23, vcc_lo
	s_cbranch_execz .LBB4_8532
; %bb.8525:                             ;   in Loop: Header=BB4_7456 Depth=3
	v_mov_b32_e32 v50, 0
	s_mov_b32 s72, exec_lo
	v_cmpx_ne_u32_e32 0, v82
	s_cbranch_execz .LBB4_8531
; %bb.8526:                             ;   in Loop: Header=BB4_7456 Depth=3
	v_bfe_u32 v50, v82, 23, 8
	v_and_b32_e32 v96, 0x7fffff, v82
	v_sub_nc_u32_e32 v115, 0x70, v50
	v_cmp_gt_u32_e32 vcc_lo, 0x71, v50
	v_or_b32_e32 v40, 0x800000, v96
	v_cndmask_b32_e32 v115, 0, v115, vcc_lo
	v_cmp_eq_u32_e32 vcc_lo, 0, v50
	v_add_nc_u32_e32 v50, 0xffffff91, v50
	v_cndmask_b32_e64 v115, v115, 0x6f, vcc_lo
	v_cndmask_b32_e32 v96, v40, v96, vcc_lo
	v_cndmask_b32_e64 v50, v50, 0xffffff92, vcc_lo
	v_lshl_add_u32 v40, 0x200000, v115, -1
	v_lshrrev_b32_e32 v63, v115, v96
	v_lshlrev_b32_e64 v72, v115, 0x100000
	v_and_b32_e32 v96, v40, v96
	v_bfe_u32 v62, v63, 21, 1
	v_cmp_eq_u32_e64 s16, v96, v72
	v_add_nc_u32_e32 v40, -1, v62
	v_lshrrev_b32_e32 v62, 23, v63
	v_cndmask_b32_e64 v96, 0, v40, s16
	v_add_nc_u32_e32 v40, v115, v50
	v_xor_b32_e32 v62, 1, v62
	s_mov_b32 s16, exec_lo
	v_add_nc_u32_e32 v96, v96, v63
	v_and_b32_e32 v50, 0x1fffff, v96
	v_add_nc_u32_e32 v96, v50, v63
                                        ; implicit-def: $vgpr50
	v_cmpx_ne_u32_e64 v40, v62
	s_xor_b32 s16, exec_lo, s16
; %bb.8527:                             ;   in Loop: Header=BB4_7456 Depth=3
	v_cmp_lt_u32_e32 vcc_lo, 0xffffff, v96
	v_sub_nc_u32_e32 v50, v40, v62
	v_cndmask_b32_e64 v115, 0, 1, vcc_lo
	v_add_co_ci_u32_e64 v50, null, 0, v50, vcc_lo
	v_lshrrev_b32_e32 v96, v115, v96
; %bb.8528:                             ;   in Loop: Header=BB4_7456 Depth=3
	s_andn2_saveexec_b32 s16, s16
; %bb.8529:                             ;   in Loop: Header=BB4_7456 Depth=3
	v_bfe_u32 v50, v96, 23, 1
; %bb.8530:                             ;   in Loop: Header=BB4_7456 Depth=3
	s_or_b32 exec_lo, exec_lo, s16
	v_lshrrev_b32_e32 v96, 21, v96
	v_min_i32_e32 v115, 31, v50
	v_cmp_gt_i32_e32 vcc_lo, 32, v50
	v_and_b32_sdwa v82, v82, v101 dst_sel:DWORD dst_unused:UNUSED_PAD src0_sel:BYTE_3 src1_sel:DWORD
	v_lshlrev_b32_e32 v115, 2, v115
	v_cndmask_b32_e32 v96, 3, v96, vcc_lo
	v_and_b32_e32 v115, 0xfc, v115
	v_and_b32_e32 v40, 3, v96
	v_or_b32_e32 v50, v50, v96
	v_or3_b32 v82, v115, v82, v40
	v_cmp_ne_u32_e32 vcc_lo, 0, v50
	v_cndmask_b32_e32 v50, 0, v82, vcc_lo
.LBB4_8531:                             ;   in Loop: Header=BB4_7456 Depth=3
	s_or_b32 exec_lo, exec_lo, s72
.LBB4_8532:                             ;   in Loop: Header=BB4_7456 Depth=3
	s_or_b32 exec_lo, exec_lo, s23
	v_cmp_gt_i16_sdwa s23, v51, v100 src0_sel:BYTE_3 src1_sel:DWORD
	s_mov_b32 s16, 0
	s_and_saveexec_b32 s72, s23
	s_xor_b32 s23, exec_lo, s72
	s_cbranch_execz .LBB4_8738
; %bb.8533:                             ;   in Loop: Header=BB4_7456 Depth=3
	v_cmp_eq_u16_sdwa s73, v51, v101 src0_sel:BYTE_3 src1_sel:DWORD
	s_mov_b32 s16, -1
	s_and_saveexec_b32 s72, s73
; %bb.8534:                             ;   in Loop: Header=BB4_7456 Depth=3
	s_xor_b32 s16, exec_lo, -1
; %bb.8535:                             ;   in Loop: Header=BB4_7456 Depth=3
	s_or_b32 exec_lo, exec_lo, s72
	s_and_b32 s16, s16, exec_lo
	s_or_saveexec_b32 s23, s23
	v_mov_b32_e32 v82, 0x7f800001
	s_xor_b32 exec_lo, exec_lo, s23
	s_cbranch_execnz .LBB4_8739
.LBB4_8536:                             ;   in Loop: Header=BB4_7456 Depth=3
	s_or_b32 exec_lo, exec_lo, s23
	s_and_saveexec_b32 s23, s16
	s_cbranch_execz .LBB4_8538
.LBB4_8537:                             ;   in Loop: Header=BB4_7456 Depth=3
	v_bfe_u32 v82, v51, 24, 2
	v_bfe_u32 v40, v51, 26, 5
	v_ffbh_u32_e32 v96, v82
	v_cmp_eq_u32_e32 vcc_lo, 0, v40
	v_min_u32_e32 v96, 32, v96
	v_subrev_nc_u32_e32 v115, 29, v96
	v_sub_nc_u32_e32 v96, 30, v96
	v_lshlrev_b32_sdwa v115, v115, v51 dst_sel:DWORD dst_unused:UNUSED_PAD src0_sel:DWORD src1_sel:BYTE_3
	v_cndmask_b32_e32 v96, v40, v96, vcc_lo
	v_and_b32_e32 v51, 0x80000000, v51
	v_and_b32_e32 v115, 3, v115
	v_lshl_add_u32 v96, v96, 23, 0x37800000
	v_cndmask_b32_e32 v82, v82, v115, vcc_lo
	v_lshlrev_b32_e32 v82, 21, v82
	v_or3_b32 v82, v51, v96, v82
.LBB4_8538:                             ;   in Loop: Header=BB4_7456 Depth=3
	s_or_b32 exec_lo, exec_lo, s23
	v_cmp_gt_i16_sdwa s23, v11, v100 src0_sel:BYTE_3 src1_sel:DWORD
	s_mov_b32 s16, 0
	s_and_saveexec_b32 s72, s23
	s_xor_b32 s23, exec_lo, s72
	s_cbranch_execz .LBB4_8740
; %bb.8539:                             ;   in Loop: Header=BB4_7456 Depth=3
	v_cmp_eq_u16_sdwa s73, v11, v101 src0_sel:BYTE_3 src1_sel:DWORD
	s_mov_b32 s16, -1
	s_and_saveexec_b32 s72, s73
; %bb.8540:                             ;   in Loop: Header=BB4_7456 Depth=3
	s_xor_b32 s16, exec_lo, -1
; %bb.8541:                             ;   in Loop: Header=BB4_7456 Depth=3
	s_or_b32 exec_lo, exec_lo, s72
	s_and_b32 s16, s16, exec_lo
	s_or_saveexec_b32 s23, s23
	v_mov_b32_e32 v51, 0x7f800001
	s_xor_b32 exec_lo, exec_lo, s23
	s_cbranch_execnz .LBB4_8741
.LBB4_8542:                             ;   in Loop: Header=BB4_7456 Depth=3
	s_or_b32 exec_lo, exec_lo, s23
	s_and_saveexec_b32 s23, s16
	s_cbranch_execz .LBB4_8544
.LBB4_8543:                             ;   in Loop: Header=BB4_7456 Depth=3
	v_bfe_u32 v51, v11, 24, 2
	v_bfe_u32 v40, v11, 26, 5
	v_ffbh_u32_e32 v96, v51
	v_cmp_eq_u32_e32 vcc_lo, 0, v40
	v_min_u32_e32 v96, 32, v96
	v_subrev_nc_u32_e32 v115, 29, v96
	v_sub_nc_u32_e32 v96, 30, v96
	v_lshlrev_b32_sdwa v115, v115, v11 dst_sel:DWORD dst_unused:UNUSED_PAD src0_sel:DWORD src1_sel:BYTE_3
	v_cndmask_b32_e32 v96, v40, v96, vcc_lo
	v_and_b32_e32 v11, 0x80000000, v11
	v_and_b32_e32 v115, 3, v115
	v_lshl_add_u32 v96, v96, 23, 0x37800000
	v_cndmask_b32_e32 v51, v51, v115, vcc_lo
	v_lshlrev_b32_e32 v51, 21, v51
	v_or3_b32 v51, v11, v96, v51
.LBB4_8544:                             ;   in Loop: Header=BB4_7456 Depth=3
	s_or_b32 exec_lo, exec_lo, s23
	v_add_f32_e32 v11, v82, v51
	v_and_b32_e32 v51, 0x7f800000, v11
	v_cmp_ne_u32_e32 vcc_lo, 0x7f800000, v51
	v_mov_b32_e32 v51, 0x8000
	s_and_saveexec_b32 s23, vcc_lo
	s_cbranch_execz .LBB4_7455
; %bb.8545:                             ;   in Loop: Header=BB4_7456 Depth=3
	v_mov_b32_e32 v51, 0
	s_mov_b32 s72, exec_lo
	v_cmpx_ne_u32_e32 0, v11
	s_cbranch_execz .LBB4_7454
; %bb.8546:                             ;   in Loop: Header=BB4_7456 Depth=3
	v_bfe_u32 v51, v11, 23, 8
	v_and_b32_e32 v82, 0x7fffff, v11
	v_sub_nc_u32_e32 v96, 0x70, v51
	v_cmp_gt_u32_e32 vcc_lo, 0x71, v51
	v_or_b32_e32 v115, 0x800000, v82
	v_cndmask_b32_e32 v96, 0, v96, vcc_lo
	v_cmp_eq_u32_e32 vcc_lo, 0, v51
	v_add_nc_u32_e32 v51, 0xffffff91, v51
	v_cndmask_b32_e64 v96, v96, 0x6f, vcc_lo
	v_cndmask_b32_e32 v82, v115, v82, vcc_lo
	v_cndmask_b32_e64 v51, v51, 0xffffff92, vcc_lo
	v_lshl_add_u32 v40, 0x200000, v96, -1
	v_lshrrev_b32_e32 v115, v96, v82
	v_lshlrev_b32_e64 v63, v96, 0x100000
	v_add_nc_u32_e32 v96, v96, v51
	v_and_b32_e32 v82, v40, v82
	v_bfe_u32 v62, v115, 21, 1
	v_cmp_eq_u32_e64 s16, v82, v63
	v_add_nc_u32_e32 v40, -1, v62
	v_cndmask_b32_e64 v82, 0, v40, s16
	v_lshrrev_b32_e32 v40, 23, v115
	s_mov_b32 s16, exec_lo
	v_add_nc_u32_e32 v82, v82, v115
	v_xor_b32_e32 v40, 1, v40
	v_and_b32_e32 v51, 0x1fffff, v82
	v_add_nc_u32_e32 v82, v51, v115
                                        ; implicit-def: $vgpr51
	v_cmpx_ne_u32_e64 v96, v40
	s_xor_b32 s16, exec_lo, s16
; %bb.8547:                             ;   in Loop: Header=BB4_7456 Depth=3
	v_cmp_lt_u32_e32 vcc_lo, 0xffffff, v82
	v_sub_nc_u32_e32 v51, v96, v40
	v_cndmask_b32_e64 v96, 0, 1, vcc_lo
	v_add_co_ci_u32_e64 v51, null, 0, v51, vcc_lo
	v_lshrrev_b32_e32 v82, v96, v82
; %bb.8548:                             ;   in Loop: Header=BB4_7456 Depth=3
	s_andn2_saveexec_b32 s16, s16
	s_cbranch_execz .LBB4_7453
; %bb.8549:                             ;   in Loop: Header=BB4_7456 Depth=3
	v_bfe_u32 v51, v82, 23, 1
	s_branch .LBB4_7453
.LBB4_8550:                             ;   in Loop: Header=BB4_7456 Depth=3
	s_or_saveexec_b32 s72, s72
	v_mov_b32_e32 v1, 0x7f800001
	s_xor_b32 exec_lo, exec_lo, s72
	s_cbranch_execz .LBB4_7468
.LBB4_8551:                             ;   in Loop: Header=BB4_7456 Depth=3
	v_cmp_ne_u16_sdwa s73, v8, v2 src0_sel:BYTE_0 src1_sel:DWORD
	v_mov_b32_e32 v1, 0
	s_andn2_b32 s16, s16, exec_lo
	s_and_b32 s73, s73, exec_lo
	s_or_b32 s16, s16, s73
	s_or_b32 exec_lo, exec_lo, s72
	s_and_saveexec_b32 s72, s16
	s_cbranch_execnz .LBB4_7469
	s_branch .LBB4_7470
.LBB4_8552:                             ;   in Loop: Header=BB4_7456 Depth=3
	s_or_saveexec_b32 s72, s72
	v_mov_b32_e32 v1, 0x7f800001
	s_xor_b32 exec_lo, exec_lo, s72
	s_cbranch_execz .LBB4_7482
.LBB4_8553:                             ;   in Loop: Header=BB4_7456 Depth=3
	v_cmp_ne_u16_sdwa s73, v8, v2 src0_sel:BYTE_1 src1_sel:DWORD
	v_mov_b32_e32 v1, 0
	s_andn2_b32 s16, s16, exec_lo
	s_and_b32 s73, s73, exec_lo
	s_or_b32 s16, s16, s73
	s_or_b32 exec_lo, exec_lo, s72
	s_and_saveexec_b32 s72, s16
	s_cbranch_execnz .LBB4_7483
	s_branch .LBB4_7484
.LBB4_8554:                             ;   in Loop: Header=BB4_7456 Depth=3
	s_or_saveexec_b32 s72, s72
	v_mov_b32_e32 v1, 0x7f800001
	s_xor_b32 exec_lo, exec_lo, s72
	s_cbranch_execz .LBB4_7496
.LBB4_8555:                             ;   in Loop: Header=BB4_7456 Depth=3
	v_cmp_ne_u16_e32 vcc_lo, 0, v4
	v_mov_b32_e32 v1, 0
	s_andn2_b32 s16, s16, exec_lo
	s_and_b32 s73, vcc_lo, exec_lo
	s_or_b32 s16, s16, s73
	s_or_b32 exec_lo, exec_lo, s72
	s_and_saveexec_b32 s72, s16
	s_cbranch_execnz .LBB4_7497
	s_branch .LBB4_7498
.LBB4_8556:                             ;   in Loop: Header=BB4_7456 Depth=3
	s_or_saveexec_b32 s72, s72
	v_mov_b32_e32 v1, 0x7f800001
	s_xor_b32 exec_lo, exec_lo, s72
	s_cbranch_execz .LBB4_7510
.LBB4_8557:                             ;   in Loop: Header=BB4_7456 Depth=3
	v_cmp_ne_u16_sdwa s73, v8, v2 src0_sel:BYTE_3 src1_sel:DWORD
	v_mov_b32_e32 v1, 0
	s_andn2_b32 s16, s16, exec_lo
	s_and_b32 s73, s73, exec_lo
	s_or_b32 s16, s16, s73
	s_or_b32 exec_lo, exec_lo, s72
	s_and_saveexec_b32 s72, s16
	s_cbranch_execnz .LBB4_7511
	s_branch .LBB4_7512
.LBB4_8558:                             ;   in Loop: Header=BB4_7456 Depth=3
	s_or_saveexec_b32 s72, s72
	v_mov_b32_e32 v1, 0x7f800001
	s_xor_b32 exec_lo, exec_lo, s72
	s_cbranch_execz .LBB4_7524
.LBB4_8559:                             ;   in Loop: Header=BB4_7456 Depth=3
	v_cmp_ne_u16_sdwa s73, v9, v2 src0_sel:BYTE_0 src1_sel:DWORD
	v_mov_b32_e32 v1, 0
	s_andn2_b32 s16, s16, exec_lo
	s_and_b32 s73, s73, exec_lo
	s_or_b32 s16, s16, s73
	s_or_b32 exec_lo, exec_lo, s72
	s_and_saveexec_b32 s72, s16
	s_cbranch_execnz .LBB4_7525
	s_branch .LBB4_7526
.LBB4_8560:                             ;   in Loop: Header=BB4_7456 Depth=3
	s_or_saveexec_b32 s72, s72
	v_mov_b32_e32 v1, 0x7f800001
	s_xor_b32 exec_lo, exec_lo, s72
	s_cbranch_execz .LBB4_7538
.LBB4_8561:                             ;   in Loop: Header=BB4_7456 Depth=3
	v_cmp_ne_u16_sdwa s73, v9, v2 src0_sel:BYTE_1 src1_sel:DWORD
	v_mov_b32_e32 v1, 0
	s_andn2_b32 s16, s16, exec_lo
	s_and_b32 s73, s73, exec_lo
	s_or_b32 s16, s16, s73
	s_or_b32 exec_lo, exec_lo, s72
	s_and_saveexec_b32 s72, s16
	s_cbranch_execnz .LBB4_7539
	s_branch .LBB4_7540
.LBB4_8562:                             ;   in Loop: Header=BB4_7456 Depth=3
	s_or_saveexec_b32 s72, s72
	v_mov_b32_e32 v1, 0x7f800001
	s_xor_b32 exec_lo, exec_lo, s72
	s_cbranch_execz .LBB4_7552
.LBB4_8563:                             ;   in Loop: Header=BB4_7456 Depth=3
	v_cmp_ne_u16_e32 vcc_lo, 0, v4
	v_mov_b32_e32 v1, 0
	s_andn2_b32 s16, s16, exec_lo
	s_and_b32 s73, vcc_lo, exec_lo
	s_or_b32 s16, s16, s73
	s_or_b32 exec_lo, exec_lo, s72
	s_and_saveexec_b32 s72, s16
	s_cbranch_execnz .LBB4_7553
	s_branch .LBB4_7554
.LBB4_8564:                             ;   in Loop: Header=BB4_7456 Depth=3
	s_or_saveexec_b32 s72, s72
	v_mov_b32_e32 v1, 0x7f800001
	s_xor_b32 exec_lo, exec_lo, s72
	s_cbranch_execz .LBB4_7566
.LBB4_8565:                             ;   in Loop: Header=BB4_7456 Depth=3
	v_cmp_ne_u16_sdwa s73, v9, v2 src0_sel:BYTE_3 src1_sel:DWORD
	v_mov_b32_e32 v1, 0
	s_andn2_b32 s16, s16, exec_lo
	s_and_b32 s73, s73, exec_lo
	s_or_b32 s16, s16, s73
	s_or_b32 exec_lo, exec_lo, s72
	s_and_saveexec_b32 s72, s16
	s_cbranch_execnz .LBB4_7567
	s_branch .LBB4_7568
.LBB4_8566:                             ;   in Loop: Header=BB4_7456 Depth=3
	s_or_saveexec_b32 s72, s72
	v_mov_b32_e32 v1, 0x7f800001
	s_xor_b32 exec_lo, exec_lo, s72
	s_cbranch_execz .LBB4_7580
.LBB4_8567:                             ;   in Loop: Header=BB4_7456 Depth=3
	v_cmp_ne_u16_sdwa s73, v10, v2 src0_sel:BYTE_0 src1_sel:DWORD
	v_mov_b32_e32 v1, 0
	s_andn2_b32 s16, s16, exec_lo
	s_and_b32 s73, s73, exec_lo
	s_or_b32 s16, s16, s73
	s_or_b32 exec_lo, exec_lo, s72
	s_and_saveexec_b32 s72, s16
	s_cbranch_execnz .LBB4_7581
	s_branch .LBB4_7582
.LBB4_8568:                             ;   in Loop: Header=BB4_7456 Depth=3
	s_or_saveexec_b32 s72, s72
	v_mov_b32_e32 v1, 0x7f800001
	s_xor_b32 exec_lo, exec_lo, s72
	s_cbranch_execz .LBB4_7594
.LBB4_8569:                             ;   in Loop: Header=BB4_7456 Depth=3
	v_cmp_ne_u16_sdwa s73, v10, v2 src0_sel:BYTE_1 src1_sel:DWORD
	v_mov_b32_e32 v1, 0
	s_andn2_b32 s16, s16, exec_lo
	s_and_b32 s73, s73, exec_lo
	s_or_b32 s16, s16, s73
	s_or_b32 exec_lo, exec_lo, s72
	s_and_saveexec_b32 s72, s16
	s_cbranch_execnz .LBB4_7595
	s_branch .LBB4_7596
.LBB4_8570:                             ;   in Loop: Header=BB4_7456 Depth=3
	s_or_saveexec_b32 s72, s72
	v_mov_b32_e32 v1, 0x7f800001
	s_xor_b32 exec_lo, exec_lo, s72
	s_cbranch_execz .LBB4_7608
.LBB4_8571:                             ;   in Loop: Header=BB4_7456 Depth=3
	v_cmp_ne_u16_e32 vcc_lo, 0, v4
	v_mov_b32_e32 v1, 0
	s_andn2_b32 s16, s16, exec_lo
	s_and_b32 s73, vcc_lo, exec_lo
	s_or_b32 s16, s16, s73
	s_or_b32 exec_lo, exec_lo, s72
	s_and_saveexec_b32 s72, s16
	s_cbranch_execnz .LBB4_7609
	s_branch .LBB4_7610
.LBB4_8572:                             ;   in Loop: Header=BB4_7456 Depth=3
	s_or_saveexec_b32 s72, s72
	v_mov_b32_e32 v1, 0x7f800001
	s_xor_b32 exec_lo, exec_lo, s72
	s_cbranch_execz .LBB4_7622
.LBB4_8573:                             ;   in Loop: Header=BB4_7456 Depth=3
	v_cmp_ne_u16_sdwa s73, v10, v2 src0_sel:BYTE_3 src1_sel:DWORD
	v_mov_b32_e32 v1, 0
	s_andn2_b32 s16, s16, exec_lo
	s_and_b32 s73, s73, exec_lo
	s_or_b32 s16, s16, s73
	s_or_b32 exec_lo, exec_lo, s72
	s_and_saveexec_b32 s72, s16
	s_cbranch_execnz .LBB4_7623
	s_branch .LBB4_7624
.LBB4_8574:                             ;   in Loop: Header=BB4_7456 Depth=3
	s_or_saveexec_b32 s72, s72
	v_mov_b32_e32 v1, 0x7f800001
	s_xor_b32 exec_lo, exec_lo, s72
	s_cbranch_execz .LBB4_7636
.LBB4_8575:                             ;   in Loop: Header=BB4_7456 Depth=3
	v_cmp_ne_u16_sdwa s73, v11, v2 src0_sel:BYTE_0 src1_sel:DWORD
	v_mov_b32_e32 v1, 0
	s_andn2_b32 s16, s16, exec_lo
	s_and_b32 s73, s73, exec_lo
	s_or_b32 s16, s16, s73
	s_or_b32 exec_lo, exec_lo, s72
	s_and_saveexec_b32 s72, s16
	s_cbranch_execnz .LBB4_7637
	s_branch .LBB4_7638
.LBB4_8576:                             ;   in Loop: Header=BB4_7456 Depth=3
	s_or_saveexec_b32 s72, s72
	v_mov_b32_e32 v1, 0x7f800001
	s_xor_b32 exec_lo, exec_lo, s72
	s_cbranch_execz .LBB4_7650
.LBB4_8577:                             ;   in Loop: Header=BB4_7456 Depth=3
	v_cmp_ne_u16_sdwa s73, v11, v2 src0_sel:BYTE_1 src1_sel:DWORD
	v_mov_b32_e32 v1, 0
	s_andn2_b32 s16, s16, exec_lo
	s_and_b32 s73, s73, exec_lo
	s_or_b32 s16, s16, s73
	s_or_b32 exec_lo, exec_lo, s72
	s_and_saveexec_b32 s72, s16
	s_cbranch_execnz .LBB4_7651
	s_branch .LBB4_7652
.LBB4_8578:                             ;   in Loop: Header=BB4_7456 Depth=3
	s_or_saveexec_b32 s72, s72
	v_mov_b32_e32 v1, 0x7f800001
	s_xor_b32 exec_lo, exec_lo, s72
	s_cbranch_execz .LBB4_7664
.LBB4_8579:                             ;   in Loop: Header=BB4_7456 Depth=3
	v_cmp_ne_u16_e32 vcc_lo, 0, v4
	v_mov_b32_e32 v1, 0
	s_andn2_b32 s16, s16, exec_lo
	s_and_b32 s73, vcc_lo, exec_lo
	s_or_b32 s16, s16, s73
	s_or_b32 exec_lo, exec_lo, s72
	s_and_saveexec_b32 s72, s16
	s_cbranch_execnz .LBB4_7665
	s_branch .LBB4_7666
.LBB4_8580:                             ;   in Loop: Header=BB4_7456 Depth=3
	s_or_saveexec_b32 s72, s72
	v_mov_b32_e32 v1, 0x7f800001
	s_xor_b32 exec_lo, exec_lo, s72
	s_cbranch_execz .LBB4_7678
.LBB4_8581:                             ;   in Loop: Header=BB4_7456 Depth=3
	v_cmp_ne_u16_sdwa s73, v11, v2 src0_sel:BYTE_3 src1_sel:DWORD
	v_mov_b32_e32 v1, 0
	s_andn2_b32 s16, s16, exec_lo
	s_and_b32 s73, s73, exec_lo
	s_or_b32 s16, s16, s73
	s_or_b32 exec_lo, exec_lo, s72
	s_and_saveexec_b32 s72, s16
	s_cbranch_execnz .LBB4_7679
	s_branch .LBB4_7680
.LBB4_8582:                             ;   in Loop: Header=BB4_7456 Depth=3
	s_or_saveexec_b32 s72, s72
	v_mov_b32_e32 v1, 0x7f800001
	s_xor_b32 exec_lo, exec_lo, s72
	s_cbranch_execz .LBB4_7692
.LBB4_8583:                             ;   in Loop: Header=BB4_7456 Depth=3
	v_cmp_ne_u16_sdwa s73, v8, v2 src0_sel:BYTE_0 src1_sel:DWORD
	v_mov_b32_e32 v1, 0
	s_andn2_b32 s16, s16, exec_lo
	s_and_b32 s73, s73, exec_lo
	s_or_b32 s16, s16, s73
	s_or_b32 exec_lo, exec_lo, s72
	s_and_saveexec_b32 s72, s16
	s_cbranch_execnz .LBB4_7693
	s_branch .LBB4_7694
.LBB4_8584:                             ;   in Loop: Header=BB4_7456 Depth=3
	s_or_saveexec_b32 s72, s72
	v_mov_b32_e32 v1, 0x7f800001
	s_xor_b32 exec_lo, exec_lo, s72
	s_cbranch_execz .LBB4_7706
.LBB4_8585:                             ;   in Loop: Header=BB4_7456 Depth=3
	v_cmp_ne_u16_sdwa s73, v8, v2 src0_sel:BYTE_1 src1_sel:DWORD
	v_mov_b32_e32 v1, 0
	s_andn2_b32 s16, s16, exec_lo
	s_and_b32 s73, s73, exec_lo
	s_or_b32 s16, s16, s73
	s_or_b32 exec_lo, exec_lo, s72
	s_and_saveexec_b32 s72, s16
	s_cbranch_execnz .LBB4_7707
	s_branch .LBB4_7708
.LBB4_8586:                             ;   in Loop: Header=BB4_7456 Depth=3
	s_or_saveexec_b32 s72, s72
	v_mov_b32_e32 v1, 0x7f800001
	s_xor_b32 exec_lo, exec_lo, s72
	s_cbranch_execz .LBB4_7720
.LBB4_8587:                             ;   in Loop: Header=BB4_7456 Depth=3
	v_cmp_ne_u16_e32 vcc_lo, 0, v4
	v_mov_b32_e32 v1, 0
	s_andn2_b32 s16, s16, exec_lo
	s_and_b32 s73, vcc_lo, exec_lo
	s_or_b32 s16, s16, s73
	s_or_b32 exec_lo, exec_lo, s72
	s_and_saveexec_b32 s72, s16
	s_cbranch_execnz .LBB4_7721
	s_branch .LBB4_7722
.LBB4_8588:                             ;   in Loop: Header=BB4_7456 Depth=3
	s_or_saveexec_b32 s72, s72
	v_mov_b32_e32 v1, 0x7f800001
	s_xor_b32 exec_lo, exec_lo, s72
	s_cbranch_execz .LBB4_7734
.LBB4_8589:                             ;   in Loop: Header=BB4_7456 Depth=3
	v_cmp_ne_u16_sdwa s73, v8, v2 src0_sel:BYTE_3 src1_sel:DWORD
	v_mov_b32_e32 v1, 0
	s_andn2_b32 s16, s16, exec_lo
	s_and_b32 s73, s73, exec_lo
	s_or_b32 s16, s16, s73
	s_or_b32 exec_lo, exec_lo, s72
	s_and_saveexec_b32 s72, s16
	s_cbranch_execnz .LBB4_7735
	s_branch .LBB4_7736
.LBB4_8590:                             ;   in Loop: Header=BB4_7456 Depth=3
	s_or_saveexec_b32 s72, s72
	v_mov_b32_e32 v1, 0x7f800001
	s_xor_b32 exec_lo, exec_lo, s72
	s_cbranch_execz .LBB4_7748
.LBB4_8591:                             ;   in Loop: Header=BB4_7456 Depth=3
	v_cmp_ne_u16_sdwa s73, v9, v2 src0_sel:BYTE_0 src1_sel:DWORD
	v_mov_b32_e32 v1, 0
	s_andn2_b32 s16, s16, exec_lo
	s_and_b32 s73, s73, exec_lo
	s_or_b32 s16, s16, s73
	s_or_b32 exec_lo, exec_lo, s72
	s_and_saveexec_b32 s72, s16
	s_cbranch_execnz .LBB4_7749
	s_branch .LBB4_7750
.LBB4_8592:                             ;   in Loop: Header=BB4_7456 Depth=3
	s_or_saveexec_b32 s72, s72
	v_mov_b32_e32 v1, 0x7f800001
	s_xor_b32 exec_lo, exec_lo, s72
	s_cbranch_execz .LBB4_7762
.LBB4_8593:                             ;   in Loop: Header=BB4_7456 Depth=3
	v_cmp_ne_u16_sdwa s73, v9, v2 src0_sel:BYTE_1 src1_sel:DWORD
	v_mov_b32_e32 v1, 0
	s_andn2_b32 s16, s16, exec_lo
	s_and_b32 s73, s73, exec_lo
	s_or_b32 s16, s16, s73
	s_or_b32 exec_lo, exec_lo, s72
	s_and_saveexec_b32 s72, s16
	s_cbranch_execnz .LBB4_7763
	s_branch .LBB4_7764
.LBB4_8594:                             ;   in Loop: Header=BB4_7456 Depth=3
	s_or_saveexec_b32 s72, s72
	v_mov_b32_e32 v1, 0x7f800001
	s_xor_b32 exec_lo, exec_lo, s72
	s_cbranch_execz .LBB4_7776
.LBB4_8595:                             ;   in Loop: Header=BB4_7456 Depth=3
	v_cmp_ne_u16_e32 vcc_lo, 0, v4
	v_mov_b32_e32 v1, 0
	s_andn2_b32 s16, s16, exec_lo
	s_and_b32 s73, vcc_lo, exec_lo
	s_or_b32 s16, s16, s73
	s_or_b32 exec_lo, exec_lo, s72
	s_and_saveexec_b32 s72, s16
	s_cbranch_execnz .LBB4_7777
	s_branch .LBB4_7778
.LBB4_8596:                             ;   in Loop: Header=BB4_7456 Depth=3
	s_or_saveexec_b32 s72, s72
	v_mov_b32_e32 v1, 0x7f800001
	s_xor_b32 exec_lo, exec_lo, s72
	s_cbranch_execz .LBB4_7790
.LBB4_8597:                             ;   in Loop: Header=BB4_7456 Depth=3
	v_cmp_ne_u16_sdwa s73, v9, v2 src0_sel:BYTE_3 src1_sel:DWORD
	v_mov_b32_e32 v1, 0
	s_andn2_b32 s16, s16, exec_lo
	s_and_b32 s73, s73, exec_lo
	s_or_b32 s16, s16, s73
	s_or_b32 exec_lo, exec_lo, s72
	s_and_saveexec_b32 s72, s16
	s_cbranch_execnz .LBB4_7791
	s_branch .LBB4_7792
.LBB4_8598:                             ;   in Loop: Header=BB4_7456 Depth=3
	s_or_saveexec_b32 s72, s72
	v_mov_b32_e32 v1, 0x7f800001
	s_xor_b32 exec_lo, exec_lo, s72
	s_cbranch_execz .LBB4_7804
.LBB4_8599:                             ;   in Loop: Header=BB4_7456 Depth=3
	v_cmp_ne_u16_sdwa s73, v10, v2 src0_sel:BYTE_0 src1_sel:DWORD
	v_mov_b32_e32 v1, 0
	s_andn2_b32 s16, s16, exec_lo
	s_and_b32 s73, s73, exec_lo
	s_or_b32 s16, s16, s73
	s_or_b32 exec_lo, exec_lo, s72
	s_and_saveexec_b32 s72, s16
	s_cbranch_execnz .LBB4_7805
	s_branch .LBB4_7806
.LBB4_8600:                             ;   in Loop: Header=BB4_7456 Depth=3
	s_or_saveexec_b32 s72, s72
	v_mov_b32_e32 v1, 0x7f800001
	s_xor_b32 exec_lo, exec_lo, s72
	s_cbranch_execz .LBB4_7818
.LBB4_8601:                             ;   in Loop: Header=BB4_7456 Depth=3
	v_cmp_ne_u16_sdwa s73, v10, v2 src0_sel:BYTE_1 src1_sel:DWORD
	v_mov_b32_e32 v1, 0
	s_andn2_b32 s16, s16, exec_lo
	s_and_b32 s73, s73, exec_lo
	s_or_b32 s16, s16, s73
	s_or_b32 exec_lo, exec_lo, s72
	s_and_saveexec_b32 s72, s16
	s_cbranch_execnz .LBB4_7819
	s_branch .LBB4_7820
.LBB4_8602:                             ;   in Loop: Header=BB4_7456 Depth=3
	s_or_saveexec_b32 s72, s72
	v_mov_b32_e32 v1, 0x7f800001
	s_xor_b32 exec_lo, exec_lo, s72
	s_cbranch_execz .LBB4_7832
.LBB4_8603:                             ;   in Loop: Header=BB4_7456 Depth=3
	v_cmp_ne_u16_e32 vcc_lo, 0, v4
	v_mov_b32_e32 v1, 0
	s_andn2_b32 s16, s16, exec_lo
	s_and_b32 s73, vcc_lo, exec_lo
	s_or_b32 s16, s16, s73
	s_or_b32 exec_lo, exec_lo, s72
	s_and_saveexec_b32 s72, s16
	s_cbranch_execnz .LBB4_7833
	s_branch .LBB4_7834
.LBB4_8604:                             ;   in Loop: Header=BB4_7456 Depth=3
	s_or_saveexec_b32 s72, s72
	v_mov_b32_e32 v1, 0x7f800001
	s_xor_b32 exec_lo, exec_lo, s72
	s_cbranch_execz .LBB4_7846
.LBB4_8605:                             ;   in Loop: Header=BB4_7456 Depth=3
	v_cmp_ne_u16_sdwa s73, v10, v2 src0_sel:BYTE_3 src1_sel:DWORD
	v_mov_b32_e32 v1, 0
	s_andn2_b32 s16, s16, exec_lo
	s_and_b32 s73, s73, exec_lo
	s_or_b32 s16, s16, s73
	s_or_b32 exec_lo, exec_lo, s72
	s_and_saveexec_b32 s72, s16
	s_cbranch_execnz .LBB4_7847
	s_branch .LBB4_7848
.LBB4_8606:                             ;   in Loop: Header=BB4_7456 Depth=3
	s_or_saveexec_b32 s72, s72
	v_mov_b32_e32 v1, 0x7f800001
	s_xor_b32 exec_lo, exec_lo, s72
	s_cbranch_execz .LBB4_7860
.LBB4_8607:                             ;   in Loop: Header=BB4_7456 Depth=3
	v_cmp_ne_u16_sdwa s73, v11, v2 src0_sel:BYTE_0 src1_sel:DWORD
	v_mov_b32_e32 v1, 0
	s_andn2_b32 s16, s16, exec_lo
	s_and_b32 s73, s73, exec_lo
	s_or_b32 s16, s16, s73
	s_or_b32 exec_lo, exec_lo, s72
	s_and_saveexec_b32 s72, s16
	s_cbranch_execnz .LBB4_7861
	s_branch .LBB4_7862
.LBB4_8608:                             ;   in Loop: Header=BB4_7456 Depth=3
	s_or_saveexec_b32 s72, s72
	v_mov_b32_e32 v1, 0x7f800001
	s_xor_b32 exec_lo, exec_lo, s72
	s_cbranch_execz .LBB4_7874
.LBB4_8609:                             ;   in Loop: Header=BB4_7456 Depth=3
	v_cmp_ne_u16_sdwa s73, v11, v2 src0_sel:BYTE_1 src1_sel:DWORD
	v_mov_b32_e32 v1, 0
	s_andn2_b32 s16, s16, exec_lo
	s_and_b32 s73, s73, exec_lo
	s_or_b32 s16, s16, s73
	s_or_b32 exec_lo, exec_lo, s72
	s_and_saveexec_b32 s72, s16
	s_cbranch_execnz .LBB4_7875
	s_branch .LBB4_7876
.LBB4_8610:                             ;   in Loop: Header=BB4_7456 Depth=3
	s_or_saveexec_b32 s72, s72
	v_mov_b32_e32 v1, 0x7f800001
	s_xor_b32 exec_lo, exec_lo, s72
	s_cbranch_execz .LBB4_7888
.LBB4_8611:                             ;   in Loop: Header=BB4_7456 Depth=3
	v_cmp_ne_u16_e32 vcc_lo, 0, v4
	v_mov_b32_e32 v1, 0
	s_andn2_b32 s16, s16, exec_lo
	s_and_b32 s73, vcc_lo, exec_lo
	s_or_b32 s16, s16, s73
	s_or_b32 exec_lo, exec_lo, s72
	s_and_saveexec_b32 s72, s16
	s_cbranch_execnz .LBB4_7889
	s_branch .LBB4_7890
.LBB4_8612:                             ;   in Loop: Header=BB4_7456 Depth=3
	s_or_saveexec_b32 s72, s72
	v_mov_b32_e32 v1, 0x7f800001
	s_xor_b32 exec_lo, exec_lo, s72
	s_cbranch_execz .LBB4_7902
.LBB4_8613:                             ;   in Loop: Header=BB4_7456 Depth=3
	v_cmp_ne_u16_sdwa s73, v11, v2 src0_sel:BYTE_3 src1_sel:DWORD
	v_mov_b32_e32 v1, 0
	s_andn2_b32 s16, s16, exec_lo
	s_and_b32 s73, s73, exec_lo
	s_or_b32 s16, s16, s73
	s_or_b32 exec_lo, exec_lo, s72
	s_and_saveexec_b32 s72, s16
	s_cbranch_execnz .LBB4_7903
	s_branch .LBB4_7904
.LBB4_8614:                             ;   in Loop: Header=BB4_7456 Depth=3
	s_or_saveexec_b32 s16, s16
	v_mov_b32_e32 v4, 0x7f800001
	s_xor_b32 exec_lo, exec_lo, s16
	s_cbranch_execz .LBB4_7916
.LBB4_8615:                             ;   in Loop: Header=BB4_7456 Depth=3
	v_cmp_ne_u16_sdwa s72, v1, v2 src0_sel:BYTE_0 src1_sel:DWORD
	v_mov_b32_e32 v4, 0
	s_andn2_b32 s23, s23, exec_lo
	s_and_b32 s72, s72, exec_lo
	s_or_b32 s23, s23, s72
	s_or_b32 exec_lo, exec_lo, s16
	s_and_saveexec_b32 s16, s23
	s_cbranch_execnz .LBB4_7917
	s_branch .LBB4_7918
.LBB4_8616:                             ;   in Loop: Header=BB4_7456 Depth=3
	s_or_saveexec_b32 s16, s16
	v_mov_b32_e32 v5, 0x7f800001
	s_xor_b32 exec_lo, exec_lo, s16
	s_cbranch_execz .LBB4_7922
.LBB4_8617:                             ;   in Loop: Header=BB4_7456 Depth=3
	v_cmp_ne_u16_sdwa s72, v12, v2 src0_sel:BYTE_0 src1_sel:DWORD
	v_mov_b32_e32 v5, 0
	s_andn2_b32 s23, s23, exec_lo
	s_and_b32 s72, s72, exec_lo
	s_or_b32 s23, s23, s72
	s_or_b32 exec_lo, exec_lo, s16
	s_and_saveexec_b32 s16, s23
	s_cbranch_execnz .LBB4_7923
	s_branch .LBB4_7924
.LBB4_8618:                             ;   in Loop: Header=BB4_7456 Depth=3
	s_or_saveexec_b32 s16, s16
	v_mov_b32_e32 v4, 0x7f800001
	s_xor_b32 exec_lo, exec_lo, s16
	s_cbranch_execz .LBB4_7936
.LBB4_8619:                             ;   in Loop: Header=BB4_7456 Depth=3
	v_cmp_ne_u16_sdwa s72, v1, v2 src0_sel:BYTE_1 src1_sel:DWORD
	v_mov_b32_e32 v4, 0
	s_andn2_b32 s23, s23, exec_lo
	s_and_b32 s72, s72, exec_lo
	s_or_b32 s23, s23, s72
	s_or_b32 exec_lo, exec_lo, s16
	s_and_saveexec_b32 s16, s23
	s_cbranch_execnz .LBB4_7937
	s_branch .LBB4_7938
.LBB4_8620:                             ;   in Loop: Header=BB4_7456 Depth=3
	s_or_saveexec_b32 s16, s16
	v_mov_b32_e32 v5, 0x7f800001
	s_xor_b32 exec_lo, exec_lo, s16
	s_cbranch_execz .LBB4_7942
.LBB4_8621:                             ;   in Loop: Header=BB4_7456 Depth=3
	v_cmp_ne_u16_sdwa s72, v12, v2 src0_sel:BYTE_1 src1_sel:DWORD
	v_mov_b32_e32 v5, 0
	s_andn2_b32 s23, s23, exec_lo
	s_and_b32 s72, s72, exec_lo
	s_or_b32 s23, s23, s72
	s_or_b32 exec_lo, exec_lo, s16
	s_and_saveexec_b32 s16, s23
	s_cbranch_execnz .LBB4_7943
	s_branch .LBB4_7944
.LBB4_8622:                             ;   in Loop: Header=BB4_7456 Depth=3
	s_or_saveexec_b32 s16, s16
	v_mov_b32_e32 v4, 0x7f800001
	s_xor_b32 exec_lo, exec_lo, s16
	s_cbranch_execz .LBB4_7956
.LBB4_8623:                             ;   in Loop: Header=BB4_7456 Depth=3
	v_cmp_ne_u16_sdwa s72, v5, v2 src0_sel:BYTE_0 src1_sel:DWORD
	v_mov_b32_e32 v4, 0
	s_andn2_b32 s23, s23, exec_lo
	s_and_b32 s72, s72, exec_lo
	s_or_b32 s23, s23, s72
	s_or_b32 exec_lo, exec_lo, s16
	v_lshl_or_b32 v1, v5, 16, v1
	s_and_saveexec_b32 s16, s23
	s_cbranch_execnz .LBB4_7957
	s_branch .LBB4_7958
.LBB4_8624:                             ;   in Loop: Header=BB4_7456 Depth=3
	s_or_saveexec_b32 s16, s16
	v_mov_b32_e32 v5, 0x7f800001
	s_xor_b32 exec_lo, exec_lo, s16
	s_cbranch_execz .LBB4_7962
.LBB4_8625:                             ;   in Loop: Header=BB4_7456 Depth=3
	v_cmp_ne_u16_e32 vcc_lo, 0, v16
	v_mov_b32_e32 v5, 0
	s_andn2_b32 s23, s23, exec_lo
	s_and_b32 s72, vcc_lo, exec_lo
	s_or_b32 s23, s23, s72
	s_or_b32 exec_lo, exec_lo, s16
	s_and_saveexec_b32 s16, s23
	s_cbranch_execnz .LBB4_7963
	s_branch .LBB4_7964
.LBB4_8626:                             ;   in Loop: Header=BB4_7456 Depth=3
	s_or_saveexec_b32 s16, s16
	v_mov_b32_e32 v4, 0x7f800001
	s_xor_b32 exec_lo, exec_lo, s16
	s_cbranch_execz .LBB4_7976
.LBB4_8627:                             ;   in Loop: Header=BB4_7456 Depth=3
	v_cmp_ne_u16_sdwa s72, v1, v2 src0_sel:BYTE_3 src1_sel:DWORD
	v_mov_b32_e32 v4, 0
	s_andn2_b32 s23, s23, exec_lo
	s_and_b32 s72, s72, exec_lo
	s_or_b32 s23, s23, s72
	s_or_b32 exec_lo, exec_lo, s16
	s_and_saveexec_b32 s16, s23
	s_cbranch_execnz .LBB4_7977
	s_branch .LBB4_7978
.LBB4_8628:                             ;   in Loop: Header=BB4_7456 Depth=3
	s_or_saveexec_b32 s16, s16
	v_mov_b32_e32 v1, 0x7f800001
	s_xor_b32 exec_lo, exec_lo, s16
	s_cbranch_execz .LBB4_7982
.LBB4_8629:                             ;   in Loop: Header=BB4_7456 Depth=3
	v_cmp_ne_u16_sdwa s72, v12, v2 src0_sel:BYTE_3 src1_sel:DWORD
	v_mov_b32_e32 v1, 0
	s_andn2_b32 s23, s23, exec_lo
	s_and_b32 s72, s72, exec_lo
	s_or_b32 s23, s23, s72
	s_or_b32 exec_lo, exec_lo, s16
	s_and_saveexec_b32 s16, s23
	s_cbranch_execnz .LBB4_7983
	s_branch .LBB4_7984
.LBB4_8630:                             ;   in Loop: Header=BB4_7456 Depth=3
	s_or_saveexec_b32 s16, s16
	v_mov_b32_e32 v4, 0x7f800001
	s_xor_b32 exec_lo, exec_lo, s16
	s_cbranch_execz .LBB4_7996
.LBB4_8631:                             ;   in Loop: Header=BB4_7456 Depth=3
	v_cmp_ne_u16_sdwa s72, v1, v2 src0_sel:BYTE_0 src1_sel:DWORD
	v_mov_b32_e32 v4, 0
	s_andn2_b32 s23, s23, exec_lo
	s_and_b32 s72, s72, exec_lo
	s_or_b32 s23, s23, s72
	s_or_b32 exec_lo, exec_lo, s16
	s_and_saveexec_b32 s16, s23
	s_cbranch_execnz .LBB4_7997
	s_branch .LBB4_7998
.LBB4_8632:                             ;   in Loop: Header=BB4_7456 Depth=3
	s_or_saveexec_b32 s16, s16
	v_mov_b32_e32 v5, 0x7f800001
	s_xor_b32 exec_lo, exec_lo, s16
	s_cbranch_execz .LBB4_8002
.LBB4_8633:                             ;   in Loop: Header=BB4_7456 Depth=3
	v_cmp_ne_u16_sdwa s72, v13, v2 src0_sel:BYTE_0 src1_sel:DWORD
	v_mov_b32_e32 v5, 0
	s_andn2_b32 s23, s23, exec_lo
	s_and_b32 s72, s72, exec_lo
	s_or_b32 s23, s23, s72
	s_or_b32 exec_lo, exec_lo, s16
	s_and_saveexec_b32 s16, s23
	s_cbranch_execnz .LBB4_8003
	s_branch .LBB4_8004
.LBB4_8634:                             ;   in Loop: Header=BB4_7456 Depth=3
	s_or_saveexec_b32 s16, s16
	v_mov_b32_e32 v4, 0x7f800001
	s_xor_b32 exec_lo, exec_lo, s16
	s_cbranch_execz .LBB4_8016
.LBB4_8635:                             ;   in Loop: Header=BB4_7456 Depth=3
	v_cmp_ne_u16_sdwa s72, v1, v2 src0_sel:BYTE_1 src1_sel:DWORD
	v_mov_b32_e32 v4, 0
	s_andn2_b32 s23, s23, exec_lo
	s_and_b32 s72, s72, exec_lo
	s_or_b32 s23, s23, s72
	s_or_b32 exec_lo, exec_lo, s16
	s_and_saveexec_b32 s16, s23
	s_cbranch_execnz .LBB4_8017
	s_branch .LBB4_8018
.LBB4_8636:                             ;   in Loop: Header=BB4_7456 Depth=3
	s_or_saveexec_b32 s16, s16
	v_mov_b32_e32 v5, 0x7f800001
	s_xor_b32 exec_lo, exec_lo, s16
	s_cbranch_execz .LBB4_8022
.LBB4_8637:                             ;   in Loop: Header=BB4_7456 Depth=3
	v_cmp_ne_u16_sdwa s72, v13, v2 src0_sel:BYTE_1 src1_sel:DWORD
	v_mov_b32_e32 v5, 0
	s_andn2_b32 s23, s23, exec_lo
	s_and_b32 s72, s72, exec_lo
	s_or_b32 s23, s23, s72
	s_or_b32 exec_lo, exec_lo, s16
	s_and_saveexec_b32 s16, s23
	s_cbranch_execnz .LBB4_8023
	s_branch .LBB4_8024
.LBB4_8638:                             ;   in Loop: Header=BB4_7456 Depth=3
	s_or_saveexec_b32 s16, s16
	v_mov_b32_e32 v4, 0x7f800001
	s_xor_b32 exec_lo, exec_lo, s16
	s_cbranch_execz .LBB4_8036
.LBB4_8639:                             ;   in Loop: Header=BB4_7456 Depth=3
	v_cmp_ne_u16_sdwa s72, v5, v2 src0_sel:BYTE_0 src1_sel:DWORD
	v_mov_b32_e32 v4, 0
	s_andn2_b32 s23, s23, exec_lo
	s_and_b32 s72, s72, exec_lo
	s_or_b32 s23, s23, s72
	s_or_b32 exec_lo, exec_lo, s16
	v_lshl_or_b32 v1, v5, 16, v1
	s_and_saveexec_b32 s16, s23
	s_cbranch_execnz .LBB4_8037
	s_branch .LBB4_8038
.LBB4_8640:                             ;   in Loop: Header=BB4_7456 Depth=3
	s_or_saveexec_b32 s16, s16
	v_mov_b32_e32 v5, 0x7f800001
	s_xor_b32 exec_lo, exec_lo, s16
	s_cbranch_execz .LBB4_8042
.LBB4_8641:                             ;   in Loop: Header=BB4_7456 Depth=3
	v_cmp_ne_u16_e32 vcc_lo, 0, v16
	v_mov_b32_e32 v5, 0
	s_andn2_b32 s23, s23, exec_lo
	s_and_b32 s72, vcc_lo, exec_lo
	s_or_b32 s23, s23, s72
	s_or_b32 exec_lo, exec_lo, s16
	s_and_saveexec_b32 s16, s23
	s_cbranch_execnz .LBB4_8043
	s_branch .LBB4_8044
.LBB4_8642:                             ;   in Loop: Header=BB4_7456 Depth=3
	s_or_saveexec_b32 s16, s16
	v_mov_b32_e32 v4, 0x7f800001
	s_xor_b32 exec_lo, exec_lo, s16
	s_cbranch_execz .LBB4_8056
.LBB4_8643:                             ;   in Loop: Header=BB4_7456 Depth=3
	v_cmp_ne_u16_sdwa s72, v1, v2 src0_sel:BYTE_3 src1_sel:DWORD
	v_mov_b32_e32 v4, 0
	s_andn2_b32 s23, s23, exec_lo
	s_and_b32 s72, s72, exec_lo
	s_or_b32 s23, s23, s72
	s_or_b32 exec_lo, exec_lo, s16
	s_and_saveexec_b32 s16, s23
	s_cbranch_execnz .LBB4_8057
	s_branch .LBB4_8058
.LBB4_8644:                             ;   in Loop: Header=BB4_7456 Depth=3
	s_or_saveexec_b32 s16, s16
	v_mov_b32_e32 v1, 0x7f800001
	s_xor_b32 exec_lo, exec_lo, s16
	s_cbranch_execz .LBB4_8062
.LBB4_8645:                             ;   in Loop: Header=BB4_7456 Depth=3
	v_cmp_ne_u16_sdwa s72, v13, v2 src0_sel:BYTE_3 src1_sel:DWORD
	v_mov_b32_e32 v1, 0
	s_andn2_b32 s23, s23, exec_lo
	s_and_b32 s72, s72, exec_lo
	s_or_b32 s23, s23, s72
	s_or_b32 exec_lo, exec_lo, s16
	s_and_saveexec_b32 s16, s23
	s_cbranch_execnz .LBB4_8063
	s_branch .LBB4_8064
.LBB4_8646:                             ;   in Loop: Header=BB4_7456 Depth=3
	s_or_saveexec_b32 s23, s23
	v_mov_b32_e32 v4, 0x7f800001
	s_xor_b32 exec_lo, exec_lo, s23
	s_cbranch_execz .LBB4_8076
.LBB4_8647:                             ;   in Loop: Header=BB4_7456 Depth=3
	v_cmp_ne_u16_sdwa s72, v1, v2 src0_sel:BYTE_0 src1_sel:DWORD
	v_mov_b32_e32 v4, 0
	s_andn2_b32 s16, s16, exec_lo
	s_and_b32 s72, s72, exec_lo
	s_or_b32 s16, s16, s72
	s_or_b32 exec_lo, exec_lo, s23
	s_and_saveexec_b32 s23, s16
	s_cbranch_execnz .LBB4_8077
	s_branch .LBB4_8078
.LBB4_8648:                             ;   in Loop: Header=BB4_7456 Depth=3
	s_or_saveexec_b32 s16, s16
	v_mov_b32_e32 v5, 0x7f800001
	s_xor_b32 exec_lo, exec_lo, s16
	s_cbranch_execz .LBB4_8082
.LBB4_8649:                             ;   in Loop: Header=BB4_7456 Depth=3
	v_cmp_ne_u16_sdwa s72, v14, v2 src0_sel:BYTE_0 src1_sel:DWORD
	v_mov_b32_e32 v5, 0
	s_andn2_b32 s23, s23, exec_lo
	s_and_b32 s72, s72, exec_lo
	s_or_b32 s23, s23, s72
	s_or_b32 exec_lo, exec_lo, s16
	s_and_saveexec_b32 s16, s23
	s_cbranch_execnz .LBB4_8083
	s_branch .LBB4_8084
.LBB4_8650:                             ;   in Loop: Header=BB4_7456 Depth=3
	s_or_saveexec_b32 s16, s16
	v_mov_b32_e32 v4, 0x7f800001
	s_xor_b32 exec_lo, exec_lo, s16
	s_cbranch_execz .LBB4_8096
.LBB4_8651:                             ;   in Loop: Header=BB4_7456 Depth=3
	v_cmp_ne_u16_sdwa s72, v1, v2 src0_sel:BYTE_1 src1_sel:DWORD
	v_mov_b32_e32 v4, 0
	s_andn2_b32 s23, s23, exec_lo
	s_and_b32 s72, s72, exec_lo
	s_or_b32 s23, s23, s72
	s_or_b32 exec_lo, exec_lo, s16
	s_and_saveexec_b32 s16, s23
	s_cbranch_execnz .LBB4_8097
	s_branch .LBB4_8098
.LBB4_8652:                             ;   in Loop: Header=BB4_7456 Depth=3
	s_or_saveexec_b32 s16, s16
	v_mov_b32_e32 v5, 0x7f800001
	s_xor_b32 exec_lo, exec_lo, s16
	s_cbranch_execz .LBB4_8102
.LBB4_8653:                             ;   in Loop: Header=BB4_7456 Depth=3
	v_cmp_ne_u16_sdwa s72, v14, v2 src0_sel:BYTE_1 src1_sel:DWORD
	v_mov_b32_e32 v5, 0
	s_andn2_b32 s23, s23, exec_lo
	s_and_b32 s72, s72, exec_lo
	s_or_b32 s23, s23, s72
	s_or_b32 exec_lo, exec_lo, s16
	s_and_saveexec_b32 s16, s23
	s_cbranch_execnz .LBB4_8103
	s_branch .LBB4_8104
.LBB4_8654:                             ;   in Loop: Header=BB4_7456 Depth=3
	s_or_saveexec_b32 s23, s23
	v_mov_b32_e32 v4, 0x7f800001
	s_xor_b32 exec_lo, exec_lo, s23
	s_cbranch_execz .LBB4_8116
.LBB4_8655:                             ;   in Loop: Header=BB4_7456 Depth=3
	v_cmp_ne_u16_sdwa s72, v5, v2 src0_sel:BYTE_0 src1_sel:DWORD
	v_mov_b32_e32 v4, 0
	s_andn2_b32 s16, s16, exec_lo
	s_and_b32 s72, s72, exec_lo
	s_or_b32 s16, s16, s72
	s_or_b32 exec_lo, exec_lo, s23
	v_lshl_or_b32 v1, v5, 16, v1
	s_and_saveexec_b32 s23, s16
	s_cbranch_execnz .LBB4_8117
	s_branch .LBB4_8118
.LBB4_8656:                             ;   in Loop: Header=BB4_7456 Depth=3
	s_or_saveexec_b32 s16, s16
	v_mov_b32_e32 v5, 0x7f800001
	s_xor_b32 exec_lo, exec_lo, s16
	s_cbranch_execz .LBB4_8122
.LBB4_8657:                             ;   in Loop: Header=BB4_7456 Depth=3
	v_cmp_ne_u16_e32 vcc_lo, 0, v16
	v_mov_b32_e32 v5, 0
	s_andn2_b32 s23, s23, exec_lo
	s_and_b32 s72, vcc_lo, exec_lo
	s_or_b32 s23, s23, s72
	s_or_b32 exec_lo, exec_lo, s16
	s_and_saveexec_b32 s16, s23
	s_cbranch_execnz .LBB4_8123
	s_branch .LBB4_8124
.LBB4_8658:                             ;   in Loop: Header=BB4_7456 Depth=3
	s_or_saveexec_b32 s23, s23
	v_mov_b32_e32 v4, 0x7f800001
	s_xor_b32 exec_lo, exec_lo, s23
	s_cbranch_execz .LBB4_8136
.LBB4_8659:                             ;   in Loop: Header=BB4_7456 Depth=3
	v_cmp_ne_u16_sdwa s72, v1, v2 src0_sel:BYTE_3 src1_sel:DWORD
	v_mov_b32_e32 v4, 0
	s_andn2_b32 s16, s16, exec_lo
	s_and_b32 s72, s72, exec_lo
	s_or_b32 s16, s16, s72
	s_or_b32 exec_lo, exec_lo, s23
	s_and_saveexec_b32 s23, s16
	s_cbranch_execnz .LBB4_8137
	s_branch .LBB4_8138
.LBB4_8660:                             ;   in Loop: Header=BB4_7456 Depth=3
	s_or_saveexec_b32 s23, s23
	v_mov_b32_e32 v1, 0x7f800001
	s_xor_b32 exec_lo, exec_lo, s23
	s_cbranch_execz .LBB4_8142
.LBB4_8661:                             ;   in Loop: Header=BB4_7456 Depth=3
	v_cmp_ne_u16_sdwa s72, v14, v2 src0_sel:BYTE_3 src1_sel:DWORD
	v_mov_b32_e32 v1, 0
	s_andn2_b32 s16, s16, exec_lo
	s_and_b32 s72, s72, exec_lo
	s_or_b32 s16, s16, s72
	s_or_b32 exec_lo, exec_lo, s23
	s_and_saveexec_b32 s23, s16
	s_cbranch_execnz .LBB4_8143
	s_branch .LBB4_8144
.LBB4_8662:                             ;   in Loop: Header=BB4_7456 Depth=3
	s_or_saveexec_b32 s23, s23
	v_mov_b32_e32 v4, 0x7f800001
	s_xor_b32 exec_lo, exec_lo, s23
	s_cbranch_execz .LBB4_8156
.LBB4_8663:                             ;   in Loop: Header=BB4_7456 Depth=3
	v_cmp_ne_u16_sdwa s72, v1, v2 src0_sel:BYTE_0 src1_sel:DWORD
	v_mov_b32_e32 v4, 0
	s_andn2_b32 s16, s16, exec_lo
	s_and_b32 s72, s72, exec_lo
	s_or_b32 s16, s16, s72
	s_or_b32 exec_lo, exec_lo, s23
	s_and_saveexec_b32 s23, s16
	s_cbranch_execnz .LBB4_8157
	s_branch .LBB4_8158
.LBB4_8664:                             ;   in Loop: Header=BB4_7456 Depth=3
	s_or_saveexec_b32 s23, s23
	v_mov_b32_e32 v5, 0x7f800001
	s_xor_b32 exec_lo, exec_lo, s23
	s_cbranch_execz .LBB4_8162
.LBB4_8665:                             ;   in Loop: Header=BB4_7456 Depth=3
	v_cmp_ne_u16_sdwa s72, v15, v2 src0_sel:BYTE_0 src1_sel:DWORD
	v_mov_b32_e32 v5, 0
	s_andn2_b32 s16, s16, exec_lo
	s_and_b32 s72, s72, exec_lo
	s_or_b32 s16, s16, s72
	s_or_b32 exec_lo, exec_lo, s23
	s_and_saveexec_b32 s23, s16
	s_cbranch_execnz .LBB4_8163
	s_branch .LBB4_8164
.LBB4_8666:                             ;   in Loop: Header=BB4_7456 Depth=3
	s_or_saveexec_b32 s23, s23
	v_mov_b32_e32 v4, 0x7f800001
	s_xor_b32 exec_lo, exec_lo, s23
	s_cbranch_execz .LBB4_8176
.LBB4_8667:                             ;   in Loop: Header=BB4_7456 Depth=3
	v_cmp_ne_u16_sdwa s72, v1, v2 src0_sel:BYTE_1 src1_sel:DWORD
	v_mov_b32_e32 v4, 0
	s_andn2_b32 s16, s16, exec_lo
	s_and_b32 s72, s72, exec_lo
	s_or_b32 s16, s16, s72
	s_or_b32 exec_lo, exec_lo, s23
	s_and_saveexec_b32 s23, s16
	s_cbranch_execnz .LBB4_8177
	s_branch .LBB4_8178
.LBB4_8668:                             ;   in Loop: Header=BB4_7456 Depth=3
	s_or_saveexec_b32 s16, s16
	v_mov_b32_e32 v5, 0x7f800001
	s_xor_b32 exec_lo, exec_lo, s16
	s_cbranch_execz .LBB4_8182
.LBB4_8669:                             ;   in Loop: Header=BB4_7456 Depth=3
	v_cmp_ne_u16_sdwa s72, v15, v2 src0_sel:BYTE_1 src1_sel:DWORD
	v_mov_b32_e32 v5, 0
	s_andn2_b32 s23, s23, exec_lo
	s_and_b32 s72, s72, exec_lo
	s_or_b32 s23, s23, s72
	s_or_b32 exec_lo, exec_lo, s16
	s_and_saveexec_b32 s16, s23
	s_cbranch_execnz .LBB4_8183
	s_branch .LBB4_8184
.LBB4_8670:                             ;   in Loop: Header=BB4_7456 Depth=3
	s_or_saveexec_b32 s23, s23
	v_mov_b32_e32 v4, 0x7f800001
	s_xor_b32 exec_lo, exec_lo, s23
	s_cbranch_execz .LBB4_8196
.LBB4_8671:                             ;   in Loop: Header=BB4_7456 Depth=3
	v_cmp_ne_u16_sdwa s72, v5, v2 src0_sel:BYTE_0 src1_sel:DWORD
	v_mov_b32_e32 v4, 0
	s_andn2_b32 s16, s16, exec_lo
	s_and_b32 s72, s72, exec_lo
	s_or_b32 s16, s16, s72
	s_or_b32 exec_lo, exec_lo, s23
	v_lshl_or_b32 v1, v5, 16, v1
	s_and_saveexec_b32 s23, s16
	s_cbranch_execnz .LBB4_8197
	s_branch .LBB4_8198
.LBB4_8672:                             ;   in Loop: Header=BB4_7456 Depth=3
	s_or_saveexec_b32 s23, s23
	v_mov_b32_e32 v5, 0x7f800001
	s_xor_b32 exec_lo, exec_lo, s23
	s_cbranch_execz .LBB4_8202
.LBB4_8673:                             ;   in Loop: Header=BB4_7456 Depth=3
	v_cmp_ne_u16_e32 vcc_lo, 0, v17
	v_mov_b32_e32 v5, 0
	s_andn2_b32 s16, s16, exec_lo
	s_and_b32 s72, vcc_lo, exec_lo
	s_or_b32 s16, s16, s72
	s_or_b32 exec_lo, exec_lo, s23
	s_and_saveexec_b32 s23, s16
	s_cbranch_execnz .LBB4_8203
	s_branch .LBB4_8204
.LBB4_8674:                             ;   in Loop: Header=BB4_7456 Depth=3
	s_or_saveexec_b32 s23, s23
	v_mov_b32_e32 v4, 0x7f800001
	s_xor_b32 exec_lo, exec_lo, s23
	s_cbranch_execz .LBB4_8216
.LBB4_8675:                             ;   in Loop: Header=BB4_7456 Depth=3
	v_cmp_ne_u16_sdwa s72, v1, v2 src0_sel:BYTE_3 src1_sel:DWORD
	v_mov_b32_e32 v4, 0
	s_andn2_b32 s16, s16, exec_lo
	s_and_b32 s72, s72, exec_lo
	s_or_b32 s16, s16, s72
	s_or_b32 exec_lo, exec_lo, s23
	s_and_saveexec_b32 s23, s16
	s_cbranch_execnz .LBB4_8217
	s_branch .LBB4_8218
.LBB4_8676:                             ;   in Loop: Header=BB4_7456 Depth=3
	s_or_saveexec_b32 s23, s23
	v_mov_b32_e32 v1, 0x7f800001
	s_xor_b32 exec_lo, exec_lo, s23
	s_cbranch_execz .LBB4_8222
.LBB4_8677:                             ;   in Loop: Header=BB4_7456 Depth=3
	v_cmp_ne_u16_sdwa s72, v15, v2 src0_sel:BYTE_3 src1_sel:DWORD
	v_mov_b32_e32 v1, 0
	s_andn2_b32 s16, s16, exec_lo
	s_and_b32 s72, s72, exec_lo
	s_or_b32 s16, s16, s72
	s_or_b32 exec_lo, exec_lo, s23
	s_and_saveexec_b32 s23, s16
	s_cbranch_execnz .LBB4_8223
	s_branch .LBB4_8224
.LBB4_8678:                             ;   in Loop: Header=BB4_7456 Depth=3
	s_or_saveexec_b32 s23, s23
	v_mov_b32_e32 v4, 0x7f800001
	s_xor_b32 exec_lo, exec_lo, s23
	s_cbranch_execz .LBB4_8236
.LBB4_8679:                             ;   in Loop: Header=BB4_7456 Depth=3
	v_cmp_ne_u16_sdwa s72, v1, v2 src0_sel:BYTE_0 src1_sel:DWORD
	v_mov_b32_e32 v4, 0
	s_andn2_b32 s16, s16, exec_lo
	s_and_b32 s72, s72, exec_lo
	s_or_b32 s16, s16, s72
	s_or_b32 exec_lo, exec_lo, s23
	s_and_saveexec_b32 s23, s16
	s_cbranch_execnz .LBB4_8237
	s_branch .LBB4_8238
.LBB4_8680:                             ;   in Loop: Header=BB4_7456 Depth=3
	s_or_saveexec_b32 s23, s23
	v_mov_b32_e32 v5, 0x7f800001
	s_xor_b32 exec_lo, exec_lo, s23
	s_cbranch_execz .LBB4_8242
.LBB4_8681:                             ;   in Loop: Header=BB4_7456 Depth=3
	v_cmp_ne_u16_sdwa s72, v8, v2 src0_sel:BYTE_0 src1_sel:DWORD
	v_mov_b32_e32 v5, 0
	s_andn2_b32 s16, s16, exec_lo
	s_and_b32 s72, s72, exec_lo
	s_or_b32 s16, s16, s72
	s_or_b32 exec_lo, exec_lo, s23
	s_and_saveexec_b32 s23, s16
	s_cbranch_execnz .LBB4_8243
	s_branch .LBB4_8244
.LBB4_8682:                             ;   in Loop: Header=BB4_7456 Depth=3
	s_or_saveexec_b32 s23, s23
	v_mov_b32_e32 v4, 0x7f800001
	s_xor_b32 exec_lo, exec_lo, s23
	s_cbranch_execz .LBB4_8256
.LBB4_8683:                             ;   in Loop: Header=BB4_7456 Depth=3
	v_cmp_ne_u16_sdwa s72, v1, v2 src0_sel:BYTE_1 src1_sel:DWORD
	v_mov_b32_e32 v4, 0
	s_andn2_b32 s16, s16, exec_lo
	s_and_b32 s72, s72, exec_lo
	s_or_b32 s16, s16, s72
	s_or_b32 exec_lo, exec_lo, s23
	s_and_saveexec_b32 s23, s16
	s_cbranch_execnz .LBB4_8257
	s_branch .LBB4_8258
.LBB4_8684:                             ;   in Loop: Header=BB4_7456 Depth=3
	s_or_saveexec_b32 s23, s23
	v_mov_b32_e32 v5, 0x7f800001
	s_xor_b32 exec_lo, exec_lo, s23
	s_cbranch_execz .LBB4_8262
.LBB4_8685:                             ;   in Loop: Header=BB4_7456 Depth=3
	v_cmp_ne_u16_sdwa s72, v8, v2 src0_sel:BYTE_1 src1_sel:DWORD
	v_mov_b32_e32 v5, 0
	s_andn2_b32 s16, s16, exec_lo
	s_and_b32 s72, s72, exec_lo
	s_or_b32 s16, s16, s72
	s_or_b32 exec_lo, exec_lo, s23
	s_and_saveexec_b32 s23, s16
	s_cbranch_execnz .LBB4_8263
	s_branch .LBB4_8264
.LBB4_8686:                             ;   in Loop: Header=BB4_7456 Depth=3
	s_or_saveexec_b32 s23, s23
	v_mov_b32_e32 v4, 0x7f800001
	s_xor_b32 exec_lo, exec_lo, s23
	s_cbranch_execz .LBB4_8276
.LBB4_8687:                             ;   in Loop: Header=BB4_7456 Depth=3
	v_cmp_ne_u16_sdwa s72, v5, v2 src0_sel:BYTE_0 src1_sel:DWORD
	v_mov_b32_e32 v4, 0
	s_andn2_b32 s16, s16, exec_lo
	s_and_b32 s72, s72, exec_lo
	s_or_b32 s16, s16, s72
	s_or_b32 exec_lo, exec_lo, s23
	v_lshl_or_b32 v1, v5, 16, v1
	s_and_saveexec_b32 s23, s16
	s_cbranch_execnz .LBB4_8277
	s_branch .LBB4_8278
.LBB4_8688:                             ;   in Loop: Header=BB4_7456 Depth=3
	s_or_saveexec_b32 s23, s23
	v_mov_b32_e32 v5, 0x7f800001
	s_xor_b32 exec_lo, exec_lo, s23
	s_cbranch_execz .LBB4_8282
.LBB4_8689:                             ;   in Loop: Header=BB4_7456 Depth=3
	v_cmp_ne_u16_e32 vcc_lo, 0, v31
	v_mov_b32_e32 v5, 0
	s_andn2_b32 s16, s16, exec_lo
	s_and_b32 s72, vcc_lo, exec_lo
	s_or_b32 s16, s16, s72
	s_or_b32 exec_lo, exec_lo, s23
	s_and_saveexec_b32 s23, s16
	s_cbranch_execnz .LBB4_8283
	s_branch .LBB4_8284
.LBB4_8690:                             ;   in Loop: Header=BB4_7456 Depth=3
	s_or_saveexec_b32 s23, s23
	v_mov_b32_e32 v5, 0x7f800001
	s_xor_b32 exec_lo, exec_lo, s23
	s_cbranch_execz .LBB4_8296
.LBB4_8691:                             ;   in Loop: Header=BB4_7456 Depth=3
	v_cmp_ne_u16_sdwa s72, v1, v2 src0_sel:BYTE_3 src1_sel:DWORD
	v_mov_b32_e32 v5, 0
	s_andn2_b32 s16, s16, exec_lo
	s_and_b32 s72, s72, exec_lo
	s_or_b32 s16, s16, s72
	s_or_b32 exec_lo, exec_lo, s23
	s_and_saveexec_b32 s23, s16
	s_cbranch_execnz .LBB4_8297
	s_branch .LBB4_8298
.LBB4_8692:                             ;   in Loop: Header=BB4_7456 Depth=3
	s_or_saveexec_b32 s23, s23
	v_mov_b32_e32 v1, 0x7f800001
	s_xor_b32 exec_lo, exec_lo, s23
	s_cbranch_execz .LBB4_8302
.LBB4_8693:                             ;   in Loop: Header=BB4_7456 Depth=3
	v_cmp_ne_u16_sdwa s72, v8, v2 src0_sel:BYTE_3 src1_sel:DWORD
	v_mov_b32_e32 v1, 0
	s_andn2_b32 s16, s16, exec_lo
	s_and_b32 s72, s72, exec_lo
	s_or_b32 s16, s16, s72
	s_or_b32 exec_lo, exec_lo, s23
	s_and_saveexec_b32 s23, s16
	s_cbranch_execnz .LBB4_8303
	s_branch .LBB4_8304
.LBB4_8694:                             ;   in Loop: Header=BB4_7456 Depth=3
	s_or_saveexec_b32 s23, s23
	v_mov_b32_e32 v8, 0x7f800001
	s_xor_b32 exec_lo, exec_lo, s23
	s_cbranch_execz .LBB4_8316
.LBB4_8695:                             ;   in Loop: Header=BB4_7456 Depth=3
	v_cmp_ne_u16_sdwa s72, v1, v2 src0_sel:BYTE_0 src1_sel:DWORD
	v_mov_b32_e32 v8, 0
	s_andn2_b32 s16, s16, exec_lo
	s_and_b32 s72, s72, exec_lo
	s_or_b32 s16, s16, s72
	s_or_b32 exec_lo, exec_lo, s23
	s_and_saveexec_b32 s23, s16
	s_cbranch_execnz .LBB4_8317
	s_branch .LBB4_8318
.LBB4_8696:                             ;   in Loop: Header=BB4_7456 Depth=3
	s_or_saveexec_b32 s23, s23
	v_mov_b32_e32 v31, 0x7f800001
	s_xor_b32 exec_lo, exec_lo, s23
	s_cbranch_execz .LBB4_8322
.LBB4_8697:                             ;   in Loop: Header=BB4_7456 Depth=3
	v_cmp_ne_u16_sdwa s72, v9, v2 src0_sel:BYTE_0 src1_sel:DWORD
	v_mov_b32_e32 v31, 0
	s_andn2_b32 s16, s16, exec_lo
	s_and_b32 s72, s72, exec_lo
	s_or_b32 s16, s16, s72
	s_or_b32 exec_lo, exec_lo, s23
	s_and_saveexec_b32 s23, s16
	s_cbranch_execnz .LBB4_8323
	s_branch .LBB4_8324
.LBB4_8698:                             ;   in Loop: Header=BB4_7456 Depth=3
	s_or_saveexec_b32 s23, s23
	v_mov_b32_e32 v31, 0x7f800001
	s_xor_b32 exec_lo, exec_lo, s23
	s_cbranch_execz .LBB4_8336
.LBB4_8699:                             ;   in Loop: Header=BB4_7456 Depth=3
	v_cmp_ne_u16_sdwa s72, v1, v2 src0_sel:BYTE_1 src1_sel:DWORD
	v_mov_b32_e32 v31, 0
	s_andn2_b32 s16, s16, exec_lo
	s_and_b32 s72, s72, exec_lo
	s_or_b32 s16, s16, s72
	s_or_b32 exec_lo, exec_lo, s23
	s_and_saveexec_b32 s23, s16
	s_cbranch_execnz .LBB4_8337
	s_branch .LBB4_8338
.LBB4_8700:                             ;   in Loop: Header=BB4_7456 Depth=3
	s_or_saveexec_b32 s23, s23
	v_mov_b32_e32 v34, 0x7f800001
	s_xor_b32 exec_lo, exec_lo, s23
	s_cbranch_execz .LBB4_8342
.LBB4_8701:                             ;   in Loop: Header=BB4_7456 Depth=3
	v_cmp_ne_u16_sdwa s72, v9, v2 src0_sel:BYTE_1 src1_sel:DWORD
	v_mov_b32_e32 v34, 0
	s_andn2_b32 s16, s16, exec_lo
	s_and_b32 s72, s72, exec_lo
	s_or_b32 s16, s16, s72
	s_or_b32 exec_lo, exec_lo, s23
	s_and_saveexec_b32 s23, s16
	s_cbranch_execnz .LBB4_8343
	s_branch .LBB4_8344
.LBB4_8702:                             ;   in Loop: Header=BB4_7456 Depth=3
	s_or_saveexec_b32 s23, s23
	v_mov_b32_e32 v31, 0x7f800001
	s_xor_b32 exec_lo, exec_lo, s23
	s_cbranch_execz .LBB4_8356
.LBB4_8703:                             ;   in Loop: Header=BB4_7456 Depth=3
	v_cmp_ne_u16_sdwa s72, v35, v2 src0_sel:BYTE_0 src1_sel:DWORD
	v_mov_b32_e32 v31, 0
	s_andn2_b32 s16, s16, exec_lo
	s_and_b32 s72, s72, exec_lo
	s_or_b32 s16, s16, s72
	s_or_b32 exec_lo, exec_lo, s23
	v_lshl_or_b32 v1, v35, 16, v1
	s_and_saveexec_b32 s23, s16
	s_cbranch_execnz .LBB4_8357
	s_branch .LBB4_8358
.LBB4_8704:                             ;   in Loop: Header=BB4_7456 Depth=3
	s_or_saveexec_b32 s23, s23
	v_mov_b32_e32 v35, 0x7f800001
	s_xor_b32 exec_lo, exec_lo, s23
	s_cbranch_execz .LBB4_8362
.LBB4_8705:                             ;   in Loop: Header=BB4_7456 Depth=3
	v_cmp_ne_u16_e32 vcc_lo, 0, v36
	v_mov_b32_e32 v35, 0
	s_andn2_b32 s16, s16, exec_lo
	s_and_b32 s72, vcc_lo, exec_lo
	s_or_b32 s16, s16, s72
	s_or_b32 exec_lo, exec_lo, s23
	s_and_saveexec_b32 s23, s16
	s_cbranch_execnz .LBB4_8363
	s_branch .LBB4_8364
.LBB4_8706:                             ;   in Loop: Header=BB4_7456 Depth=3
	s_or_saveexec_b32 s23, s23
	v_mov_b32_e32 v31, 0x7f800001
	s_xor_b32 exec_lo, exec_lo, s23
	s_cbranch_execz .LBB4_8376
.LBB4_8707:                             ;   in Loop: Header=BB4_7456 Depth=3
	v_cmp_ne_u16_sdwa s72, v1, v2 src0_sel:BYTE_3 src1_sel:DWORD
	v_mov_b32_e32 v31, 0
	s_andn2_b32 s16, s16, exec_lo
	s_and_b32 s72, s72, exec_lo
	s_or_b32 s16, s16, s72
	s_or_b32 exec_lo, exec_lo, s23
	s_and_saveexec_b32 s23, s16
	s_cbranch_execnz .LBB4_8377
	s_branch .LBB4_8378
.LBB4_8708:                             ;   in Loop: Header=BB4_7456 Depth=3
	s_or_saveexec_b32 s23, s23
	v_mov_b32_e32 v1, 0x7f800001
	s_xor_b32 exec_lo, exec_lo, s23
	s_cbranch_execz .LBB4_8382
.LBB4_8709:                             ;   in Loop: Header=BB4_7456 Depth=3
	v_cmp_ne_u16_sdwa s72, v9, v2 src0_sel:BYTE_3 src1_sel:DWORD
	v_mov_b32_e32 v1, 0
	s_andn2_b32 s16, s16, exec_lo
	s_and_b32 s72, s72, exec_lo
	s_or_b32 s16, s16, s72
	s_or_b32 exec_lo, exec_lo, s23
	s_and_saveexec_b32 s23, s16
	s_cbranch_execnz .LBB4_8383
	s_branch .LBB4_8384
.LBB4_8710:                             ;   in Loop: Header=BB4_7456 Depth=3
	s_or_saveexec_b32 s23, s23
	v_mov_b32_e32 v31, 0x7f800001
	s_xor_b32 exec_lo, exec_lo, s23
	s_cbranch_execz .LBB4_8396
.LBB4_8711:                             ;   in Loop: Header=BB4_7456 Depth=3
	v_cmp_ne_u16_sdwa s72, v1, v2 src0_sel:BYTE_0 src1_sel:DWORD
	v_mov_b32_e32 v31, 0
	s_andn2_b32 s16, s16, exec_lo
	s_and_b32 s72, s72, exec_lo
	s_or_b32 s16, s16, s72
	s_or_b32 exec_lo, exec_lo, s23
	s_and_saveexec_b32 s23, s16
	s_cbranch_execnz .LBB4_8397
	s_branch .LBB4_8398
.LBB4_8712:                             ;   in Loop: Header=BB4_7456 Depth=3
	s_or_saveexec_b32 s23, s23
	v_mov_b32_e32 v36, 0x7f800001
	s_xor_b32 exec_lo, exec_lo, s23
	s_cbranch_execz .LBB4_8402
.LBB4_8713:                             ;   in Loop: Header=BB4_7456 Depth=3
	v_cmp_ne_u16_sdwa s72, v10, v2 src0_sel:BYTE_0 src1_sel:DWORD
	v_mov_b32_e32 v36, 0
	s_andn2_b32 s16, s16, exec_lo
	s_and_b32 s72, s72, exec_lo
	s_or_b32 s16, s16, s72
	s_or_b32 exec_lo, exec_lo, s23
	s_and_saveexec_b32 s23, s16
	s_cbranch_execnz .LBB4_8403
	s_branch .LBB4_8404
.LBB4_8714:                             ;   in Loop: Header=BB4_7456 Depth=3
	s_or_saveexec_b32 s23, s23
	v_mov_b32_e32 v31, 0x7f800001
	s_xor_b32 exec_lo, exec_lo, s23
	s_cbranch_execz .LBB4_8416
.LBB4_8715:                             ;   in Loop: Header=BB4_7456 Depth=3
	v_cmp_ne_u16_sdwa s72, v1, v2 src0_sel:BYTE_1 src1_sel:DWORD
	v_mov_b32_e32 v31, 0
	s_andn2_b32 s16, s16, exec_lo
	s_and_b32 s72, s72, exec_lo
	s_or_b32 s16, s16, s72
	s_or_b32 exec_lo, exec_lo, s23
	s_and_saveexec_b32 s23, s16
	s_cbranch_execnz .LBB4_8417
	s_branch .LBB4_8418
.LBB4_8716:                             ;   in Loop: Header=BB4_7456 Depth=3
	s_or_saveexec_b32 s23, s23
	v_mov_b32_e32 v37, 0x7f800001
	s_xor_b32 exec_lo, exec_lo, s23
	s_cbranch_execz .LBB4_8422
.LBB4_8717:                             ;   in Loop: Header=BB4_7456 Depth=3
	v_cmp_ne_u16_sdwa s72, v10, v2 src0_sel:BYTE_1 src1_sel:DWORD
	v_mov_b32_e32 v37, 0
	s_andn2_b32 s16, s16, exec_lo
	s_and_b32 s72, s72, exec_lo
	s_or_b32 s16, s16, s72
	s_or_b32 exec_lo, exec_lo, s23
	s_and_saveexec_b32 s23, s16
	s_cbranch_execnz .LBB4_8423
	s_branch .LBB4_8424
.LBB4_8718:                             ;   in Loop: Header=BB4_7456 Depth=3
	s_or_saveexec_b32 s23, s23
	v_mov_b32_e32 v50, 0x7f800001
	s_xor_b32 exec_lo, exec_lo, s23
	s_cbranch_execz .LBB4_8436
.LBB4_8719:                             ;   in Loop: Header=BB4_7456 Depth=3
	v_cmp_ne_u16_sdwa s72, v37, v2 src0_sel:BYTE_0 src1_sel:DWORD
	v_mov_b32_e32 v50, 0
	s_andn2_b32 s16, s16, exec_lo
	s_and_b32 s72, s72, exec_lo
	s_or_b32 s16, s16, s72
	s_or_b32 exec_lo, exec_lo, s23
	v_lshl_or_b32 v37, v37, 16, v1
	s_and_saveexec_b32 s23, s16
	s_cbranch_execnz .LBB4_8437
	s_branch .LBB4_8438
.LBB4_8720:                             ;   in Loop: Header=BB4_7456 Depth=3
	s_or_saveexec_b32 s23, s23
	v_mov_b32_e32 v1, 0x7f800001
	s_xor_b32 exec_lo, exec_lo, s23
	s_cbranch_execz .LBB4_8442
.LBB4_8721:                             ;   in Loop: Header=BB4_7456 Depth=3
	v_cmp_ne_u16_e32 vcc_lo, 0, v51
	v_mov_b32_e32 v1, 0
	s_andn2_b32 s16, s16, exec_lo
	s_and_b32 s72, vcc_lo, exec_lo
	s_or_b32 s16, s16, s72
	s_or_b32 exec_lo, exec_lo, s23
	s_and_saveexec_b32 s23, s16
	s_cbranch_execnz .LBB4_8443
	s_branch .LBB4_8444
.LBB4_8722:                             ;   in Loop: Header=BB4_7456 Depth=3
	s_or_saveexec_b32 s23, s23
	v_mov_b32_e32 v50, 0x7f800001
	s_xor_b32 exec_lo, exec_lo, s23
	s_cbranch_execz .LBB4_8456
.LBB4_8723:                             ;   in Loop: Header=BB4_7456 Depth=3
	v_cmp_ne_u16_sdwa s72, v37, v2 src0_sel:BYTE_3 src1_sel:DWORD
	v_mov_b32_e32 v50, 0
	s_andn2_b32 s16, s16, exec_lo
	s_and_b32 s72, s72, exec_lo
	s_or_b32 s16, s16, s72
	s_or_b32 exec_lo, exec_lo, s23
	s_and_saveexec_b32 s23, s16
	s_cbranch_execnz .LBB4_8457
	s_branch .LBB4_8458
.LBB4_8724:                             ;   in Loop: Header=BB4_7456 Depth=3
	s_or_saveexec_b32 s23, s23
	v_mov_b32_e32 v37, 0x7f800001
	s_xor_b32 exec_lo, exec_lo, s23
	s_cbranch_execz .LBB4_8462
.LBB4_8725:                             ;   in Loop: Header=BB4_7456 Depth=3
	v_cmp_ne_u16_sdwa s72, v10, v2 src0_sel:BYTE_3 src1_sel:DWORD
	v_mov_b32_e32 v37, 0
	s_andn2_b32 s16, s16, exec_lo
	s_and_b32 s72, s72, exec_lo
	s_or_b32 s16, s16, s72
	s_or_b32 exec_lo, exec_lo, s23
	s_and_saveexec_b32 s23, s16
	s_cbranch_execnz .LBB4_8463
	s_branch .LBB4_8464
.LBB4_8726:                             ;   in Loop: Header=BB4_7456 Depth=3
	s_or_saveexec_b32 s23, s23
	v_mov_b32_e32 v37, 0x7f800001
	s_xor_b32 exec_lo, exec_lo, s23
	s_cbranch_execz .LBB4_8476
.LBB4_8727:                             ;   in Loop: Header=BB4_7456 Depth=3
	v_cmp_ne_u16_sdwa s72, v96, v2 src0_sel:BYTE_0 src1_sel:DWORD
	v_mov_b32_e32 v37, 0
	s_andn2_b32 s16, s16, exec_lo
	s_and_b32 s72, s72, exec_lo
	s_or_b32 s16, s16, s72
	s_or_b32 exec_lo, exec_lo, s23
	s_and_saveexec_b32 s23, s16
	s_cbranch_execnz .LBB4_8477
	s_branch .LBB4_8478
.LBB4_8728:                             ;   in Loop: Header=BB4_7456 Depth=3
	s_or_saveexec_b32 s23, s23
	v_mov_b32_e32 v50, 0x7f800001
	s_xor_b32 exec_lo, exec_lo, s23
	s_cbranch_execz .LBB4_8482
.LBB4_8729:                             ;   in Loop: Header=BB4_7456 Depth=3
	v_cmp_ne_u16_sdwa s72, v11, v2 src0_sel:BYTE_0 src1_sel:DWORD
	v_mov_b32_e32 v50, 0
	s_andn2_b32 s16, s16, exec_lo
	s_and_b32 s72, s72, exec_lo
	s_or_b32 s16, s16, s72
	s_or_b32 exec_lo, exec_lo, s23
	s_and_saveexec_b32 s23, s16
	s_cbranch_execnz .LBB4_8483
	s_branch .LBB4_8484
.LBB4_8730:                             ;   in Loop: Header=BB4_7456 Depth=3
	s_or_saveexec_b32 s23, s23
	v_mov_b32_e32 v50, 0x7f800001
	s_xor_b32 exec_lo, exec_lo, s23
	s_cbranch_execz .LBB4_8496
.LBB4_8731:                             ;   in Loop: Header=BB4_7456 Depth=3
	v_cmp_ne_u16_sdwa s72, v96, v2 src0_sel:BYTE_1 src1_sel:DWORD
	v_mov_b32_e32 v50, 0
	s_andn2_b32 s16, s16, exec_lo
	s_and_b32 s72, s72, exec_lo
	s_or_b32 s16, s16, s72
	s_or_b32 exec_lo, exec_lo, s23
	s_and_saveexec_b32 s23, s16
	s_cbranch_execnz .LBB4_8497
	s_branch .LBB4_8498
.LBB4_8732:                             ;   in Loop: Header=BB4_7456 Depth=3
	s_or_saveexec_b32 s23, s23
	v_mov_b32_e32 v51, 0x7f800001
	s_xor_b32 exec_lo, exec_lo, s23
	s_cbranch_execz .LBB4_8502
.LBB4_8733:                             ;   in Loop: Header=BB4_7456 Depth=3
	v_cmp_ne_u16_sdwa s72, v11, v2 src0_sel:BYTE_1 src1_sel:DWORD
	v_mov_b32_e32 v51, 0
	s_andn2_b32 s16, s16, exec_lo
	s_and_b32 s72, s72, exec_lo
	s_or_b32 s16, s16, s72
	s_or_b32 exec_lo, exec_lo, s23
	s_and_saveexec_b32 s23, s16
	s_cbranch_execnz .LBB4_8503
	s_branch .LBB4_8504
.LBB4_8734:                             ;   in Loop: Header=BB4_7456 Depth=3
	s_or_saveexec_b32 s23, s23
	v_mov_b32_e32 v50, 0x7f800001
	s_xor_b32 exec_lo, exec_lo, s23
	s_cbranch_execz .LBB4_8516
.LBB4_8735:                             ;   in Loop: Header=BB4_7456 Depth=3
	v_cmp_ne_u16_sdwa s72, v51, v2 src0_sel:BYTE_0 src1_sel:DWORD
	v_mov_b32_e32 v50, 0
	s_andn2_b32 s16, s16, exec_lo
	s_and_b32 s72, s72, exec_lo
	s_or_b32 s16, s16, s72
	s_or_b32 exec_lo, exec_lo, s23
	v_lshl_or_b32 v51, v51, 16, v96
	s_and_saveexec_b32 s23, s16
	s_cbranch_execnz .LBB4_8517
	s_branch .LBB4_8518
.LBB4_8736:                             ;   in Loop: Header=BB4_7456 Depth=3
	s_or_saveexec_b32 s23, s23
	v_mov_b32_e32 v82, 0x7f800001
	s_xor_b32 exec_lo, exec_lo, s23
	s_cbranch_execz .LBB4_8522
.LBB4_8737:                             ;   in Loop: Header=BB4_7456 Depth=3
	v_cmp_ne_u16_e32 vcc_lo, 0, v96
	v_mov_b32_e32 v82, 0
	s_andn2_b32 s16, s16, exec_lo
	s_and_b32 s72, vcc_lo, exec_lo
	s_or_b32 s16, s16, s72
	s_or_b32 exec_lo, exec_lo, s23
	s_and_saveexec_b32 s23, s16
	s_cbranch_execnz .LBB4_8523
	s_branch .LBB4_8524
.LBB4_8738:                             ;   in Loop: Header=BB4_7456 Depth=3
	s_or_saveexec_b32 s23, s23
	v_mov_b32_e32 v82, 0x7f800001
	s_xor_b32 exec_lo, exec_lo, s23
	s_cbranch_execz .LBB4_8536
.LBB4_8739:                             ;   in Loop: Header=BB4_7456 Depth=3
	v_cmp_ne_u16_sdwa s72, v51, v2 src0_sel:BYTE_3 src1_sel:DWORD
	v_mov_b32_e32 v82, 0
	s_andn2_b32 s16, s16, exec_lo
	s_and_b32 s72, s72, exec_lo
	s_or_b32 s16, s16, s72
	s_or_b32 exec_lo, exec_lo, s23
	s_and_saveexec_b32 s23, s16
	s_cbranch_execnz .LBB4_8537
	s_branch .LBB4_8538
.LBB4_8740:                             ;   in Loop: Header=BB4_7456 Depth=3
	s_or_saveexec_b32 s23, s23
	v_mov_b32_e32 v51, 0x7f800001
	s_xor_b32 exec_lo, exec_lo, s23
	s_cbranch_execz .LBB4_8542
.LBB4_8741:                             ;   in Loop: Header=BB4_7456 Depth=3
	v_cmp_ne_u16_sdwa s72, v11, v2 src0_sel:BYTE_3 src1_sel:DWORD
	v_mov_b32_e32 v51, 0
	s_andn2_b32 s16, s16, exec_lo
	s_and_b32 s72, s72, exec_lo
	s_or_b32 s16, s16, s72
	s_or_b32 exec_lo, exec_lo, s23
	s_and_saveexec_b32 s23, s16
	s_cbranch_execnz .LBB4_8543
	s_branch .LBB4_8544
.LBB4_8742:                             ;   in Loop: Header=BB4_4707 Depth=2
	s_or_b32 exec_lo, exec_lo, s18
.LBB4_8743:                             ;   in Loop: Header=BB4_4707 Depth=2
	s_or_b32 exec_lo, exec_lo, s17
	v_lshlrev_b32_e32 v69, 10, v81
	v_mov_b32_e32 v66, 0
	s_mov_b32 s16, 0
	s_mov_b32 s18, exec_lo
                                        ; implicit-def: $vgpr67
                                        ; implicit-def: $vgpr68
	v_cmpx_ne_u32_e64 v61, v69
	s_cbranch_execz .LBB4_9397
; %bb.8744:                             ;   in Loop: Header=BB4_4707 Depth=2
	v_lshlrev_b32_e32 v1, 5, v80
	v_and_b32_e32 v4, 31, v0
	v_sub_nc_u32_e32 v5, v61, v69
	s_mov_b32 s19, exec_lo
	v_sub_nc_u32_e32 v1, v4, v1
	v_ashrrev_i32_e32 v8, 31, v5
	v_ashrrev_i32_e32 v4, 31, v1
	v_lshrrev_b32_e32 v8, 23, v8
	v_lshrrev_b32_e32 v4, 27, v4
	v_add_nc_u32_e32 v8, v5, v8
	v_add_nc_u32_e32 v4, v1, v4
	v_and_b32_e32 v70, 0xfffffe00, v8
	v_ashrrev_i32_e32 v8, 9, v8
	v_and_b32_e32 v9, 0xffffffe0, v4
	v_sub_nc_u32_e32 v71, v5, v70
	v_ashrrev_i32_e32 v4, 5, v4
	v_sub_nc_u32_e32 v68, v1, v9
	v_cmp_lt_i32_e64 s16, 15, v71
	v_lshlrev_b32_e32 v1, 4, v68
	v_add_co_ci_u32_e64 v8, null, 0, v8, s16
	v_lshl_add_u32 v1, v4, 9, v1
	v_sub_nc_u32_e32 v80, v8, v4
	v_sub_nc_u32_e32 v81, v5, v1
	v_cmpx_lt_i32_e32 15, v81
	s_cbranch_execz .LBB4_9396
; %bb.8745:                             ;   in Loop: Header=BB4_4707 Depth=2
	s_trap 2
	ds_read_b64 v[4:5], v0
	v_add_nc_u32_e32 v1, v1, v69
	v_ashrrev_i32_e32 v8, 31, v1
	v_add_co_u32 v12, vcc_lo, v1, v53
	v_add_co_ci_u32_e64 v13, null, v8, v54, vcc_lo
	v_add_co_u32 v14, vcc_lo, v1, v64
	v_add_co_ci_u32_e64 v15, null, v8, v65, vcc_lo
	s_waitcnt lgkmcnt(0)
	v_readfirstlane_b32 s17, v4
	v_add_co_u32 v66, vcc_lo, v4, v1
	v_add_co_ci_u32_e64 v67, null, v5, v8, vcc_lo
	s_and_b32 s22, s17, 3
	s_bfe_u32 s73, s17, 0x50002
	s_flbit_i32_b32 s23, s22
	s_min_u32 s23, s23, 32
	s_sub_i32 s72, s23, 29
	s_sub_i32 s23, 30, s23
	s_lshl_b32 s72, s17, s72
	s_and_b32 s72, s72, 3
	s_cmp_eq_u32 s73, 0
	s_cselect_b32 s23, s23, s73
	s_cselect_b32 s22, s72, s22
	s_lshl_b32 s72, s17, 24
	s_lshl_b32 s23, s23, 23
	s_and_b32 s72, s72, 0x80000000
	s_add_i32 s23, s23, 0x37800000
	s_lshl_b32 s73, s22, 21
	s_or_b32 s23, s72, s23
	s_mov_b32 s22, 0
	s_or_b32 s23, s23, s73
	s_and_b32 s72, s17, 0xff
	s_branch .LBB4_8749
.LBB4_8746:                             ;   in Loop: Header=BB4_8749 Depth=3
	s_or_b32 exec_lo, exec_lo, s17
	v_lshrrev_b32_e32 v20, 21, v20
	v_min_i32_e32 v36, 31, v17
	v_cmp_gt_i32_e32 vcc_lo, 32, v17
	v_and_b32_sdwa v11, v11, v101 dst_sel:DWORD dst_unused:UNUSED_PAD src0_sel:BYTE_3 src1_sel:DWORD
	v_lshlrev_b32_e32 v36, 2, v36
	v_cndmask_b32_e32 v20, 3, v20, vcc_lo
	v_and_b32_e32 v36, 0xfc, v36
	v_and_b32_e32 v37, 3, v20
	v_or_b32_e32 v17, v17, v20
	v_or3_b32 v11, v11, v36, v37
	v_cmp_ne_u32_e32 vcc_lo, 0, v17
	v_lshlrev_b32_e32 v11, 8, v11
	v_cndmask_b32_e32 v17, 0, v11, vcc_lo
.LBB4_8747:                             ;   in Loop: Header=BB4_8749 Depth=3
	s_or_b32 exec_lo, exec_lo, s74
.LBB4_8748:                             ;   in Loop: Header=BB4_8749 Depth=3
	s_or_b32 exec_lo, exec_lo, s73
	v_or_b32_sdwa v9, v9, v35 dst_sel:WORD_1 dst_unused:UNUSED_PAD src0_sel:DWORD src1_sel:DWORD
	v_or_b32_sdwa v8, v8, v30 dst_sel:WORD_1 dst_unused:UNUSED_PAD src0_sel:DWORD src1_sel:DWORD
	v_or_b32_sdwa v1, v4, v1 dst_sel:WORD_1 dst_unused:UNUSED_PAD src0_sel:DWORD src1_sel:DWORD
	v_or_b32_sdwa v4, v17, v10 dst_sel:WORD_1 dst_unused:UNUSED_PAD src0_sel:DWORD src1_sel:DWORD
	v_sub_nc_u32_e32 v81, v81, v117
	v_or3_b32 v9, v34, v83, v9
	v_or3_b32 v8, v19, v16, v8
	;; [unrolled: 1-line block ×4, first 2 shown]
	v_add_co_u32 v12, vcc_lo, v12, v117
	v_add_co_ci_u32_e64 v13, null, 0, v13, vcc_lo
	v_add_co_u32 v66, vcc_lo, v66, v117
	global_store_dwordx4 v[14:15], v[8:11], off glc slc
	v_add_co_ci_u32_e64 v67, null, 0, v67, vcc_lo
	v_cmp_gt_i32_e32 vcc_lo, 16, v81
	v_add_co_u32 v14, s17, v14, v117
	v_add_co_ci_u32_e64 v15, null, 0, v15, s17
	v_sub_nc_u32_e32 v80, v80, v87
	s_or_b32 s22, vcc_lo, s22
	s_andn2_b32 exec_lo, exec_lo, s22
	s_cbranch_execz .LBB4_9395
.LBB4_8749:                             ;   Parent Loop BB4_47 Depth=1
                                        ;     Parent Loop BB4_4707 Depth=2
                                        ; =>    This Inner Loop Header: Depth=3
	s_cmpk_lt_i32 s72, 0x80
	s_cbranch_scc1 .LBB4_8753
; %bb.8750:                             ;   in Loop: Header=BB4_8749 Depth=3
	s_and_b32 s17, 0xffff, s72
	s_cmpk_eq_i32 s17, 0x80
	s_mov_b32 s17, -1
	s_cbranch_scc0 .LBB4_8752
; %bb.8751:                             ;   in Loop: Header=BB4_8749 Depth=3
	s_mov_b32 s17, 0
.LBB4_8752:                             ;   in Loop: Header=BB4_8749 Depth=3
	s_mov_b32 s73, 0x7f800001
	s_branch .LBB4_8755
.LBB4_8753:                             ;   in Loop: Header=BB4_8749 Depth=3
	s_mov_b32 s17, 0
	s_mov_b32 s73, 0x7f800001
	s_cbranch_execz .LBB4_8755
; %bb.8754:                             ;   in Loop: Header=BB4_8749 Depth=3
	s_and_b32 s17, 0xffff, s72
	s_mov_b32 s73, 0
	s_cmp_lg_u32 s17, 0
	s_cselect_b32 s17, -1, 0
.LBB4_8755:                             ;   in Loop: Header=BB4_8749 Depth=3
	s_andn2_b32 vcc_lo, exec_lo, s17
	s_cbranch_vccnz .LBB4_8757
; %bb.8756:                             ;   in Loop: Header=BB4_8749 Depth=3
	s_mov_b32 s73, s23
.LBB4_8757:                             ;   in Loop: Header=BB4_8749 Depth=3
	global_load_dwordx4 v[8:11], v[12:13], off slc
	s_mov_b32 s17, 0
	s_waitcnt vmcnt(0)
	v_cmp_gt_i16_sdwa s74, v8, v100 src0_sel:BYTE_0 src1_sel:DWORD
	s_and_saveexec_b32 s75, s74
	s_xor_b32 s74, exec_lo, s75
	s_cbranch_execz .LBB4_9299
; %bb.8758:                             ;   in Loop: Header=BB4_8749 Depth=3
	v_cmp_eq_u16_sdwa s76, v8, v101 src0_sel:BYTE_0 src1_sel:DWORD
	s_mov_b32 s17, -1
	s_and_saveexec_b32 s75, s76
; %bb.8759:                             ;   in Loop: Header=BB4_8749 Depth=3
	s_xor_b32 s17, exec_lo, -1
; %bb.8760:                             ;   in Loop: Header=BB4_8749 Depth=3
	s_or_b32 exec_lo, exec_lo, s75
	s_and_b32 s17, s17, exec_lo
	s_or_saveexec_b32 s74, s74
	v_mov_b32_e32 v1, 0x7f800001
	s_xor_b32 exec_lo, exec_lo, s74
	s_cbranch_execnz .LBB4_9300
.LBB4_8761:                             ;   in Loop: Header=BB4_8749 Depth=3
	s_or_b32 exec_lo, exec_lo, s74
	s_and_saveexec_b32 s74, s17
	s_cbranch_execz .LBB4_8763
.LBB4_8762:                             ;   in Loop: Header=BB4_8749 Depth=3
	v_and_b32_e32 v1, 3, v8
	v_bfe_u32 v16, v8, 2, 5
	v_lshlrev_b32_e32 v17, 24, v8
	v_ffbh_u32_e32 v4, v1
	v_cmp_eq_u32_e32 vcc_lo, 0, v16
	v_min_u32_e32 v4, 32, v4
	v_subrev_nc_u32_e32 v5, 29, v4
	v_sub_nc_u32_e32 v4, 30, v4
	v_lshlrev_b32_e32 v5, v5, v8
	v_cndmask_b32_e32 v4, v16, v4, vcc_lo
	v_and_b32_e32 v5, 3, v5
	v_lshl_add_u32 v4, v4, 23, 0x37800000
	v_cndmask_b32_e32 v1, v1, v5, vcc_lo
	v_and_b32_e32 v5, 0x80000000, v17
	v_lshlrev_b32_e32 v1, 21, v1
	v_or3_b32 v1, v5, v4, v1
.LBB4_8763:                             ;   in Loop: Header=BB4_8749 Depth=3
	s_or_b32 exec_lo, exec_lo, s74
	v_mul_f32_e32 v1, s73, v1
	v_mov_b32_e32 v16, 0x80
	s_mov_b32 s74, exec_lo
	v_and_b32_e32 v4, 0x7f800000, v1
	v_cmpx_ne_u32_e32 0x7f800000, v4
	s_cbranch_execz .LBB4_8771
; %bb.8764:                             ;   in Loop: Header=BB4_8749 Depth=3
	v_mov_b32_e32 v16, 0
	s_mov_b32 s75, exec_lo
	v_cmpx_ne_u32_e32 0, v1
	s_cbranch_execz .LBB4_8770
; %bb.8765:                             ;   in Loop: Header=BB4_8749 Depth=3
	v_bfe_u32 v4, v1, 23, 8
	v_and_b32_e32 v5, 0x7fffff, v1
	v_sub_nc_u32_e32 v16, 0x70, v4
	v_cmp_gt_u32_e32 vcc_lo, 0x71, v4
	v_or_b32_e32 v17, 0x800000, v5
	v_cndmask_b32_e32 v16, 0, v16, vcc_lo
	v_cmp_eq_u32_e32 vcc_lo, 0, v4
	v_add_nc_u32_e32 v4, 0xffffff91, v4
	v_cndmask_b32_e64 v16, v16, 0x6f, vcc_lo
	v_cndmask_b32_e32 v5, v17, v5, vcc_lo
	v_cndmask_b32_e64 v4, v4, 0xffffff92, vcc_lo
	v_lshl_add_u32 v17, 0x200000, v16, -1
	v_lshrrev_b32_e32 v18, v16, v5
	v_lshlrev_b32_e64 v20, v16, 0x100000
	v_add_nc_u32_e32 v16, v16, v4
	v_and_b32_e32 v5, v17, v5
	v_bfe_u32 v19, v18, 21, 1
	v_cmp_eq_u32_e64 s17, v5, v20
	v_add_nc_u32_e32 v17, -1, v19
	v_cndmask_b32_e64 v5, 0, v17, s17
	v_lshrrev_b32_e32 v17, 23, v18
	s_mov_b32 s17, exec_lo
	v_add_nc_u32_e32 v5, v5, v18
	v_xor_b32_e32 v17, 1, v17
	v_and_b32_e32 v4, 0x1fffff, v5
	v_add_nc_u32_e32 v5, v4, v18
                                        ; implicit-def: $vgpr4
	v_cmpx_ne_u32_e64 v16, v17
	s_xor_b32 s17, exec_lo, s17
; %bb.8766:                             ;   in Loop: Header=BB4_8749 Depth=3
	v_cmp_lt_u32_e32 vcc_lo, 0xffffff, v5
	v_sub_nc_u32_e32 v4, v16, v17
	v_cndmask_b32_e64 v16, 0, 1, vcc_lo
	v_add_co_ci_u32_e64 v4, null, 0, v4, vcc_lo
	v_lshrrev_b32_e32 v5, v16, v5
; %bb.8767:                             ;   in Loop: Header=BB4_8749 Depth=3
	s_andn2_saveexec_b32 s17, s17
; %bb.8768:                             ;   in Loop: Header=BB4_8749 Depth=3
	v_bfe_u32 v4, v5, 23, 1
; %bb.8769:                             ;   in Loop: Header=BB4_8749 Depth=3
	s_or_b32 exec_lo, exec_lo, s17
	v_lshrrev_b32_e32 v5, 21, v5
	v_min_i32_e32 v16, 31, v4
	v_cmp_gt_i32_e32 vcc_lo, 32, v4
	v_and_b32_sdwa v1, v1, v101 dst_sel:DWORD dst_unused:UNUSED_PAD src0_sel:BYTE_3 src1_sel:DWORD
	v_lshlrev_b32_e32 v16, 2, v16
	v_cndmask_b32_e32 v5, 3, v5, vcc_lo
	v_and_b32_e32 v16, 0xfc, v16
	v_and_b32_e32 v17, 3, v5
	v_or_b32_e32 v4, v4, v5
	v_or3_b32 v1, v16, v1, v17
	v_cmp_ne_u32_e32 vcc_lo, 0, v4
	v_cndmask_b32_e32 v16, 0, v1, vcc_lo
.LBB4_8770:                             ;   in Loop: Header=BB4_8749 Depth=3
	s_or_b32 exec_lo, exec_lo, s75
.LBB4_8771:                             ;   in Loop: Header=BB4_8749 Depth=3
	s_or_b32 exec_lo, exec_lo, s74
	v_cmp_gt_i16_sdwa s74, v8, v100 src0_sel:BYTE_1 src1_sel:DWORD
	s_mov_b32 s17, 0
	s_and_saveexec_b32 s75, s74
	s_xor_b32 s74, exec_lo, s75
	s_cbranch_execz .LBB4_9301
; %bb.8772:                             ;   in Loop: Header=BB4_8749 Depth=3
	v_cmp_eq_u16_sdwa s76, v8, v101 src0_sel:BYTE_1 src1_sel:DWORD
	s_mov_b32 s17, -1
	s_and_saveexec_b32 s75, s76
; %bb.8773:                             ;   in Loop: Header=BB4_8749 Depth=3
	s_xor_b32 s17, exec_lo, -1
; %bb.8774:                             ;   in Loop: Header=BB4_8749 Depth=3
	s_or_b32 exec_lo, exec_lo, s75
	s_and_b32 s17, s17, exec_lo
	s_or_saveexec_b32 s74, s74
	v_mov_b32_e32 v1, 0x7f800001
	s_xor_b32 exec_lo, exec_lo, s74
	s_cbranch_execnz .LBB4_9302
.LBB4_8775:                             ;   in Loop: Header=BB4_8749 Depth=3
	s_or_b32 exec_lo, exec_lo, s74
	s_and_saveexec_b32 s74, s17
	s_cbranch_execz .LBB4_8777
.LBB4_8776:                             ;   in Loop: Header=BB4_8749 Depth=3
	v_and_b32_sdwa v1, v102, v8 dst_sel:DWORD dst_unused:UNUSED_PAD src0_sel:DWORD src1_sel:BYTE_1
	v_and_b32_e32 v4, 3, v1
	v_bfe_u32 v18, v1, 2, 5
	v_ffbh_u32_e32 v5, v4
	v_cmp_eq_u32_e32 vcc_lo, 0, v18
	v_min_u32_e32 v5, 32, v5
	v_subrev_nc_u32_e32 v17, 29, v5
	v_sub_nc_u32_e32 v5, 30, v5
	v_lshlrev_b32_e32 v1, v17, v1
	v_lshlrev_b32_sdwa v17, v103, v8 dst_sel:DWORD dst_unused:UNUSED_PAD src0_sel:DWORD src1_sel:BYTE_1
	v_cndmask_b32_e32 v5, v18, v5, vcc_lo
	v_and_b32_e32 v1, 3, v1
	v_lshl_add_u32 v5, v5, 23, 0x37800000
	v_cndmask_b32_e32 v1, v4, v1, vcc_lo
	v_and_b32_e32 v4, 0x80000000, v17
	v_lshlrev_b32_e32 v1, 21, v1
	v_or3_b32 v1, v4, v5, v1
.LBB4_8777:                             ;   in Loop: Header=BB4_8749 Depth=3
	s_or_b32 exec_lo, exec_lo, s74
	v_mul_f32_e32 v1, s73, v1
	v_mov_b32_e32 v19, 0x8000
	s_mov_b32 s74, exec_lo
	v_and_b32_e32 v4, 0x7f800000, v1
	v_cmpx_ne_u32_e32 0x7f800000, v4
	s_cbranch_execz .LBB4_8785
; %bb.8778:                             ;   in Loop: Header=BB4_8749 Depth=3
	v_mov_b32_e32 v19, 0
	s_mov_b32 s75, exec_lo
	v_cmpx_ne_u32_e32 0, v1
	s_cbranch_execz .LBB4_8784
; %bb.8779:                             ;   in Loop: Header=BB4_8749 Depth=3
	v_bfe_u32 v4, v1, 23, 8
	v_and_b32_e32 v5, 0x7fffff, v1
	v_sub_nc_u32_e32 v17, 0x70, v4
	v_cmp_gt_u32_e32 vcc_lo, 0x71, v4
	v_or_b32_e32 v18, 0x800000, v5
	v_cndmask_b32_e32 v17, 0, v17, vcc_lo
	v_cmp_eq_u32_e32 vcc_lo, 0, v4
	v_add_nc_u32_e32 v4, 0xffffff91, v4
	v_cndmask_b32_e64 v17, v17, 0x6f, vcc_lo
	v_cndmask_b32_e32 v5, v18, v5, vcc_lo
	v_cndmask_b32_e64 v4, v4, 0xffffff92, vcc_lo
	v_lshl_add_u32 v18, 0x200000, v17, -1
	v_lshrrev_b32_e32 v19, v17, v5
	v_lshlrev_b32_e64 v21, v17, 0x100000
	v_add_nc_u32_e32 v17, v17, v4
	v_and_b32_e32 v5, v18, v5
	v_bfe_u32 v20, v19, 21, 1
	v_cmp_eq_u32_e64 s17, v5, v21
	v_add_nc_u32_e32 v18, -1, v20
	v_cndmask_b32_e64 v5, 0, v18, s17
	v_lshrrev_b32_e32 v18, 23, v19
	s_mov_b32 s17, exec_lo
	v_add_nc_u32_e32 v5, v5, v19
	v_xor_b32_e32 v18, 1, v18
	v_and_b32_e32 v4, 0x1fffff, v5
	v_add_nc_u32_e32 v5, v4, v19
                                        ; implicit-def: $vgpr4
	v_cmpx_ne_u32_e64 v17, v18
	s_xor_b32 s17, exec_lo, s17
; %bb.8780:                             ;   in Loop: Header=BB4_8749 Depth=3
	v_cmp_lt_u32_e32 vcc_lo, 0xffffff, v5
	v_sub_nc_u32_e32 v4, v17, v18
	v_cndmask_b32_e64 v17, 0, 1, vcc_lo
	v_add_co_ci_u32_e64 v4, null, 0, v4, vcc_lo
	v_lshrrev_b32_e32 v5, v17, v5
; %bb.8781:                             ;   in Loop: Header=BB4_8749 Depth=3
	s_andn2_saveexec_b32 s17, s17
; %bb.8782:                             ;   in Loop: Header=BB4_8749 Depth=3
	v_bfe_u32 v4, v5, 23, 1
; %bb.8783:                             ;   in Loop: Header=BB4_8749 Depth=3
	s_or_b32 exec_lo, exec_lo, s17
	v_lshrrev_b32_e32 v5, 21, v5
	v_min_i32_e32 v17, 31, v4
	v_cmp_gt_i32_e32 vcc_lo, 32, v4
	v_and_b32_sdwa v1, v1, v101 dst_sel:DWORD dst_unused:UNUSED_PAD src0_sel:BYTE_3 src1_sel:DWORD
	v_lshlrev_b32_e32 v17, 2, v17
	v_cndmask_b32_e32 v5, 3, v5, vcc_lo
	v_and_b32_e32 v17, 0xfc, v17
	v_and_b32_e32 v18, 3, v5
	v_or_b32_e32 v4, v4, v5
	v_or3_b32 v1, v1, v17, v18
	v_cmp_ne_u32_e32 vcc_lo, 0, v4
	v_lshlrev_b32_e32 v1, 8, v1
	v_cndmask_b32_e32 v19, 0, v1, vcc_lo
.LBB4_8784:                             ;   in Loop: Header=BB4_8749 Depth=3
	s_or_b32 exec_lo, exec_lo, s75
.LBB4_8785:                             ;   in Loop: Header=BB4_8749 Depth=3
	s_or_b32 exec_lo, exec_lo, s74
	v_and_b32_sdwa v4, v8, v112 dst_sel:DWORD dst_unused:UNUSED_PAD src0_sel:WORD_1 src1_sel:DWORD
	s_mov_b32 s17, 0
	s_mov_b32 s74, exec_lo
	v_cmpx_lt_i16_e32 0x7f, v4
	s_xor_b32 s74, exec_lo, s74
	s_cbranch_execz .LBB4_9303
; %bb.8786:                             ;   in Loop: Header=BB4_8749 Depth=3
	s_mov_b32 s17, -1
	s_mov_b32 s75, exec_lo
	v_cmpx_eq_u16_e32 0x80, v4
; %bb.8787:                             ;   in Loop: Header=BB4_8749 Depth=3
	s_xor_b32 s17, exec_lo, -1
; %bb.8788:                             ;   in Loop: Header=BB4_8749 Depth=3
	s_or_b32 exec_lo, exec_lo, s75
	s_and_b32 s17, s17, exec_lo
                                        ; implicit-def: $vgpr4
	s_or_saveexec_b32 s74, s74
	v_mov_b32_e32 v1, 0x7f800001
	s_xor_b32 exec_lo, exec_lo, s74
	s_cbranch_execnz .LBB4_9304
.LBB4_8789:                             ;   in Loop: Header=BB4_8749 Depth=3
	s_or_b32 exec_lo, exec_lo, s74
	s_and_saveexec_b32 s74, s17
	s_cbranch_execz .LBB4_8791
.LBB4_8790:                             ;   in Loop: Header=BB4_8749 Depth=3
	v_bfe_u32 v1, v8, 16, 2
	v_bfe_u32 v17, v8, 18, 5
	v_lshlrev_b32_e32 v18, 8, v8
	v_ffbh_u32_e32 v4, v1
	v_cmp_eq_u32_e32 vcc_lo, 0, v17
	v_min_u32_e32 v4, 32, v4
	v_subrev_nc_u32_e32 v5, 29, v4
	v_sub_nc_u32_e32 v4, 30, v4
	v_lshlrev_b32_sdwa v5, v5, v8 dst_sel:DWORD dst_unused:UNUSED_PAD src0_sel:DWORD src1_sel:WORD_1
	v_cndmask_b32_e32 v4, v17, v4, vcc_lo
	v_and_b32_e32 v5, 3, v5
	v_lshl_add_u32 v4, v4, 23, 0x37800000
	v_cndmask_b32_e32 v1, v1, v5, vcc_lo
	v_and_b32_e32 v5, 0x80000000, v18
	v_lshlrev_b32_e32 v1, 21, v1
	v_or3_b32 v1, v5, v4, v1
.LBB4_8791:                             ;   in Loop: Header=BB4_8749 Depth=3
	s_or_b32 exec_lo, exec_lo, s74
	v_mul_f32_e32 v1, s73, v1
	v_mov_b32_e32 v30, 0x80
	s_mov_b32 s74, exec_lo
	v_and_b32_e32 v4, 0x7f800000, v1
	v_cmpx_ne_u32_e32 0x7f800000, v4
	s_cbranch_execz .LBB4_8799
; %bb.8792:                             ;   in Loop: Header=BB4_8749 Depth=3
	v_mov_b32_e32 v30, 0
	s_mov_b32 s75, exec_lo
	v_cmpx_ne_u32_e32 0, v1
	s_cbranch_execz .LBB4_8798
; %bb.8793:                             ;   in Loop: Header=BB4_8749 Depth=3
	v_bfe_u32 v4, v1, 23, 8
	v_and_b32_e32 v5, 0x7fffff, v1
	v_sub_nc_u32_e32 v17, 0x70, v4
	v_cmp_gt_u32_e32 vcc_lo, 0x71, v4
	v_or_b32_e32 v18, 0x800000, v5
	v_cndmask_b32_e32 v17, 0, v17, vcc_lo
	v_cmp_eq_u32_e32 vcc_lo, 0, v4
	v_add_nc_u32_e32 v4, 0xffffff91, v4
	v_cndmask_b32_e64 v17, v17, 0x6f, vcc_lo
	v_cndmask_b32_e32 v5, v18, v5, vcc_lo
	v_cndmask_b32_e64 v4, v4, 0xffffff92, vcc_lo
	v_lshl_add_u32 v18, 0x200000, v17, -1
	v_lshrrev_b32_e32 v20, v17, v5
	v_lshlrev_b32_e64 v30, v17, 0x100000
	v_add_nc_u32_e32 v17, v17, v4
	v_and_b32_e32 v5, v18, v5
	v_bfe_u32 v21, v20, 21, 1
	v_cmp_eq_u32_e64 s17, v5, v30
	v_add_nc_u32_e32 v18, -1, v21
	v_cndmask_b32_e64 v5, 0, v18, s17
	v_lshrrev_b32_e32 v18, 23, v20
	s_mov_b32 s17, exec_lo
	v_add_nc_u32_e32 v5, v5, v20
	v_xor_b32_e32 v18, 1, v18
	v_and_b32_e32 v4, 0x1fffff, v5
	v_add_nc_u32_e32 v5, v4, v20
                                        ; implicit-def: $vgpr4
	v_cmpx_ne_u32_e64 v17, v18
	s_xor_b32 s17, exec_lo, s17
; %bb.8794:                             ;   in Loop: Header=BB4_8749 Depth=3
	v_cmp_lt_u32_e32 vcc_lo, 0xffffff, v5
	v_sub_nc_u32_e32 v4, v17, v18
	v_cndmask_b32_e64 v17, 0, 1, vcc_lo
	v_add_co_ci_u32_e64 v4, null, 0, v4, vcc_lo
	v_lshrrev_b32_e32 v5, v17, v5
; %bb.8795:                             ;   in Loop: Header=BB4_8749 Depth=3
	s_andn2_saveexec_b32 s17, s17
; %bb.8796:                             ;   in Loop: Header=BB4_8749 Depth=3
	v_bfe_u32 v4, v5, 23, 1
; %bb.8797:                             ;   in Loop: Header=BB4_8749 Depth=3
	s_or_b32 exec_lo, exec_lo, s17
	v_lshrrev_b32_e32 v5, 21, v5
	v_min_i32_e32 v17, 31, v4
	v_cmp_gt_i32_e32 vcc_lo, 32, v4
	v_and_b32_sdwa v1, v1, v101 dst_sel:DWORD dst_unused:UNUSED_PAD src0_sel:BYTE_3 src1_sel:DWORD
	v_lshlrev_b32_e32 v17, 2, v17
	v_cndmask_b32_e32 v5, 3, v5, vcc_lo
	v_and_b32_e32 v17, 0xfc, v17
	v_and_b32_e32 v18, 3, v5
	v_or_b32_e32 v4, v4, v5
	v_or3_b32 v1, v17, v1, v18
	v_cmp_ne_u32_e32 vcc_lo, 0, v4
	v_cndmask_b32_e32 v30, 0, v1, vcc_lo
.LBB4_8798:                             ;   in Loop: Header=BB4_8749 Depth=3
	s_or_b32 exec_lo, exec_lo, s75
.LBB4_8799:                             ;   in Loop: Header=BB4_8749 Depth=3
	s_or_b32 exec_lo, exec_lo, s74
	v_cmp_gt_i16_sdwa s74, v8, v100 src0_sel:BYTE_3 src1_sel:DWORD
	s_mov_b32 s17, 0
	s_and_saveexec_b32 s75, s74
	s_xor_b32 s74, exec_lo, s75
	s_cbranch_execz .LBB4_9305
; %bb.8800:                             ;   in Loop: Header=BB4_8749 Depth=3
	v_cmp_eq_u16_sdwa s76, v8, v101 src0_sel:BYTE_3 src1_sel:DWORD
	s_mov_b32 s17, -1
	s_and_saveexec_b32 s75, s76
; %bb.8801:                             ;   in Loop: Header=BB4_8749 Depth=3
	s_xor_b32 s17, exec_lo, -1
; %bb.8802:                             ;   in Loop: Header=BB4_8749 Depth=3
	s_or_b32 exec_lo, exec_lo, s75
	s_and_b32 s17, s17, exec_lo
	s_or_saveexec_b32 s74, s74
	v_mov_b32_e32 v1, 0x7f800001
	s_xor_b32 exec_lo, exec_lo, s74
	s_cbranch_execnz .LBB4_9306
.LBB4_8803:                             ;   in Loop: Header=BB4_8749 Depth=3
	s_or_b32 exec_lo, exec_lo, s74
	s_and_saveexec_b32 s74, s17
	s_cbranch_execz .LBB4_8805
.LBB4_8804:                             ;   in Loop: Header=BB4_8749 Depth=3
	v_bfe_u32 v1, v8, 24, 2
	v_bfe_u32 v17, v8, 26, 5
	v_ffbh_u32_e32 v4, v1
	v_cmp_eq_u32_e32 vcc_lo, 0, v17
	v_min_u32_e32 v4, 32, v4
	v_subrev_nc_u32_e32 v5, 29, v4
	v_sub_nc_u32_e32 v4, 30, v4
	v_lshlrev_b32_sdwa v5, v5, v8 dst_sel:DWORD dst_unused:UNUSED_PAD src0_sel:DWORD src1_sel:BYTE_3
	v_cndmask_b32_e32 v4, v17, v4, vcc_lo
	v_and_b32_e32 v5, 3, v5
	v_lshl_add_u32 v4, v4, 23, 0x37800000
	v_cndmask_b32_e32 v1, v1, v5, vcc_lo
	v_and_b32_e32 v5, 0x80000000, v8
	v_lshlrev_b32_e32 v1, 21, v1
	v_or3_b32 v1, v5, v4, v1
.LBB4_8805:                             ;   in Loop: Header=BB4_8749 Depth=3
	s_or_b32 exec_lo, exec_lo, s74
	v_mul_f32_e32 v1, s73, v1
	v_mov_b32_e32 v34, 0x8000
	s_mov_b32 s74, exec_lo
	v_and_b32_e32 v4, 0x7f800000, v1
	v_cmpx_ne_u32_e32 0x7f800000, v4
	s_cbranch_execz .LBB4_8813
; %bb.8806:                             ;   in Loop: Header=BB4_8749 Depth=3
	v_mov_b32_e32 v34, 0
	s_mov_b32 s75, exec_lo
	v_cmpx_ne_u32_e32 0, v1
	s_cbranch_execz .LBB4_8812
; %bb.8807:                             ;   in Loop: Header=BB4_8749 Depth=3
	v_bfe_u32 v4, v1, 23, 8
	v_and_b32_e32 v5, 0x7fffff, v1
	v_sub_nc_u32_e32 v8, 0x70, v4
	v_cmp_gt_u32_e32 vcc_lo, 0x71, v4
	v_or_b32_e32 v17, 0x800000, v5
	v_cndmask_b32_e32 v8, 0, v8, vcc_lo
	v_cmp_eq_u32_e32 vcc_lo, 0, v4
	v_add_nc_u32_e32 v4, 0xffffff91, v4
	v_cndmask_b32_e64 v8, v8, 0x6f, vcc_lo
	v_cndmask_b32_e32 v5, v17, v5, vcc_lo
	v_cndmask_b32_e64 v4, v4, 0xffffff92, vcc_lo
	v_lshl_add_u32 v17, 0x200000, v8, -1
	v_lshrrev_b32_e32 v18, v8, v5
	v_lshlrev_b32_e64 v21, v8, 0x100000
	v_add_nc_u32_e32 v8, v8, v4
	v_and_b32_e32 v5, v17, v5
	v_bfe_u32 v20, v18, 21, 1
	v_cmp_eq_u32_e64 s17, v5, v21
	v_add_nc_u32_e32 v17, -1, v20
	v_cndmask_b32_e64 v5, 0, v17, s17
	v_lshrrev_b32_e32 v17, 23, v18
	s_mov_b32 s17, exec_lo
	v_add_nc_u32_e32 v5, v5, v18
	v_xor_b32_e32 v17, 1, v17
	v_and_b32_e32 v4, 0x1fffff, v5
	v_add_nc_u32_e32 v5, v4, v18
                                        ; implicit-def: $vgpr4
	v_cmpx_ne_u32_e64 v8, v17
	s_xor_b32 s17, exec_lo, s17
; %bb.8808:                             ;   in Loop: Header=BB4_8749 Depth=3
	v_cmp_lt_u32_e32 vcc_lo, 0xffffff, v5
	v_sub_nc_u32_e32 v4, v8, v17
	v_cndmask_b32_e64 v8, 0, 1, vcc_lo
	v_add_co_ci_u32_e64 v4, null, 0, v4, vcc_lo
	v_lshrrev_b32_e32 v5, v8, v5
; %bb.8809:                             ;   in Loop: Header=BB4_8749 Depth=3
	s_andn2_saveexec_b32 s17, s17
; %bb.8810:                             ;   in Loop: Header=BB4_8749 Depth=3
	v_bfe_u32 v4, v5, 23, 1
; %bb.8811:                             ;   in Loop: Header=BB4_8749 Depth=3
	s_or_b32 exec_lo, exec_lo, s17
	v_lshrrev_b32_e32 v5, 21, v5
	v_min_i32_e32 v8, 31, v4
	v_cmp_gt_i32_e32 vcc_lo, 32, v4
	v_and_b32_sdwa v1, v1, v101 dst_sel:DWORD dst_unused:UNUSED_PAD src0_sel:BYTE_3 src1_sel:DWORD
	v_lshlrev_b32_e32 v8, 2, v8
	v_cndmask_b32_e32 v5, 3, v5, vcc_lo
	v_and_b32_e32 v8, 0xfc, v8
	v_and_b32_e32 v17, 3, v5
	v_or_b32_e32 v4, v4, v5
	v_or3_b32 v1, v1, v8, v17
	v_cmp_ne_u32_e32 vcc_lo, 0, v4
	v_lshlrev_b32_e32 v1, 8, v1
	v_cndmask_b32_e32 v34, 0, v1, vcc_lo
.LBB4_8812:                             ;   in Loop: Header=BB4_8749 Depth=3
	s_or_b32 exec_lo, exec_lo, s75
.LBB4_8813:                             ;   in Loop: Header=BB4_8749 Depth=3
	s_or_b32 exec_lo, exec_lo, s74
	v_cmp_gt_i16_sdwa s74, v9, v100 src0_sel:BYTE_0 src1_sel:DWORD
	s_mov_b32 s17, 0
	s_and_saveexec_b32 s75, s74
	s_xor_b32 s74, exec_lo, s75
	s_cbranch_execz .LBB4_9307
; %bb.8814:                             ;   in Loop: Header=BB4_8749 Depth=3
	v_cmp_eq_u16_sdwa s76, v9, v101 src0_sel:BYTE_0 src1_sel:DWORD
	s_mov_b32 s17, -1
	s_and_saveexec_b32 s75, s76
; %bb.8815:                             ;   in Loop: Header=BB4_8749 Depth=3
	s_xor_b32 s17, exec_lo, -1
; %bb.8816:                             ;   in Loop: Header=BB4_8749 Depth=3
	s_or_b32 exec_lo, exec_lo, s75
	s_and_b32 s17, s17, exec_lo
	s_or_saveexec_b32 s74, s74
	v_mov_b32_e32 v1, 0x7f800001
	s_xor_b32 exec_lo, exec_lo, s74
	s_cbranch_execnz .LBB4_9308
.LBB4_8817:                             ;   in Loop: Header=BB4_8749 Depth=3
	s_or_b32 exec_lo, exec_lo, s74
	s_and_saveexec_b32 s74, s17
	s_cbranch_execz .LBB4_8819
.LBB4_8818:                             ;   in Loop: Header=BB4_8749 Depth=3
	v_and_b32_e32 v1, 3, v9
	v_bfe_u32 v8, v9, 2, 5
	v_lshlrev_b32_e32 v17, 24, v9
	v_ffbh_u32_e32 v4, v1
	v_cmp_eq_u32_e32 vcc_lo, 0, v8
	v_min_u32_e32 v4, 32, v4
	v_subrev_nc_u32_e32 v5, 29, v4
	v_sub_nc_u32_e32 v4, 30, v4
	v_lshlrev_b32_e32 v5, v5, v9
	v_cndmask_b32_e32 v4, v8, v4, vcc_lo
	v_and_b32_e32 v5, 3, v5
	v_lshl_add_u32 v4, v4, 23, 0x37800000
	v_cndmask_b32_e32 v1, v1, v5, vcc_lo
	v_and_b32_e32 v5, 0x80000000, v17
	v_lshlrev_b32_e32 v1, 21, v1
	v_or3_b32 v1, v5, v4, v1
.LBB4_8819:                             ;   in Loop: Header=BB4_8749 Depth=3
	s_or_b32 exec_lo, exec_lo, s74
	v_mul_f32_e32 v1, s73, v1
	v_mov_b32_e32 v83, 0x80
	s_mov_b32 s74, exec_lo
	v_and_b32_e32 v4, 0x7f800000, v1
	v_cmpx_ne_u32_e32 0x7f800000, v4
	s_cbranch_execz .LBB4_8827
; %bb.8820:                             ;   in Loop: Header=BB4_8749 Depth=3
	v_mov_b32_e32 v83, 0
	s_mov_b32 s75, exec_lo
	v_cmpx_ne_u32_e32 0, v1
	s_cbranch_execz .LBB4_8826
; %bb.8821:                             ;   in Loop: Header=BB4_8749 Depth=3
	v_bfe_u32 v4, v1, 23, 8
	v_and_b32_e32 v5, 0x7fffff, v1
	v_sub_nc_u32_e32 v8, 0x70, v4
	v_cmp_gt_u32_e32 vcc_lo, 0x71, v4
	v_or_b32_e32 v17, 0x800000, v5
	v_cndmask_b32_e32 v8, 0, v8, vcc_lo
	v_cmp_eq_u32_e32 vcc_lo, 0, v4
	v_add_nc_u32_e32 v4, 0xffffff91, v4
	v_cndmask_b32_e64 v8, v8, 0x6f, vcc_lo
	v_cndmask_b32_e32 v5, v17, v5, vcc_lo
	v_cndmask_b32_e64 v4, v4, 0xffffff92, vcc_lo
	v_lshl_add_u32 v17, 0x200000, v8, -1
	v_lshrrev_b32_e32 v18, v8, v5
	v_lshlrev_b32_e64 v21, v8, 0x100000
	v_add_nc_u32_e32 v8, v8, v4
	v_and_b32_e32 v5, v17, v5
	v_bfe_u32 v20, v18, 21, 1
	v_cmp_eq_u32_e64 s17, v5, v21
	v_add_nc_u32_e32 v17, -1, v20
	v_cndmask_b32_e64 v5, 0, v17, s17
	v_lshrrev_b32_e32 v17, 23, v18
	s_mov_b32 s17, exec_lo
	v_add_nc_u32_e32 v5, v5, v18
	v_xor_b32_e32 v17, 1, v17
	v_and_b32_e32 v4, 0x1fffff, v5
	v_add_nc_u32_e32 v5, v4, v18
                                        ; implicit-def: $vgpr4
	v_cmpx_ne_u32_e64 v8, v17
	s_xor_b32 s17, exec_lo, s17
; %bb.8822:                             ;   in Loop: Header=BB4_8749 Depth=3
	v_cmp_lt_u32_e32 vcc_lo, 0xffffff, v5
	v_sub_nc_u32_e32 v4, v8, v17
	v_cndmask_b32_e64 v8, 0, 1, vcc_lo
	v_add_co_ci_u32_e64 v4, null, 0, v4, vcc_lo
	v_lshrrev_b32_e32 v5, v8, v5
; %bb.8823:                             ;   in Loop: Header=BB4_8749 Depth=3
	s_andn2_saveexec_b32 s17, s17
; %bb.8824:                             ;   in Loop: Header=BB4_8749 Depth=3
	v_bfe_u32 v4, v5, 23, 1
; %bb.8825:                             ;   in Loop: Header=BB4_8749 Depth=3
	s_or_b32 exec_lo, exec_lo, s17
	v_lshrrev_b32_e32 v5, 21, v5
	v_min_i32_e32 v8, 31, v4
	v_cmp_gt_i32_e32 vcc_lo, 32, v4
	v_and_b32_sdwa v1, v1, v101 dst_sel:DWORD dst_unused:UNUSED_PAD src0_sel:BYTE_3 src1_sel:DWORD
	v_lshlrev_b32_e32 v8, 2, v8
	v_cndmask_b32_e32 v5, 3, v5, vcc_lo
	v_and_b32_e32 v8, 0xfc, v8
	v_and_b32_e32 v17, 3, v5
	v_or_b32_e32 v4, v4, v5
	v_or3_b32 v1, v8, v1, v17
	v_cmp_ne_u32_e32 vcc_lo, 0, v4
	v_cndmask_b32_e32 v83, 0, v1, vcc_lo
.LBB4_8826:                             ;   in Loop: Header=BB4_8749 Depth=3
	s_or_b32 exec_lo, exec_lo, s75
.LBB4_8827:                             ;   in Loop: Header=BB4_8749 Depth=3
	s_or_b32 exec_lo, exec_lo, s74
	v_cmp_gt_i16_sdwa s74, v9, v100 src0_sel:BYTE_1 src1_sel:DWORD
	s_mov_b32 s17, 0
	s_and_saveexec_b32 s75, s74
	s_xor_b32 s74, exec_lo, s75
	s_cbranch_execz .LBB4_9309
; %bb.8828:                             ;   in Loop: Header=BB4_8749 Depth=3
	v_cmp_eq_u16_sdwa s76, v9, v101 src0_sel:BYTE_1 src1_sel:DWORD
	s_mov_b32 s17, -1
	s_and_saveexec_b32 s75, s76
; %bb.8829:                             ;   in Loop: Header=BB4_8749 Depth=3
	s_xor_b32 s17, exec_lo, -1
; %bb.8830:                             ;   in Loop: Header=BB4_8749 Depth=3
	s_or_b32 exec_lo, exec_lo, s75
	s_and_b32 s17, s17, exec_lo
	s_or_saveexec_b32 s74, s74
	v_mov_b32_e32 v1, 0x7f800001
	s_xor_b32 exec_lo, exec_lo, s74
	s_cbranch_execnz .LBB4_9310
.LBB4_8831:                             ;   in Loop: Header=BB4_8749 Depth=3
	s_or_b32 exec_lo, exec_lo, s74
	s_and_saveexec_b32 s74, s17
	s_cbranch_execz .LBB4_8833
.LBB4_8832:                             ;   in Loop: Header=BB4_8749 Depth=3
	v_and_b32_sdwa v1, v102, v9 dst_sel:DWORD dst_unused:UNUSED_PAD src0_sel:DWORD src1_sel:BYTE_1
	v_and_b32_e32 v4, 3, v1
	v_bfe_u32 v17, v1, 2, 5
	v_ffbh_u32_e32 v5, v4
	v_cmp_eq_u32_e32 vcc_lo, 0, v17
	v_min_u32_e32 v5, 32, v5
	v_subrev_nc_u32_e32 v8, 29, v5
	v_sub_nc_u32_e32 v5, 30, v5
	v_lshlrev_b32_e32 v1, v8, v1
	v_lshlrev_b32_sdwa v8, v103, v9 dst_sel:DWORD dst_unused:UNUSED_PAD src0_sel:DWORD src1_sel:BYTE_1
	v_cndmask_b32_e32 v5, v17, v5, vcc_lo
	v_and_b32_e32 v1, 3, v1
	v_lshl_add_u32 v5, v5, 23, 0x37800000
	v_cndmask_b32_e32 v1, v4, v1, vcc_lo
	v_and_b32_e32 v4, 0x80000000, v8
	v_lshlrev_b32_e32 v1, 21, v1
	v_or3_b32 v1, v4, v5, v1
.LBB4_8833:                             ;   in Loop: Header=BB4_8749 Depth=3
	s_or_b32 exec_lo, exec_lo, s74
	v_mul_f32_e32 v1, s73, v1
	v_mov_b32_e32 v63, 0x8000
	s_mov_b32 s74, exec_lo
	v_and_b32_e32 v4, 0x7f800000, v1
	v_cmpx_ne_u32_e32 0x7f800000, v4
	s_cbranch_execz .LBB4_8841
; %bb.8834:                             ;   in Loop: Header=BB4_8749 Depth=3
	v_mov_b32_e32 v63, 0
	s_mov_b32 s75, exec_lo
	v_cmpx_ne_u32_e32 0, v1
	s_cbranch_execz .LBB4_8840
; %bb.8835:                             ;   in Loop: Header=BB4_8749 Depth=3
	v_bfe_u32 v4, v1, 23, 8
	v_and_b32_e32 v5, 0x7fffff, v1
	v_sub_nc_u32_e32 v8, 0x70, v4
	v_cmp_gt_u32_e32 vcc_lo, 0x71, v4
	v_or_b32_e32 v17, 0x800000, v5
	v_cndmask_b32_e32 v8, 0, v8, vcc_lo
	v_cmp_eq_u32_e32 vcc_lo, 0, v4
	v_add_nc_u32_e32 v4, 0xffffff91, v4
	v_cndmask_b32_e64 v8, v8, 0x6f, vcc_lo
	v_cndmask_b32_e32 v5, v17, v5, vcc_lo
	v_cndmask_b32_e64 v4, v4, 0xffffff92, vcc_lo
	v_lshl_add_u32 v17, 0x200000, v8, -1
	v_lshrrev_b32_e32 v18, v8, v5
	v_lshlrev_b32_e64 v21, v8, 0x100000
	v_add_nc_u32_e32 v8, v8, v4
	v_and_b32_e32 v5, v17, v5
	v_bfe_u32 v20, v18, 21, 1
	v_cmp_eq_u32_e64 s17, v5, v21
	v_add_nc_u32_e32 v17, -1, v20
	v_cndmask_b32_e64 v5, 0, v17, s17
	v_lshrrev_b32_e32 v17, 23, v18
	s_mov_b32 s17, exec_lo
	v_add_nc_u32_e32 v5, v5, v18
	v_xor_b32_e32 v17, 1, v17
	v_and_b32_e32 v4, 0x1fffff, v5
	v_add_nc_u32_e32 v5, v4, v18
                                        ; implicit-def: $vgpr4
	v_cmpx_ne_u32_e64 v8, v17
	s_xor_b32 s17, exec_lo, s17
; %bb.8836:                             ;   in Loop: Header=BB4_8749 Depth=3
	v_cmp_lt_u32_e32 vcc_lo, 0xffffff, v5
	v_sub_nc_u32_e32 v4, v8, v17
	v_cndmask_b32_e64 v8, 0, 1, vcc_lo
	v_add_co_ci_u32_e64 v4, null, 0, v4, vcc_lo
	v_lshrrev_b32_e32 v5, v8, v5
; %bb.8837:                             ;   in Loop: Header=BB4_8749 Depth=3
	s_andn2_saveexec_b32 s17, s17
; %bb.8838:                             ;   in Loop: Header=BB4_8749 Depth=3
	v_bfe_u32 v4, v5, 23, 1
; %bb.8839:                             ;   in Loop: Header=BB4_8749 Depth=3
	s_or_b32 exec_lo, exec_lo, s17
	v_lshrrev_b32_e32 v5, 21, v5
	v_min_i32_e32 v8, 31, v4
	v_cmp_gt_i32_e32 vcc_lo, 32, v4
	v_and_b32_sdwa v1, v1, v101 dst_sel:DWORD dst_unused:UNUSED_PAD src0_sel:BYTE_3 src1_sel:DWORD
	v_lshlrev_b32_e32 v8, 2, v8
	v_cndmask_b32_e32 v5, 3, v5, vcc_lo
	v_and_b32_e32 v8, 0xfc, v8
	v_and_b32_e32 v17, 3, v5
	v_or_b32_e32 v4, v4, v5
	v_or3_b32 v1, v1, v8, v17
	v_cmp_ne_u32_e32 vcc_lo, 0, v4
	v_lshlrev_b32_e32 v1, 8, v1
	v_cndmask_b32_e32 v63, 0, v1, vcc_lo
.LBB4_8840:                             ;   in Loop: Header=BB4_8749 Depth=3
	s_or_b32 exec_lo, exec_lo, s75
.LBB4_8841:                             ;   in Loop: Header=BB4_8749 Depth=3
	s_or_b32 exec_lo, exec_lo, s74
	v_and_b32_sdwa v4, v9, v112 dst_sel:DWORD dst_unused:UNUSED_PAD src0_sel:WORD_1 src1_sel:DWORD
	s_mov_b32 s17, 0
	s_mov_b32 s74, exec_lo
	v_cmpx_lt_i16_e32 0x7f, v4
	s_xor_b32 s74, exec_lo, s74
	s_cbranch_execz .LBB4_9311
; %bb.8842:                             ;   in Loop: Header=BB4_8749 Depth=3
	s_mov_b32 s17, -1
	s_mov_b32 s75, exec_lo
	v_cmpx_eq_u16_e32 0x80, v4
; %bb.8843:                             ;   in Loop: Header=BB4_8749 Depth=3
	s_xor_b32 s17, exec_lo, -1
; %bb.8844:                             ;   in Loop: Header=BB4_8749 Depth=3
	s_or_b32 exec_lo, exec_lo, s75
	s_and_b32 s17, s17, exec_lo
                                        ; implicit-def: $vgpr4
	s_or_saveexec_b32 s74, s74
	v_mov_b32_e32 v1, 0x7f800001
	s_xor_b32 exec_lo, exec_lo, s74
	s_cbranch_execnz .LBB4_9312
.LBB4_8845:                             ;   in Loop: Header=BB4_8749 Depth=3
	s_or_b32 exec_lo, exec_lo, s74
	s_and_saveexec_b32 s74, s17
	s_cbranch_execz .LBB4_8847
.LBB4_8846:                             ;   in Loop: Header=BB4_8749 Depth=3
	v_bfe_u32 v1, v9, 16, 2
	v_bfe_u32 v8, v9, 18, 5
	v_lshlrev_b32_e32 v17, 8, v9
	v_ffbh_u32_e32 v4, v1
	v_cmp_eq_u32_e32 vcc_lo, 0, v8
	v_min_u32_e32 v4, 32, v4
	v_subrev_nc_u32_e32 v5, 29, v4
	v_sub_nc_u32_e32 v4, 30, v4
	v_lshlrev_b32_sdwa v5, v5, v9 dst_sel:DWORD dst_unused:UNUSED_PAD src0_sel:DWORD src1_sel:WORD_1
	v_cndmask_b32_e32 v4, v8, v4, vcc_lo
	v_and_b32_e32 v5, 3, v5
	v_lshl_add_u32 v4, v4, 23, 0x37800000
	v_cndmask_b32_e32 v1, v1, v5, vcc_lo
	v_and_b32_e32 v5, 0x80000000, v17
	v_lshlrev_b32_e32 v1, 21, v1
	v_or3_b32 v1, v5, v4, v1
.LBB4_8847:                             ;   in Loop: Header=BB4_8749 Depth=3
	s_or_b32 exec_lo, exec_lo, s74
	v_mul_f32_e32 v1, s73, v1
	v_mov_b32_e32 v37, 0x80
	s_mov_b32 s74, exec_lo
	v_and_b32_e32 v4, 0x7f800000, v1
	v_cmpx_ne_u32_e32 0x7f800000, v4
	s_cbranch_execz .LBB4_8855
; %bb.8848:                             ;   in Loop: Header=BB4_8749 Depth=3
	v_mov_b32_e32 v37, 0
	s_mov_b32 s75, exec_lo
	v_cmpx_ne_u32_e32 0, v1
	s_cbranch_execz .LBB4_8854
; %bb.8849:                             ;   in Loop: Header=BB4_8749 Depth=3
	v_bfe_u32 v4, v1, 23, 8
	v_and_b32_e32 v5, 0x7fffff, v1
	v_sub_nc_u32_e32 v8, 0x70, v4
	v_cmp_gt_u32_e32 vcc_lo, 0x71, v4
	v_or_b32_e32 v17, 0x800000, v5
	v_cndmask_b32_e32 v8, 0, v8, vcc_lo
	v_cmp_eq_u32_e32 vcc_lo, 0, v4
	v_add_nc_u32_e32 v4, 0xffffff91, v4
	v_cndmask_b32_e64 v8, v8, 0x6f, vcc_lo
	v_cndmask_b32_e32 v5, v17, v5, vcc_lo
	v_cndmask_b32_e64 v4, v4, 0xffffff92, vcc_lo
	v_lshl_add_u32 v17, 0x200000, v8, -1
	v_lshrrev_b32_e32 v18, v8, v5
	v_lshlrev_b32_e64 v21, v8, 0x100000
	v_add_nc_u32_e32 v8, v8, v4
	v_and_b32_e32 v5, v17, v5
	v_bfe_u32 v20, v18, 21, 1
	v_cmp_eq_u32_e64 s17, v5, v21
	v_add_nc_u32_e32 v17, -1, v20
	v_cndmask_b32_e64 v5, 0, v17, s17
	v_lshrrev_b32_e32 v17, 23, v18
	s_mov_b32 s17, exec_lo
	v_add_nc_u32_e32 v5, v5, v18
	v_xor_b32_e32 v17, 1, v17
	v_and_b32_e32 v4, 0x1fffff, v5
	v_add_nc_u32_e32 v5, v4, v18
                                        ; implicit-def: $vgpr4
	v_cmpx_ne_u32_e64 v8, v17
	s_xor_b32 s17, exec_lo, s17
; %bb.8850:                             ;   in Loop: Header=BB4_8749 Depth=3
	v_cmp_lt_u32_e32 vcc_lo, 0xffffff, v5
	v_sub_nc_u32_e32 v4, v8, v17
	v_cndmask_b32_e64 v8, 0, 1, vcc_lo
	v_add_co_ci_u32_e64 v4, null, 0, v4, vcc_lo
	v_lshrrev_b32_e32 v5, v8, v5
; %bb.8851:                             ;   in Loop: Header=BB4_8749 Depth=3
	s_andn2_saveexec_b32 s17, s17
; %bb.8852:                             ;   in Loop: Header=BB4_8749 Depth=3
	v_bfe_u32 v4, v5, 23, 1
; %bb.8853:                             ;   in Loop: Header=BB4_8749 Depth=3
	s_or_b32 exec_lo, exec_lo, s17
	v_lshrrev_b32_e32 v5, 21, v5
	v_min_i32_e32 v8, 31, v4
	v_cmp_gt_i32_e32 vcc_lo, 32, v4
	v_and_b32_sdwa v1, v1, v101 dst_sel:DWORD dst_unused:UNUSED_PAD src0_sel:BYTE_3 src1_sel:DWORD
	v_lshlrev_b32_e32 v8, 2, v8
	v_cndmask_b32_e32 v5, 3, v5, vcc_lo
	v_and_b32_e32 v8, 0xfc, v8
	v_and_b32_e32 v17, 3, v5
	v_or_b32_e32 v4, v4, v5
	v_or3_b32 v1, v8, v1, v17
	v_cmp_ne_u32_e32 vcc_lo, 0, v4
	v_cndmask_b32_e32 v37, 0, v1, vcc_lo
.LBB4_8854:                             ;   in Loop: Header=BB4_8749 Depth=3
	s_or_b32 exec_lo, exec_lo, s75
.LBB4_8855:                             ;   in Loop: Header=BB4_8749 Depth=3
	s_or_b32 exec_lo, exec_lo, s74
	v_cmp_gt_i16_sdwa s74, v9, v100 src0_sel:BYTE_3 src1_sel:DWORD
	s_mov_b32 s17, 0
	s_and_saveexec_b32 s75, s74
	s_xor_b32 s74, exec_lo, s75
	s_cbranch_execz .LBB4_9313
; %bb.8856:                             ;   in Loop: Header=BB4_8749 Depth=3
	v_cmp_eq_u16_sdwa s76, v9, v101 src0_sel:BYTE_3 src1_sel:DWORD
	s_mov_b32 s17, -1
	s_and_saveexec_b32 s75, s76
; %bb.8857:                             ;   in Loop: Header=BB4_8749 Depth=3
	s_xor_b32 s17, exec_lo, -1
; %bb.8858:                             ;   in Loop: Header=BB4_8749 Depth=3
	s_or_b32 exec_lo, exec_lo, s75
	s_and_b32 s17, s17, exec_lo
	s_or_saveexec_b32 s74, s74
	v_mov_b32_e32 v1, 0x7f800001
	s_xor_b32 exec_lo, exec_lo, s74
	s_cbranch_execnz .LBB4_9314
.LBB4_8859:                             ;   in Loop: Header=BB4_8749 Depth=3
	s_or_b32 exec_lo, exec_lo, s74
	s_and_saveexec_b32 s74, s17
	s_cbranch_execz .LBB4_8861
.LBB4_8860:                             ;   in Loop: Header=BB4_8749 Depth=3
	v_bfe_u32 v1, v9, 24, 2
	v_bfe_u32 v8, v9, 26, 5
	v_ffbh_u32_e32 v4, v1
	v_cmp_eq_u32_e32 vcc_lo, 0, v8
	v_min_u32_e32 v4, 32, v4
	v_subrev_nc_u32_e32 v5, 29, v4
	v_sub_nc_u32_e32 v4, 30, v4
	v_lshlrev_b32_sdwa v5, v5, v9 dst_sel:DWORD dst_unused:UNUSED_PAD src0_sel:DWORD src1_sel:BYTE_3
	v_cndmask_b32_e32 v4, v8, v4, vcc_lo
	v_and_b32_e32 v5, 3, v5
	v_lshl_add_u32 v4, v4, 23, 0x37800000
	v_cndmask_b32_e32 v1, v1, v5, vcc_lo
	v_and_b32_e32 v5, 0x80000000, v9
	v_lshlrev_b32_e32 v1, 21, v1
	v_or3_b32 v1, v5, v4, v1
.LBB4_8861:                             ;   in Loop: Header=BB4_8749 Depth=3
	s_or_b32 exec_lo, exec_lo, s74
	v_mul_f32_e32 v1, s73, v1
	v_mov_b32_e32 v62, 0x8000
	s_mov_b32 s74, exec_lo
	v_and_b32_e32 v4, 0x7f800000, v1
	v_cmpx_ne_u32_e32 0x7f800000, v4
	s_cbranch_execz .LBB4_8869
; %bb.8862:                             ;   in Loop: Header=BB4_8749 Depth=3
	v_mov_b32_e32 v62, 0
	s_mov_b32 s75, exec_lo
	v_cmpx_ne_u32_e32 0, v1
	s_cbranch_execz .LBB4_8868
; %bb.8863:                             ;   in Loop: Header=BB4_8749 Depth=3
	v_bfe_u32 v4, v1, 23, 8
	v_and_b32_e32 v5, 0x7fffff, v1
	v_sub_nc_u32_e32 v8, 0x70, v4
	v_cmp_gt_u32_e32 vcc_lo, 0x71, v4
	v_or_b32_e32 v9, 0x800000, v5
	v_cndmask_b32_e32 v8, 0, v8, vcc_lo
	v_cmp_eq_u32_e32 vcc_lo, 0, v4
	v_add_nc_u32_e32 v4, 0xffffff91, v4
	v_cndmask_b32_e64 v8, v8, 0x6f, vcc_lo
	v_cndmask_b32_e32 v5, v9, v5, vcc_lo
	v_cndmask_b32_e64 v4, v4, 0xffffff92, vcc_lo
	v_lshl_add_u32 v9, 0x200000, v8, -1
	v_lshrrev_b32_e32 v17, v8, v5
	v_lshlrev_b32_e64 v20, v8, 0x100000
	v_add_nc_u32_e32 v8, v8, v4
	v_and_b32_e32 v5, v9, v5
	v_bfe_u32 v18, v17, 21, 1
	v_cmp_eq_u32_e64 s17, v5, v20
	v_add_nc_u32_e32 v9, -1, v18
	v_cndmask_b32_e64 v5, 0, v9, s17
	v_lshrrev_b32_e32 v9, 23, v17
	s_mov_b32 s17, exec_lo
	v_add_nc_u32_e32 v5, v5, v17
	v_xor_b32_e32 v9, 1, v9
	v_and_b32_e32 v4, 0x1fffff, v5
	v_add_nc_u32_e32 v5, v4, v17
                                        ; implicit-def: $vgpr4
	v_cmpx_ne_u32_e64 v8, v9
	s_xor_b32 s17, exec_lo, s17
; %bb.8864:                             ;   in Loop: Header=BB4_8749 Depth=3
	v_cmp_lt_u32_e32 vcc_lo, 0xffffff, v5
	v_sub_nc_u32_e32 v4, v8, v9
	v_cndmask_b32_e64 v8, 0, 1, vcc_lo
	v_add_co_ci_u32_e64 v4, null, 0, v4, vcc_lo
	v_lshrrev_b32_e32 v5, v8, v5
; %bb.8865:                             ;   in Loop: Header=BB4_8749 Depth=3
	s_andn2_saveexec_b32 s17, s17
; %bb.8866:                             ;   in Loop: Header=BB4_8749 Depth=3
	v_bfe_u32 v4, v5, 23, 1
; %bb.8867:                             ;   in Loop: Header=BB4_8749 Depth=3
	s_or_b32 exec_lo, exec_lo, s17
	v_lshrrev_b32_e32 v5, 21, v5
	v_min_i32_e32 v8, 31, v4
	v_cmp_gt_i32_e32 vcc_lo, 32, v4
	v_and_b32_sdwa v1, v1, v101 dst_sel:DWORD dst_unused:UNUSED_PAD src0_sel:BYTE_3 src1_sel:DWORD
	v_lshlrev_b32_e32 v8, 2, v8
	v_cndmask_b32_e32 v5, 3, v5, vcc_lo
	v_and_b32_e32 v8, 0xfc, v8
	v_and_b32_e32 v9, 3, v5
	v_or_b32_e32 v4, v4, v5
	v_or3_b32 v1, v1, v8, v9
	v_cmp_ne_u32_e32 vcc_lo, 0, v4
	v_lshlrev_b32_e32 v1, 8, v1
	v_cndmask_b32_e32 v62, 0, v1, vcc_lo
.LBB4_8868:                             ;   in Loop: Header=BB4_8749 Depth=3
	s_or_b32 exec_lo, exec_lo, s75
.LBB4_8869:                             ;   in Loop: Header=BB4_8749 Depth=3
	s_or_b32 exec_lo, exec_lo, s74
	v_cmp_gt_i16_sdwa s74, v10, v100 src0_sel:BYTE_0 src1_sel:DWORD
	s_mov_b32 s17, 0
	s_and_saveexec_b32 s75, s74
	s_xor_b32 s74, exec_lo, s75
	s_cbranch_execz .LBB4_9315
; %bb.8870:                             ;   in Loop: Header=BB4_8749 Depth=3
	v_cmp_eq_u16_sdwa s76, v10, v101 src0_sel:BYTE_0 src1_sel:DWORD
	s_mov_b32 s17, -1
	s_and_saveexec_b32 s75, s76
; %bb.8871:                             ;   in Loop: Header=BB4_8749 Depth=3
	s_xor_b32 s17, exec_lo, -1
; %bb.8872:                             ;   in Loop: Header=BB4_8749 Depth=3
	s_or_b32 exec_lo, exec_lo, s75
	s_and_b32 s17, s17, exec_lo
	s_or_saveexec_b32 s74, s74
	v_mov_b32_e32 v1, 0x7f800001
	s_xor_b32 exec_lo, exec_lo, s74
	s_cbranch_execnz .LBB4_9316
.LBB4_8873:                             ;   in Loop: Header=BB4_8749 Depth=3
	s_or_b32 exec_lo, exec_lo, s74
	s_and_saveexec_b32 s74, s17
	s_cbranch_execz .LBB4_8875
.LBB4_8874:                             ;   in Loop: Header=BB4_8749 Depth=3
	v_and_b32_e32 v1, 3, v10
	v_bfe_u32 v8, v10, 2, 5
	v_lshlrev_b32_e32 v9, 24, v10
	v_ffbh_u32_e32 v4, v1
	v_cmp_eq_u32_e32 vcc_lo, 0, v8
	v_min_u32_e32 v4, 32, v4
	v_subrev_nc_u32_e32 v5, 29, v4
	v_sub_nc_u32_e32 v4, 30, v4
	v_lshlrev_b32_e32 v5, v5, v10
	v_cndmask_b32_e32 v4, v8, v4, vcc_lo
	v_and_b32_e32 v5, 3, v5
	v_lshl_add_u32 v4, v4, 23, 0x37800000
	v_cndmask_b32_e32 v1, v1, v5, vcc_lo
	v_and_b32_e32 v5, 0x80000000, v9
	v_lshlrev_b32_e32 v1, 21, v1
	v_or3_b32 v1, v5, v4, v1
.LBB4_8875:                             ;   in Loop: Header=BB4_8749 Depth=3
	s_or_b32 exec_lo, exec_lo, s74
	v_mul_f32_e32 v1, s73, v1
	v_mov_b32_e32 v21, 0x80
	s_mov_b32 s74, exec_lo
	v_and_b32_e32 v4, 0x7f800000, v1
	v_cmpx_ne_u32_e32 0x7f800000, v4
	s_cbranch_execz .LBB4_8883
; %bb.8876:                             ;   in Loop: Header=BB4_8749 Depth=3
	v_mov_b32_e32 v21, 0
	s_mov_b32 s75, exec_lo
	v_cmpx_ne_u32_e32 0, v1
	s_cbranch_execz .LBB4_8882
; %bb.8877:                             ;   in Loop: Header=BB4_8749 Depth=3
	v_bfe_u32 v4, v1, 23, 8
	v_and_b32_e32 v5, 0x7fffff, v1
	v_sub_nc_u32_e32 v8, 0x70, v4
	v_cmp_gt_u32_e32 vcc_lo, 0x71, v4
	v_or_b32_e32 v9, 0x800000, v5
	v_cndmask_b32_e32 v8, 0, v8, vcc_lo
	v_cmp_eq_u32_e32 vcc_lo, 0, v4
	v_add_nc_u32_e32 v4, 0xffffff91, v4
	v_cndmask_b32_e64 v8, v8, 0x6f, vcc_lo
	v_cndmask_b32_e32 v5, v9, v5, vcc_lo
	v_cndmask_b32_e64 v4, v4, 0xffffff92, vcc_lo
	v_lshl_add_u32 v9, 0x200000, v8, -1
	v_lshrrev_b32_e32 v17, v8, v5
	v_lshlrev_b32_e64 v20, v8, 0x100000
	v_add_nc_u32_e32 v8, v8, v4
	v_and_b32_e32 v5, v9, v5
	v_bfe_u32 v18, v17, 21, 1
	v_cmp_eq_u32_e64 s17, v5, v20
	v_add_nc_u32_e32 v9, -1, v18
	v_cndmask_b32_e64 v5, 0, v9, s17
	v_lshrrev_b32_e32 v9, 23, v17
	s_mov_b32 s17, exec_lo
	v_add_nc_u32_e32 v5, v5, v17
	v_xor_b32_e32 v9, 1, v9
	v_and_b32_e32 v4, 0x1fffff, v5
	v_add_nc_u32_e32 v5, v4, v17
                                        ; implicit-def: $vgpr4
	v_cmpx_ne_u32_e64 v8, v9
	s_xor_b32 s17, exec_lo, s17
; %bb.8878:                             ;   in Loop: Header=BB4_8749 Depth=3
	v_cmp_lt_u32_e32 vcc_lo, 0xffffff, v5
	v_sub_nc_u32_e32 v4, v8, v9
	v_cndmask_b32_e64 v8, 0, 1, vcc_lo
	v_add_co_ci_u32_e64 v4, null, 0, v4, vcc_lo
	v_lshrrev_b32_e32 v5, v8, v5
; %bb.8879:                             ;   in Loop: Header=BB4_8749 Depth=3
	s_andn2_saveexec_b32 s17, s17
; %bb.8880:                             ;   in Loop: Header=BB4_8749 Depth=3
	v_bfe_u32 v4, v5, 23, 1
; %bb.8881:                             ;   in Loop: Header=BB4_8749 Depth=3
	s_or_b32 exec_lo, exec_lo, s17
	v_lshrrev_b32_e32 v5, 21, v5
	v_min_i32_e32 v8, 31, v4
	v_cmp_gt_i32_e32 vcc_lo, 32, v4
	v_and_b32_sdwa v1, v1, v101 dst_sel:DWORD dst_unused:UNUSED_PAD src0_sel:BYTE_3 src1_sel:DWORD
	v_lshlrev_b32_e32 v8, 2, v8
	v_cndmask_b32_e32 v5, 3, v5, vcc_lo
	v_and_b32_e32 v8, 0xfc, v8
	v_and_b32_e32 v9, 3, v5
	v_or_b32_e32 v4, v4, v5
	v_or3_b32 v1, v8, v1, v9
	v_cmp_ne_u32_e32 vcc_lo, 0, v4
	v_cndmask_b32_e32 v21, 0, v1, vcc_lo
.LBB4_8882:                             ;   in Loop: Header=BB4_8749 Depth=3
	s_or_b32 exec_lo, exec_lo, s75
.LBB4_8883:                             ;   in Loop: Header=BB4_8749 Depth=3
	s_or_b32 exec_lo, exec_lo, s74
	v_cmp_gt_i16_sdwa s74, v10, v100 src0_sel:BYTE_1 src1_sel:DWORD
	s_mov_b32 s17, 0
	s_and_saveexec_b32 s75, s74
	s_xor_b32 s74, exec_lo, s75
	s_cbranch_execz .LBB4_9317
; %bb.8884:                             ;   in Loop: Header=BB4_8749 Depth=3
	v_cmp_eq_u16_sdwa s76, v10, v101 src0_sel:BYTE_1 src1_sel:DWORD
	s_mov_b32 s17, -1
	s_and_saveexec_b32 s75, s76
; %bb.8885:                             ;   in Loop: Header=BB4_8749 Depth=3
	s_xor_b32 s17, exec_lo, -1
; %bb.8886:                             ;   in Loop: Header=BB4_8749 Depth=3
	s_or_b32 exec_lo, exec_lo, s75
	s_and_b32 s17, s17, exec_lo
	s_or_saveexec_b32 s74, s74
	v_mov_b32_e32 v1, 0x7f800001
	s_xor_b32 exec_lo, exec_lo, s74
	s_cbranch_execnz .LBB4_9318
.LBB4_8887:                             ;   in Loop: Header=BB4_8749 Depth=3
	s_or_b32 exec_lo, exec_lo, s74
	s_and_saveexec_b32 s74, s17
	s_cbranch_execz .LBB4_8889
.LBB4_8888:                             ;   in Loop: Header=BB4_8749 Depth=3
	v_and_b32_sdwa v1, v102, v10 dst_sel:DWORD dst_unused:UNUSED_PAD src0_sel:DWORD src1_sel:BYTE_1
	v_and_b32_e32 v4, 3, v1
	v_bfe_u32 v9, v1, 2, 5
	v_ffbh_u32_e32 v5, v4
	v_cmp_eq_u32_e32 vcc_lo, 0, v9
	v_min_u32_e32 v5, 32, v5
	v_subrev_nc_u32_e32 v8, 29, v5
	v_sub_nc_u32_e32 v5, 30, v5
	v_lshlrev_b32_e32 v1, v8, v1
	v_lshlrev_b32_sdwa v8, v103, v10 dst_sel:DWORD dst_unused:UNUSED_PAD src0_sel:DWORD src1_sel:BYTE_1
	v_cndmask_b32_e32 v5, v9, v5, vcc_lo
	v_and_b32_e32 v1, 3, v1
	v_lshl_add_u32 v5, v5, 23, 0x37800000
	v_cndmask_b32_e32 v1, v4, v1, vcc_lo
	v_and_b32_e32 v4, 0x80000000, v8
	v_lshlrev_b32_e32 v1, 21, v1
	v_or3_b32 v1, v4, v5, v1
.LBB4_8889:                             ;   in Loop: Header=BB4_8749 Depth=3
	s_or_b32 exec_lo, exec_lo, s74
	v_mul_f32_e32 v1, s73, v1
	v_mov_b32_e32 v82, 0x8000
	s_mov_b32 s74, exec_lo
	v_and_b32_e32 v4, 0x7f800000, v1
	v_cmpx_ne_u32_e32 0x7f800000, v4
	s_cbranch_execz .LBB4_8897
; %bb.8890:                             ;   in Loop: Header=BB4_8749 Depth=3
	v_mov_b32_e32 v82, 0
	s_mov_b32 s75, exec_lo
	v_cmpx_ne_u32_e32 0, v1
	s_cbranch_execz .LBB4_8896
; %bb.8891:                             ;   in Loop: Header=BB4_8749 Depth=3
	v_bfe_u32 v4, v1, 23, 8
	v_and_b32_e32 v5, 0x7fffff, v1
	v_sub_nc_u32_e32 v8, 0x70, v4
	v_cmp_gt_u32_e32 vcc_lo, 0x71, v4
	v_or_b32_e32 v9, 0x800000, v5
	v_cndmask_b32_e32 v8, 0, v8, vcc_lo
	v_cmp_eq_u32_e32 vcc_lo, 0, v4
	v_add_nc_u32_e32 v4, 0xffffff91, v4
	v_cndmask_b32_e64 v8, v8, 0x6f, vcc_lo
	v_cndmask_b32_e32 v5, v9, v5, vcc_lo
	v_cndmask_b32_e64 v4, v4, 0xffffff92, vcc_lo
	v_lshl_add_u32 v9, 0x200000, v8, -1
	v_lshrrev_b32_e32 v17, v8, v5
	v_lshlrev_b32_e64 v20, v8, 0x100000
	v_add_nc_u32_e32 v8, v8, v4
	v_and_b32_e32 v5, v9, v5
	v_bfe_u32 v18, v17, 21, 1
	v_cmp_eq_u32_e64 s17, v5, v20
	v_add_nc_u32_e32 v9, -1, v18
	v_cndmask_b32_e64 v5, 0, v9, s17
	v_lshrrev_b32_e32 v9, 23, v17
	s_mov_b32 s17, exec_lo
	v_add_nc_u32_e32 v5, v5, v17
	v_xor_b32_e32 v9, 1, v9
	v_and_b32_e32 v4, 0x1fffff, v5
	v_add_nc_u32_e32 v5, v4, v17
                                        ; implicit-def: $vgpr4
	v_cmpx_ne_u32_e64 v8, v9
	s_xor_b32 s17, exec_lo, s17
; %bb.8892:                             ;   in Loop: Header=BB4_8749 Depth=3
	v_cmp_lt_u32_e32 vcc_lo, 0xffffff, v5
	v_sub_nc_u32_e32 v4, v8, v9
	v_cndmask_b32_e64 v8, 0, 1, vcc_lo
	v_add_co_ci_u32_e64 v4, null, 0, v4, vcc_lo
	v_lshrrev_b32_e32 v5, v8, v5
; %bb.8893:                             ;   in Loop: Header=BB4_8749 Depth=3
	s_andn2_saveexec_b32 s17, s17
; %bb.8894:                             ;   in Loop: Header=BB4_8749 Depth=3
	v_bfe_u32 v4, v5, 23, 1
; %bb.8895:                             ;   in Loop: Header=BB4_8749 Depth=3
	s_or_b32 exec_lo, exec_lo, s17
	v_lshrrev_b32_e32 v5, 21, v5
	v_min_i32_e32 v8, 31, v4
	v_cmp_gt_i32_e32 vcc_lo, 32, v4
	v_and_b32_sdwa v1, v1, v101 dst_sel:DWORD dst_unused:UNUSED_PAD src0_sel:BYTE_3 src1_sel:DWORD
	v_lshlrev_b32_e32 v8, 2, v8
	v_cndmask_b32_e32 v5, 3, v5, vcc_lo
	v_and_b32_e32 v8, 0xfc, v8
	v_and_b32_e32 v9, 3, v5
	v_or_b32_e32 v4, v4, v5
	v_or3_b32 v1, v1, v8, v9
	v_cmp_ne_u32_e32 vcc_lo, 0, v4
	v_lshlrev_b32_e32 v1, 8, v1
	v_cndmask_b32_e32 v82, 0, v1, vcc_lo
.LBB4_8896:                             ;   in Loop: Header=BB4_8749 Depth=3
	s_or_b32 exec_lo, exec_lo, s75
.LBB4_8897:                             ;   in Loop: Header=BB4_8749 Depth=3
	s_or_b32 exec_lo, exec_lo, s74
	v_and_b32_sdwa v4, v10, v112 dst_sel:DWORD dst_unused:UNUSED_PAD src0_sel:WORD_1 src1_sel:DWORD
	s_mov_b32 s17, 0
	s_mov_b32 s74, exec_lo
	v_cmpx_lt_i16_e32 0x7f, v4
	s_xor_b32 s74, exec_lo, s74
	s_cbranch_execz .LBB4_9319
; %bb.8898:                             ;   in Loop: Header=BB4_8749 Depth=3
	s_mov_b32 s17, -1
	s_mov_b32 s75, exec_lo
	v_cmpx_eq_u16_e32 0x80, v4
; %bb.8899:                             ;   in Loop: Header=BB4_8749 Depth=3
	s_xor_b32 s17, exec_lo, -1
; %bb.8900:                             ;   in Loop: Header=BB4_8749 Depth=3
	s_or_b32 exec_lo, exec_lo, s75
	s_and_b32 s17, s17, exec_lo
                                        ; implicit-def: $vgpr4
	s_or_saveexec_b32 s74, s74
	v_mov_b32_e32 v1, 0x7f800001
	s_xor_b32 exec_lo, exec_lo, s74
	s_cbranch_execnz .LBB4_9320
.LBB4_8901:                             ;   in Loop: Header=BB4_8749 Depth=3
	s_or_b32 exec_lo, exec_lo, s74
	s_and_saveexec_b32 s74, s17
	s_cbranch_execz .LBB4_8903
.LBB4_8902:                             ;   in Loop: Header=BB4_8749 Depth=3
	v_bfe_u32 v1, v10, 16, 2
	v_bfe_u32 v8, v10, 18, 5
	v_lshlrev_b32_e32 v9, 8, v10
	v_ffbh_u32_e32 v4, v1
	v_cmp_eq_u32_e32 vcc_lo, 0, v8
	v_min_u32_e32 v4, 32, v4
	v_subrev_nc_u32_e32 v5, 29, v4
	v_sub_nc_u32_e32 v4, 30, v4
	v_lshlrev_b32_sdwa v5, v5, v10 dst_sel:DWORD dst_unused:UNUSED_PAD src0_sel:DWORD src1_sel:WORD_1
	v_cndmask_b32_e32 v4, v8, v4, vcc_lo
	v_and_b32_e32 v5, 3, v5
	v_lshl_add_u32 v4, v4, 23, 0x37800000
	v_cndmask_b32_e32 v1, v1, v5, vcc_lo
	v_and_b32_e32 v5, 0x80000000, v9
	v_lshlrev_b32_e32 v1, 21, v1
	v_or3_b32 v1, v5, v4, v1
.LBB4_8903:                             ;   in Loop: Header=BB4_8749 Depth=3
	s_or_b32 exec_lo, exec_lo, s74
	v_mul_f32_e32 v1, s73, v1
	v_and_b32_e32 v4, 0x7f800000, v1
	v_cmp_ne_u32_e32 vcc_lo, 0x7f800000, v4
	v_mov_b32_e32 v4, 0x80
	s_and_saveexec_b32 s74, vcc_lo
	s_cbranch_execz .LBB4_8911
; %bb.8904:                             ;   in Loop: Header=BB4_8749 Depth=3
	v_mov_b32_e32 v4, 0
	s_mov_b32 s75, exec_lo
	v_cmpx_ne_u32_e32 0, v1
	s_cbranch_execz .LBB4_8910
; %bb.8905:                             ;   in Loop: Header=BB4_8749 Depth=3
	v_bfe_u32 v4, v1, 23, 8
	v_and_b32_e32 v5, 0x7fffff, v1
	v_sub_nc_u32_e32 v8, 0x70, v4
	v_cmp_gt_u32_e32 vcc_lo, 0x71, v4
	v_or_b32_e32 v9, 0x800000, v5
	v_cndmask_b32_e32 v8, 0, v8, vcc_lo
	v_cmp_eq_u32_e32 vcc_lo, 0, v4
	v_add_nc_u32_e32 v4, 0xffffff91, v4
	v_cndmask_b32_e64 v8, v8, 0x6f, vcc_lo
	v_cndmask_b32_e32 v5, v9, v5, vcc_lo
	v_cndmask_b32_e64 v4, v4, 0xffffff92, vcc_lo
	v_lshl_add_u32 v9, 0x200000, v8, -1
	v_lshrrev_b32_e32 v17, v8, v5
	v_lshlrev_b32_e64 v20, v8, 0x100000
	v_add_nc_u32_e32 v8, v8, v4
	v_and_b32_e32 v5, v9, v5
	v_bfe_u32 v18, v17, 21, 1
	v_cmp_eq_u32_e64 s17, v5, v20
	v_add_nc_u32_e32 v9, -1, v18
	v_cndmask_b32_e64 v5, 0, v9, s17
	v_lshrrev_b32_e32 v9, 23, v17
	s_mov_b32 s17, exec_lo
	v_add_nc_u32_e32 v5, v5, v17
	v_xor_b32_e32 v9, 1, v9
	v_and_b32_e32 v4, 0x1fffff, v5
	v_add_nc_u32_e32 v5, v4, v17
                                        ; implicit-def: $vgpr4
	v_cmpx_ne_u32_e64 v8, v9
	s_xor_b32 s17, exec_lo, s17
; %bb.8906:                             ;   in Loop: Header=BB4_8749 Depth=3
	v_cmp_lt_u32_e32 vcc_lo, 0xffffff, v5
	v_sub_nc_u32_e32 v4, v8, v9
	v_cndmask_b32_e64 v8, 0, 1, vcc_lo
	v_add_co_ci_u32_e64 v4, null, 0, v4, vcc_lo
	v_lshrrev_b32_e32 v5, v8, v5
; %bb.8907:                             ;   in Loop: Header=BB4_8749 Depth=3
	s_andn2_saveexec_b32 s17, s17
; %bb.8908:                             ;   in Loop: Header=BB4_8749 Depth=3
	v_bfe_u32 v4, v5, 23, 1
; %bb.8909:                             ;   in Loop: Header=BB4_8749 Depth=3
	s_or_b32 exec_lo, exec_lo, s17
	v_lshrrev_b32_e32 v5, 21, v5
	v_min_i32_e32 v8, 31, v4
	v_cmp_gt_i32_e32 vcc_lo, 32, v4
	v_and_b32_sdwa v1, v1, v101 dst_sel:DWORD dst_unused:UNUSED_PAD src0_sel:BYTE_3 src1_sel:DWORD
	v_lshlrev_b32_e32 v8, 2, v8
	v_cndmask_b32_e32 v5, 3, v5, vcc_lo
	v_and_b32_e32 v8, 0xfc, v8
	v_and_b32_e32 v9, 3, v5
	v_or_b32_e32 v4, v4, v5
	v_or3_b32 v1, v8, v1, v9
	v_cmp_ne_u32_e32 vcc_lo, 0, v4
	v_cndmask_b32_e32 v4, 0, v1, vcc_lo
.LBB4_8910:                             ;   in Loop: Header=BB4_8749 Depth=3
	s_or_b32 exec_lo, exec_lo, s75
.LBB4_8911:                             ;   in Loop: Header=BB4_8749 Depth=3
	s_or_b32 exec_lo, exec_lo, s74
	v_cmp_gt_i16_sdwa s74, v10, v100 src0_sel:BYTE_3 src1_sel:DWORD
	s_mov_b32 s17, 0
	s_and_saveexec_b32 s75, s74
	s_xor_b32 s74, exec_lo, s75
	s_cbranch_execz .LBB4_9321
; %bb.8912:                             ;   in Loop: Header=BB4_8749 Depth=3
	v_cmp_eq_u16_sdwa s76, v10, v101 src0_sel:BYTE_3 src1_sel:DWORD
	s_mov_b32 s17, -1
	s_and_saveexec_b32 s75, s76
; %bb.8913:                             ;   in Loop: Header=BB4_8749 Depth=3
	s_xor_b32 s17, exec_lo, -1
; %bb.8914:                             ;   in Loop: Header=BB4_8749 Depth=3
	s_or_b32 exec_lo, exec_lo, s75
	s_and_b32 s17, s17, exec_lo
	s_or_saveexec_b32 s74, s74
	v_mov_b32_e32 v1, 0x7f800001
	s_xor_b32 exec_lo, exec_lo, s74
	s_cbranch_execnz .LBB4_9322
.LBB4_8915:                             ;   in Loop: Header=BB4_8749 Depth=3
	s_or_b32 exec_lo, exec_lo, s74
	s_and_saveexec_b32 s74, s17
	s_cbranch_execz .LBB4_8917
.LBB4_8916:                             ;   in Loop: Header=BB4_8749 Depth=3
	v_bfe_u32 v1, v10, 24, 2
	v_bfe_u32 v9, v10, 26, 5
	v_ffbh_u32_e32 v5, v1
	v_cmp_eq_u32_e32 vcc_lo, 0, v9
	v_min_u32_e32 v5, 32, v5
	v_subrev_nc_u32_e32 v8, 29, v5
	v_sub_nc_u32_e32 v5, 30, v5
	v_lshlrev_b32_sdwa v8, v8, v10 dst_sel:DWORD dst_unused:UNUSED_PAD src0_sel:DWORD src1_sel:BYTE_3
	v_cndmask_b32_e32 v5, v9, v5, vcc_lo
	v_and_b32_e32 v8, 3, v8
	v_lshl_add_u32 v5, v5, 23, 0x37800000
	v_cndmask_b32_e32 v1, v1, v8, vcc_lo
	v_and_b32_e32 v8, 0x80000000, v10
	v_lshlrev_b32_e32 v1, 21, v1
	v_or3_b32 v1, v8, v5, v1
.LBB4_8917:                             ;   in Loop: Header=BB4_8749 Depth=3
	s_or_b32 exec_lo, exec_lo, s74
	v_mul_f32_e32 v1, s73, v1
	v_mov_b32_e32 v36, 0x8000
	s_mov_b32 s74, exec_lo
	v_and_b32_e32 v5, 0x7f800000, v1
	v_cmpx_ne_u32_e32 0x7f800000, v5
	s_cbranch_execz .LBB4_8925
; %bb.8918:                             ;   in Loop: Header=BB4_8749 Depth=3
	v_mov_b32_e32 v36, 0
	s_mov_b32 s75, exec_lo
	v_cmpx_ne_u32_e32 0, v1
	s_cbranch_execz .LBB4_8924
; %bb.8919:                             ;   in Loop: Header=BB4_8749 Depth=3
	v_bfe_u32 v5, v1, 23, 8
	v_and_b32_e32 v8, 0x7fffff, v1
	v_sub_nc_u32_e32 v9, 0x70, v5
	v_cmp_gt_u32_e32 vcc_lo, 0x71, v5
	v_or_b32_e32 v10, 0x800000, v8
	v_cndmask_b32_e32 v9, 0, v9, vcc_lo
	v_cmp_eq_u32_e32 vcc_lo, 0, v5
	v_add_nc_u32_e32 v5, 0xffffff91, v5
	v_cndmask_b32_e64 v9, v9, 0x6f, vcc_lo
	v_cndmask_b32_e32 v8, v10, v8, vcc_lo
	v_cndmask_b32_e64 v5, v5, 0xffffff92, vcc_lo
	v_lshl_add_u32 v10, 0x200000, v9, -1
	v_lshrrev_b32_e32 v17, v9, v8
	v_lshlrev_b32_e64 v20, v9, 0x100000
	v_add_nc_u32_e32 v9, v9, v5
	v_and_b32_e32 v8, v10, v8
	v_bfe_u32 v18, v17, 21, 1
	v_cmp_eq_u32_e64 s17, v8, v20
	v_add_nc_u32_e32 v10, -1, v18
	v_cndmask_b32_e64 v8, 0, v10, s17
	v_lshrrev_b32_e32 v10, 23, v17
	s_mov_b32 s17, exec_lo
	v_add_nc_u32_e32 v8, v8, v17
	v_xor_b32_e32 v10, 1, v10
	v_and_b32_e32 v5, 0x1fffff, v8
	v_add_nc_u32_e32 v8, v5, v17
                                        ; implicit-def: $vgpr5
	v_cmpx_ne_u32_e64 v9, v10
	s_xor_b32 s17, exec_lo, s17
; %bb.8920:                             ;   in Loop: Header=BB4_8749 Depth=3
	v_cmp_lt_u32_e32 vcc_lo, 0xffffff, v8
	v_sub_nc_u32_e32 v5, v9, v10
	v_cndmask_b32_e64 v9, 0, 1, vcc_lo
	v_add_co_ci_u32_e64 v5, null, 0, v5, vcc_lo
	v_lshrrev_b32_e32 v8, v9, v8
; %bb.8921:                             ;   in Loop: Header=BB4_8749 Depth=3
	s_andn2_saveexec_b32 s17, s17
; %bb.8922:                             ;   in Loop: Header=BB4_8749 Depth=3
	v_bfe_u32 v5, v8, 23, 1
; %bb.8923:                             ;   in Loop: Header=BB4_8749 Depth=3
	s_or_b32 exec_lo, exec_lo, s17
	v_lshrrev_b32_e32 v8, 21, v8
	v_min_i32_e32 v9, 31, v5
	v_cmp_gt_i32_e32 vcc_lo, 32, v5
	v_and_b32_sdwa v1, v1, v101 dst_sel:DWORD dst_unused:UNUSED_PAD src0_sel:BYTE_3 src1_sel:DWORD
	v_lshlrev_b32_e32 v9, 2, v9
	v_cndmask_b32_e32 v8, 3, v8, vcc_lo
	v_and_b32_e32 v9, 0xfc, v9
	v_and_b32_e32 v10, 3, v8
	v_or_b32_e32 v5, v5, v8
	v_or3_b32 v1, v1, v9, v10
	v_cmp_ne_u32_e32 vcc_lo, 0, v5
	v_lshlrev_b32_e32 v1, 8, v1
	v_cndmask_b32_e32 v36, 0, v1, vcc_lo
.LBB4_8924:                             ;   in Loop: Header=BB4_8749 Depth=3
	s_or_b32 exec_lo, exec_lo, s75
.LBB4_8925:                             ;   in Loop: Header=BB4_8749 Depth=3
	s_or_b32 exec_lo, exec_lo, s74
	v_cmp_gt_i16_sdwa s74, v11, v100 src0_sel:BYTE_0 src1_sel:DWORD
	s_mov_b32 s17, 0
	s_and_saveexec_b32 s75, s74
	s_xor_b32 s74, exec_lo, s75
	s_cbranch_execz .LBB4_9323
; %bb.8926:                             ;   in Loop: Header=BB4_8749 Depth=3
	v_cmp_eq_u16_sdwa s76, v11, v101 src0_sel:BYTE_0 src1_sel:DWORD
	s_mov_b32 s17, -1
	s_and_saveexec_b32 s75, s76
; %bb.8927:                             ;   in Loop: Header=BB4_8749 Depth=3
	s_xor_b32 s17, exec_lo, -1
; %bb.8928:                             ;   in Loop: Header=BB4_8749 Depth=3
	s_or_b32 exec_lo, exec_lo, s75
	s_and_b32 s17, s17, exec_lo
	s_or_saveexec_b32 s74, s74
	v_mov_b32_e32 v1, 0x7f800001
	s_xor_b32 exec_lo, exec_lo, s74
	s_cbranch_execnz .LBB4_9324
.LBB4_8929:                             ;   in Loop: Header=BB4_8749 Depth=3
	s_or_b32 exec_lo, exec_lo, s74
	s_and_saveexec_b32 s74, s17
	s_cbranch_execz .LBB4_8931
.LBB4_8930:                             ;   in Loop: Header=BB4_8749 Depth=3
	v_and_b32_e32 v1, 3, v11
	v_bfe_u32 v9, v11, 2, 5
	v_lshlrev_b32_e32 v10, 24, v11
	v_ffbh_u32_e32 v5, v1
	v_cmp_eq_u32_e32 vcc_lo, 0, v9
	v_min_u32_e32 v5, 32, v5
	v_subrev_nc_u32_e32 v8, 29, v5
	v_sub_nc_u32_e32 v5, 30, v5
	v_lshlrev_b32_e32 v8, v8, v11
	v_cndmask_b32_e32 v5, v9, v5, vcc_lo
	v_and_b32_e32 v8, 3, v8
	v_lshl_add_u32 v5, v5, 23, 0x37800000
	v_cndmask_b32_e32 v1, v1, v8, vcc_lo
	v_and_b32_e32 v8, 0x80000000, v10
	v_lshlrev_b32_e32 v1, 21, v1
	v_or3_b32 v1, v8, v5, v1
.LBB4_8931:                             ;   in Loop: Header=BB4_8749 Depth=3
	s_or_b32 exec_lo, exec_lo, s74
	v_mul_f32_e32 v1, s73, v1
	v_mov_b32_e32 v18, 0x80
	s_mov_b32 s74, exec_lo
	v_and_b32_e32 v5, 0x7f800000, v1
	v_cmpx_ne_u32_e32 0x7f800000, v5
	s_cbranch_execz .LBB4_8939
; %bb.8932:                             ;   in Loop: Header=BB4_8749 Depth=3
	v_mov_b32_e32 v18, 0
	s_mov_b32 s75, exec_lo
	v_cmpx_ne_u32_e32 0, v1
	s_cbranch_execz .LBB4_8938
; %bb.8933:                             ;   in Loop: Header=BB4_8749 Depth=3
	v_bfe_u32 v5, v1, 23, 8
	v_and_b32_e32 v8, 0x7fffff, v1
	v_sub_nc_u32_e32 v9, 0x70, v5
	v_cmp_gt_u32_e32 vcc_lo, 0x71, v5
	v_or_b32_e32 v10, 0x800000, v8
	v_cndmask_b32_e32 v9, 0, v9, vcc_lo
	v_cmp_eq_u32_e32 vcc_lo, 0, v5
	v_add_nc_u32_e32 v5, 0xffffff91, v5
	v_cndmask_b32_e64 v9, v9, 0x6f, vcc_lo
	v_cndmask_b32_e32 v8, v10, v8, vcc_lo
	v_cndmask_b32_e64 v5, v5, 0xffffff92, vcc_lo
	v_lshl_add_u32 v10, 0x200000, v9, -1
	v_lshrrev_b32_e32 v17, v9, v8
	v_lshlrev_b32_e64 v20, v9, 0x100000
	v_add_nc_u32_e32 v9, v9, v5
	v_and_b32_e32 v8, v10, v8
	v_bfe_u32 v18, v17, 21, 1
	v_cmp_eq_u32_e64 s17, v8, v20
	v_add_nc_u32_e32 v10, -1, v18
	v_cndmask_b32_e64 v8, 0, v10, s17
	v_lshrrev_b32_e32 v10, 23, v17
	s_mov_b32 s17, exec_lo
	v_add_nc_u32_e32 v8, v8, v17
	v_xor_b32_e32 v10, 1, v10
	v_and_b32_e32 v5, 0x1fffff, v8
	v_add_nc_u32_e32 v8, v5, v17
                                        ; implicit-def: $vgpr5
	v_cmpx_ne_u32_e64 v9, v10
	s_xor_b32 s17, exec_lo, s17
; %bb.8934:                             ;   in Loop: Header=BB4_8749 Depth=3
	v_cmp_lt_u32_e32 vcc_lo, 0xffffff, v8
	v_sub_nc_u32_e32 v5, v9, v10
	v_cndmask_b32_e64 v9, 0, 1, vcc_lo
	v_add_co_ci_u32_e64 v5, null, 0, v5, vcc_lo
	v_lshrrev_b32_e32 v8, v9, v8
; %bb.8935:                             ;   in Loop: Header=BB4_8749 Depth=3
	s_andn2_saveexec_b32 s17, s17
; %bb.8936:                             ;   in Loop: Header=BB4_8749 Depth=3
	v_bfe_u32 v5, v8, 23, 1
; %bb.8937:                             ;   in Loop: Header=BB4_8749 Depth=3
	s_or_b32 exec_lo, exec_lo, s17
	v_lshrrev_b32_e32 v8, 21, v8
	v_min_i32_e32 v9, 31, v5
	v_cmp_gt_i32_e32 vcc_lo, 32, v5
	v_and_b32_sdwa v1, v1, v101 dst_sel:DWORD dst_unused:UNUSED_PAD src0_sel:BYTE_3 src1_sel:DWORD
	v_lshlrev_b32_e32 v9, 2, v9
	v_cndmask_b32_e32 v8, 3, v8, vcc_lo
	v_and_b32_e32 v9, 0xfc, v9
	v_and_b32_e32 v10, 3, v8
	v_or_b32_e32 v5, v5, v8
	v_or3_b32 v1, v9, v1, v10
	v_cmp_ne_u32_e32 vcc_lo, 0, v5
	v_cndmask_b32_e32 v18, 0, v1, vcc_lo
.LBB4_8938:                             ;   in Loop: Header=BB4_8749 Depth=3
	s_or_b32 exec_lo, exec_lo, s75
.LBB4_8939:                             ;   in Loop: Header=BB4_8749 Depth=3
	s_or_b32 exec_lo, exec_lo, s74
	v_cmp_gt_i16_sdwa s74, v11, v100 src0_sel:BYTE_1 src1_sel:DWORD
	s_mov_b32 s17, 0
	s_and_saveexec_b32 s75, s74
	s_xor_b32 s74, exec_lo, s75
	s_cbranch_execz .LBB4_9325
; %bb.8940:                             ;   in Loop: Header=BB4_8749 Depth=3
	v_cmp_eq_u16_sdwa s76, v11, v101 src0_sel:BYTE_1 src1_sel:DWORD
	s_mov_b32 s17, -1
	s_and_saveexec_b32 s75, s76
; %bb.8941:                             ;   in Loop: Header=BB4_8749 Depth=3
	s_xor_b32 s17, exec_lo, -1
; %bb.8942:                             ;   in Loop: Header=BB4_8749 Depth=3
	s_or_b32 exec_lo, exec_lo, s75
	s_and_b32 s17, s17, exec_lo
	s_or_saveexec_b32 s74, s74
	v_mov_b32_e32 v1, 0x7f800001
	s_xor_b32 exec_lo, exec_lo, s74
	s_cbranch_execnz .LBB4_9326
.LBB4_8943:                             ;   in Loop: Header=BB4_8749 Depth=3
	s_or_b32 exec_lo, exec_lo, s74
	s_and_saveexec_b32 s74, s17
	s_cbranch_execz .LBB4_8945
.LBB4_8944:                             ;   in Loop: Header=BB4_8749 Depth=3
	v_and_b32_sdwa v1, v102, v11 dst_sel:DWORD dst_unused:UNUSED_PAD src0_sel:DWORD src1_sel:BYTE_1
	v_and_b32_e32 v5, 3, v1
	v_bfe_u32 v10, v1, 2, 5
	v_ffbh_u32_e32 v8, v5
	v_cmp_eq_u32_e32 vcc_lo, 0, v10
	v_min_u32_e32 v8, 32, v8
	v_subrev_nc_u32_e32 v9, 29, v8
	v_sub_nc_u32_e32 v8, 30, v8
	v_lshlrev_b32_e32 v1, v9, v1
	v_lshlrev_b32_sdwa v9, v103, v11 dst_sel:DWORD dst_unused:UNUSED_PAD src0_sel:DWORD src1_sel:BYTE_1
	v_cndmask_b32_e32 v8, v10, v8, vcc_lo
	v_and_b32_e32 v1, 3, v1
	v_lshl_add_u32 v8, v8, 23, 0x37800000
	v_cndmask_b32_e32 v1, v5, v1, vcc_lo
	v_and_b32_e32 v5, 0x80000000, v9
	v_lshlrev_b32_e32 v1, 21, v1
	v_or3_b32 v1, v5, v8, v1
.LBB4_8945:                             ;   in Loop: Header=BB4_8749 Depth=3
	s_or_b32 exec_lo, exec_lo, s74
	v_mul_f32_e32 v1, s73, v1
	v_and_b32_e32 v5, 0x7f800000, v1
	v_cmp_ne_u32_e32 vcc_lo, 0x7f800000, v5
	v_mov_b32_e32 v5, 0x8000
	s_and_saveexec_b32 s74, vcc_lo
	s_cbranch_execz .LBB4_8953
; %bb.8946:                             ;   in Loop: Header=BB4_8749 Depth=3
	v_mov_b32_e32 v5, 0
	s_mov_b32 s75, exec_lo
	v_cmpx_ne_u32_e32 0, v1
	s_cbranch_execz .LBB4_8952
; %bb.8947:                             ;   in Loop: Header=BB4_8749 Depth=3
	v_bfe_u32 v5, v1, 23, 8
	v_and_b32_e32 v8, 0x7fffff, v1
	v_sub_nc_u32_e32 v9, 0x70, v5
	v_cmp_gt_u32_e32 vcc_lo, 0x71, v5
	v_or_b32_e32 v10, 0x800000, v8
	v_cndmask_b32_e32 v9, 0, v9, vcc_lo
	v_cmp_eq_u32_e32 vcc_lo, 0, v5
	v_add_nc_u32_e32 v5, 0xffffff91, v5
	v_cndmask_b32_e64 v9, v9, 0x6f, vcc_lo
	v_cndmask_b32_e32 v8, v10, v8, vcc_lo
	v_cndmask_b32_e64 v5, v5, 0xffffff92, vcc_lo
	v_lshl_add_u32 v10, 0x200000, v9, -1
	v_lshrrev_b32_e32 v17, v9, v8
	v_lshlrev_b32_e64 v31, v9, 0x100000
	v_add_nc_u32_e32 v9, v9, v5
	v_and_b32_e32 v8, v10, v8
	v_bfe_u32 v20, v17, 21, 1
	v_cmp_eq_u32_e64 s17, v8, v31
	v_add_nc_u32_e32 v10, -1, v20
	v_cndmask_b32_e64 v8, 0, v10, s17
	v_lshrrev_b32_e32 v10, 23, v17
	s_mov_b32 s17, exec_lo
	v_add_nc_u32_e32 v8, v8, v17
	v_xor_b32_e32 v10, 1, v10
	v_and_b32_e32 v5, 0x1fffff, v8
	v_add_nc_u32_e32 v8, v5, v17
                                        ; implicit-def: $vgpr5
	v_cmpx_ne_u32_e64 v9, v10
	s_xor_b32 s17, exec_lo, s17
; %bb.8948:                             ;   in Loop: Header=BB4_8749 Depth=3
	v_cmp_lt_u32_e32 vcc_lo, 0xffffff, v8
	v_sub_nc_u32_e32 v5, v9, v10
	v_cndmask_b32_e64 v9, 0, 1, vcc_lo
	v_add_co_ci_u32_e64 v5, null, 0, v5, vcc_lo
	v_lshrrev_b32_e32 v8, v9, v8
; %bb.8949:                             ;   in Loop: Header=BB4_8749 Depth=3
	s_andn2_saveexec_b32 s17, s17
; %bb.8950:                             ;   in Loop: Header=BB4_8749 Depth=3
	v_bfe_u32 v5, v8, 23, 1
; %bb.8951:                             ;   in Loop: Header=BB4_8749 Depth=3
	s_or_b32 exec_lo, exec_lo, s17
	v_lshrrev_b32_e32 v8, 21, v8
	v_min_i32_e32 v9, 31, v5
	v_cmp_gt_i32_e32 vcc_lo, 32, v5
	v_and_b32_sdwa v1, v1, v101 dst_sel:DWORD dst_unused:UNUSED_PAD src0_sel:BYTE_3 src1_sel:DWORD
	v_lshlrev_b32_e32 v9, 2, v9
	v_cndmask_b32_e32 v8, 3, v8, vcc_lo
	v_and_b32_e32 v9, 0xfc, v9
	v_and_b32_e32 v10, 3, v8
	v_or_b32_e32 v5, v5, v8
	v_or3_b32 v1, v1, v9, v10
	v_cmp_ne_u32_e32 vcc_lo, 0, v5
	v_lshlrev_b32_e32 v1, 8, v1
	v_cndmask_b32_e32 v5, 0, v1, vcc_lo
.LBB4_8952:                             ;   in Loop: Header=BB4_8749 Depth=3
	s_or_b32 exec_lo, exec_lo, s75
.LBB4_8953:                             ;   in Loop: Header=BB4_8749 Depth=3
	s_or_b32 exec_lo, exec_lo, s74
	v_and_b32_sdwa v8, v11, v112 dst_sel:DWORD dst_unused:UNUSED_PAD src0_sel:WORD_1 src1_sel:DWORD
	s_mov_b32 s17, 0
	s_mov_b32 s74, exec_lo
	v_cmpx_lt_i16_e32 0x7f, v8
	s_xor_b32 s74, exec_lo, s74
	s_cbranch_execz .LBB4_9327
; %bb.8954:                             ;   in Loop: Header=BB4_8749 Depth=3
	s_mov_b32 s17, -1
	s_mov_b32 s75, exec_lo
	v_cmpx_eq_u16_e32 0x80, v8
; %bb.8955:                             ;   in Loop: Header=BB4_8749 Depth=3
	s_xor_b32 s17, exec_lo, -1
; %bb.8956:                             ;   in Loop: Header=BB4_8749 Depth=3
	s_or_b32 exec_lo, exec_lo, s75
	s_and_b32 s17, s17, exec_lo
                                        ; implicit-def: $vgpr8
	s_or_saveexec_b32 s74, s74
	v_mov_b32_e32 v1, 0x7f800001
	s_xor_b32 exec_lo, exec_lo, s74
	s_cbranch_execnz .LBB4_9328
.LBB4_8957:                             ;   in Loop: Header=BB4_8749 Depth=3
	s_or_b32 exec_lo, exec_lo, s74
	s_and_saveexec_b32 s74, s17
	s_cbranch_execz .LBB4_8959
.LBB4_8958:                             ;   in Loop: Header=BB4_8749 Depth=3
	v_bfe_u32 v1, v11, 16, 2
	v_bfe_u32 v10, v11, 18, 5
	v_lshlrev_b32_e32 v17, 8, v11
	v_ffbh_u32_e32 v8, v1
	v_cmp_eq_u32_e32 vcc_lo, 0, v10
	v_min_u32_e32 v8, 32, v8
	v_subrev_nc_u32_e32 v9, 29, v8
	v_sub_nc_u32_e32 v8, 30, v8
	v_lshlrev_b32_sdwa v9, v9, v11 dst_sel:DWORD dst_unused:UNUSED_PAD src0_sel:DWORD src1_sel:WORD_1
	v_cndmask_b32_e32 v8, v10, v8, vcc_lo
	v_and_b32_e32 v9, 3, v9
	v_lshl_add_u32 v8, v8, 23, 0x37800000
	v_cndmask_b32_e32 v1, v1, v9, vcc_lo
	v_and_b32_e32 v9, 0x80000000, v17
	v_lshlrev_b32_e32 v1, 21, v1
	v_or3_b32 v1, v9, v8, v1
.LBB4_8959:                             ;   in Loop: Header=BB4_8749 Depth=3
	s_or_b32 exec_lo, exec_lo, s74
	v_mul_f32_e32 v1, s73, v1
	v_mov_b32_e32 v17, 0x80
	s_mov_b32 s74, exec_lo
	v_and_b32_e32 v8, 0x7f800000, v1
	v_cmpx_ne_u32_e32 0x7f800000, v8
	s_cbranch_execz .LBB4_8967
; %bb.8960:                             ;   in Loop: Header=BB4_8749 Depth=3
	v_mov_b32_e32 v17, 0
	s_mov_b32 s75, exec_lo
	v_cmpx_ne_u32_e32 0, v1
	s_cbranch_execz .LBB4_8966
; %bb.8961:                             ;   in Loop: Header=BB4_8749 Depth=3
	v_bfe_u32 v8, v1, 23, 8
	v_and_b32_e32 v9, 0x7fffff, v1
	v_sub_nc_u32_e32 v10, 0x70, v8
	v_cmp_gt_u32_e32 vcc_lo, 0x71, v8
	v_or_b32_e32 v17, 0x800000, v9
	v_cndmask_b32_e32 v10, 0, v10, vcc_lo
	v_cmp_eq_u32_e32 vcc_lo, 0, v8
	v_add_nc_u32_e32 v8, 0xffffff91, v8
	v_cndmask_b32_e64 v10, v10, 0x6f, vcc_lo
	v_cndmask_b32_e32 v9, v17, v9, vcc_lo
	v_cndmask_b32_e64 v8, v8, 0xffffff92, vcc_lo
	v_lshl_add_u32 v17, 0x200000, v10, -1
	v_lshrrev_b32_e32 v20, v10, v9
	v_lshlrev_b32_e64 v35, v10, 0x100000
	v_add_nc_u32_e32 v10, v10, v8
	v_and_b32_e32 v9, v17, v9
	v_bfe_u32 v31, v20, 21, 1
	v_cmp_eq_u32_e64 s17, v9, v35
	v_add_nc_u32_e32 v17, -1, v31
	v_cndmask_b32_e64 v9, 0, v17, s17
	v_lshrrev_b32_e32 v17, 23, v20
	s_mov_b32 s17, exec_lo
	v_add_nc_u32_e32 v9, v9, v20
	v_xor_b32_e32 v17, 1, v17
	v_and_b32_e32 v8, 0x1fffff, v9
	v_add_nc_u32_e32 v9, v8, v20
                                        ; implicit-def: $vgpr8
	v_cmpx_ne_u32_e64 v10, v17
	s_xor_b32 s17, exec_lo, s17
; %bb.8962:                             ;   in Loop: Header=BB4_8749 Depth=3
	v_cmp_lt_u32_e32 vcc_lo, 0xffffff, v9
	v_sub_nc_u32_e32 v8, v10, v17
	v_cndmask_b32_e64 v10, 0, 1, vcc_lo
	v_add_co_ci_u32_e64 v8, null, 0, v8, vcc_lo
	v_lshrrev_b32_e32 v9, v10, v9
; %bb.8963:                             ;   in Loop: Header=BB4_8749 Depth=3
	s_andn2_saveexec_b32 s17, s17
; %bb.8964:                             ;   in Loop: Header=BB4_8749 Depth=3
	v_bfe_u32 v8, v9, 23, 1
; %bb.8965:                             ;   in Loop: Header=BB4_8749 Depth=3
	s_or_b32 exec_lo, exec_lo, s17
	v_lshrrev_b32_e32 v9, 21, v9
	v_min_i32_e32 v10, 31, v8
	v_cmp_gt_i32_e32 vcc_lo, 32, v8
	v_and_b32_sdwa v1, v1, v101 dst_sel:DWORD dst_unused:UNUSED_PAD src0_sel:BYTE_3 src1_sel:DWORD
	v_lshlrev_b32_e32 v10, 2, v10
	v_cndmask_b32_e32 v9, 3, v9, vcc_lo
	v_and_b32_e32 v10, 0xfc, v10
	v_and_b32_e32 v17, 3, v9
	v_or_b32_e32 v8, v8, v9
	v_or3_b32 v1, v10, v1, v17
	v_cmp_ne_u32_e32 vcc_lo, 0, v8
	v_cndmask_b32_e32 v17, 0, v1, vcc_lo
.LBB4_8966:                             ;   in Loop: Header=BB4_8749 Depth=3
	s_or_b32 exec_lo, exec_lo, s75
.LBB4_8967:                             ;   in Loop: Header=BB4_8749 Depth=3
	s_or_b32 exec_lo, exec_lo, s74
	v_cmp_gt_i16_sdwa s74, v11, v100 src0_sel:BYTE_3 src1_sel:DWORD
	s_mov_b32 s17, 0
	s_and_saveexec_b32 s75, s74
	s_xor_b32 s74, exec_lo, s75
	s_cbranch_execz .LBB4_9329
; %bb.8968:                             ;   in Loop: Header=BB4_8749 Depth=3
	v_cmp_eq_u16_sdwa s76, v11, v101 src0_sel:BYTE_3 src1_sel:DWORD
	s_mov_b32 s17, -1
	s_and_saveexec_b32 s75, s76
; %bb.8969:                             ;   in Loop: Header=BB4_8749 Depth=3
	s_xor_b32 s17, exec_lo, -1
; %bb.8970:                             ;   in Loop: Header=BB4_8749 Depth=3
	s_or_b32 exec_lo, exec_lo, s75
	s_and_b32 s17, s17, exec_lo
	s_or_saveexec_b32 s74, s74
	v_mov_b32_e32 v1, 0x7f800001
	s_xor_b32 exec_lo, exec_lo, s74
	s_cbranch_execnz .LBB4_9330
.LBB4_8971:                             ;   in Loop: Header=BB4_8749 Depth=3
	s_or_b32 exec_lo, exec_lo, s74
	s_and_saveexec_b32 s74, s17
	s_cbranch_execz .LBB4_8973
.LBB4_8972:                             ;   in Loop: Header=BB4_8749 Depth=3
	v_bfe_u32 v1, v11, 24, 2
	v_bfe_u32 v10, v11, 26, 5
	v_ffbh_u32_e32 v8, v1
	v_cmp_eq_u32_e32 vcc_lo, 0, v10
	v_min_u32_e32 v8, 32, v8
	v_subrev_nc_u32_e32 v9, 29, v8
	v_sub_nc_u32_e32 v8, 30, v8
	v_lshlrev_b32_sdwa v9, v9, v11 dst_sel:DWORD dst_unused:UNUSED_PAD src0_sel:DWORD src1_sel:BYTE_3
	v_cndmask_b32_e32 v8, v10, v8, vcc_lo
	v_and_b32_e32 v9, 3, v9
	v_lshl_add_u32 v8, v8, 23, 0x37800000
	v_cndmask_b32_e32 v1, v1, v9, vcc_lo
	v_and_b32_e32 v9, 0x80000000, v11
	v_lshlrev_b32_e32 v1, 21, v1
	v_or3_b32 v1, v9, v8, v1
.LBB4_8973:                             ;   in Loop: Header=BB4_8749 Depth=3
	s_or_b32 exec_lo, exec_lo, s74
	v_mul_f32_e32 v1, s73, v1
	v_mov_b32_e32 v20, 0x8000
	s_mov_b32 s73, exec_lo
	v_and_b32_e32 v8, 0x7f800000, v1
	v_cmpx_ne_u32_e32 0x7f800000, v8
	s_cbranch_execz .LBB4_8981
; %bb.8974:                             ;   in Loop: Header=BB4_8749 Depth=3
	v_mov_b32_e32 v20, 0
	s_mov_b32 s74, exec_lo
	v_cmpx_ne_u32_e32 0, v1
	s_cbranch_execz .LBB4_8980
; %bb.8975:                             ;   in Loop: Header=BB4_8749 Depth=3
	v_bfe_u32 v8, v1, 23, 8
	v_and_b32_e32 v9, 0x7fffff, v1
	v_sub_nc_u32_e32 v10, 0x70, v8
	v_cmp_gt_u32_e32 vcc_lo, 0x71, v8
	v_or_b32_e32 v11, 0x800000, v9
	v_cndmask_b32_e32 v10, 0, v10, vcc_lo
	v_cmp_eq_u32_e32 vcc_lo, 0, v8
	v_add_nc_u32_e32 v8, 0xffffff91, v8
	v_cndmask_b32_e64 v10, v10, 0x6f, vcc_lo
	v_cndmask_b32_e32 v9, v11, v9, vcc_lo
	v_cndmask_b32_e64 v8, v8, 0xffffff92, vcc_lo
	v_lshl_add_u32 v11, 0x200000, v10, -1
	v_lshrrev_b32_e32 v20, v10, v9
	v_lshlrev_b32_e64 v35, v10, 0x100000
	v_add_nc_u32_e32 v10, v10, v8
	v_and_b32_e32 v9, v11, v9
	v_bfe_u32 v31, v20, 21, 1
	v_cmp_eq_u32_e64 s17, v9, v35
	v_add_nc_u32_e32 v11, -1, v31
	v_cndmask_b32_e64 v9, 0, v11, s17
	v_lshrrev_b32_e32 v11, 23, v20
	s_mov_b32 s17, exec_lo
	v_add_nc_u32_e32 v9, v9, v20
	v_xor_b32_e32 v11, 1, v11
	v_and_b32_e32 v8, 0x1fffff, v9
	v_add_nc_u32_e32 v9, v8, v20
                                        ; implicit-def: $vgpr8
	v_cmpx_ne_u32_e64 v10, v11
	s_xor_b32 s17, exec_lo, s17
; %bb.8976:                             ;   in Loop: Header=BB4_8749 Depth=3
	v_cmp_lt_u32_e32 vcc_lo, 0xffffff, v9
	v_sub_nc_u32_e32 v8, v10, v11
	v_cndmask_b32_e64 v10, 0, 1, vcc_lo
	v_add_co_ci_u32_e64 v8, null, 0, v8, vcc_lo
	v_lshrrev_b32_e32 v9, v10, v9
; %bb.8977:                             ;   in Loop: Header=BB4_8749 Depth=3
	s_andn2_saveexec_b32 s17, s17
; %bb.8978:                             ;   in Loop: Header=BB4_8749 Depth=3
	v_bfe_u32 v8, v9, 23, 1
; %bb.8979:                             ;   in Loop: Header=BB4_8749 Depth=3
	s_or_b32 exec_lo, exec_lo, s17
	v_lshrrev_b32_e32 v9, 21, v9
	v_min_i32_e32 v10, 31, v8
	v_cmp_gt_i32_e32 vcc_lo, 32, v8
	v_and_b32_sdwa v1, v1, v101 dst_sel:DWORD dst_unused:UNUSED_PAD src0_sel:BYTE_3 src1_sel:DWORD
	v_lshlrev_b32_e32 v10, 2, v10
	v_cndmask_b32_e32 v9, 3, v9, vcc_lo
	v_and_b32_e32 v10, 0xfc, v10
	v_and_b32_e32 v11, 3, v9
	v_or_b32_e32 v8, v8, v9
	v_or3_b32 v1, v1, v10, v11
	v_cmp_ne_u32_e32 vcc_lo, 0, v8
	v_lshlrev_b32_e32 v1, 8, v1
	v_cndmask_b32_e32 v20, 0, v1, vcc_lo
.LBB4_8980:                             ;   in Loop: Header=BB4_8749 Depth=3
	s_or_b32 exec_lo, exec_lo, s74
.LBB4_8981:                             ;   in Loop: Header=BB4_8749 Depth=3
	s_or_b32 exec_lo, exec_lo, s73
	global_load_dwordx4 v[8:11], v[66:67], off slc
	v_or_b32_e32 v1, v19, v16
	s_mov_b32 s17, 0
	v_cmp_gt_i16_sdwa s73, v1, v100 src0_sel:BYTE_0 src1_sel:DWORD
	s_and_saveexec_b32 s74, s73
	s_xor_b32 s73, exec_lo, s74
	s_cbranch_execz .LBB4_9331
; %bb.8982:                             ;   in Loop: Header=BB4_8749 Depth=3
	v_cmp_eq_u16_sdwa s75, v1, v101 src0_sel:BYTE_0 src1_sel:DWORD
	s_mov_b32 s17, -1
	s_and_saveexec_b32 s74, s75
; %bb.8983:                             ;   in Loop: Header=BB4_8749 Depth=3
	s_xor_b32 s17, exec_lo, -1
; %bb.8984:                             ;   in Loop: Header=BB4_8749 Depth=3
	s_or_b32 exec_lo, exec_lo, s74
	s_and_b32 s17, s17, exec_lo
	s_or_saveexec_b32 s73, s73
	v_mov_b32_e32 v16, 0x7f800001
	s_xor_b32 exec_lo, exec_lo, s73
	s_cbranch_execnz .LBB4_9332
.LBB4_8985:                             ;   in Loop: Header=BB4_8749 Depth=3
	s_or_b32 exec_lo, exec_lo, s73
	s_and_saveexec_b32 s73, s17
	s_cbranch_execz .LBB4_8987
.LBB4_8986:                             ;   in Loop: Header=BB4_8749 Depth=3
	v_and_b32_e32 v16, 3, v1
	v_bfe_u32 v35, v1, 2, 5
	v_lshlrev_b32_e32 v50, 24, v1
	v_ffbh_u32_e32 v19, v16
	v_cmp_eq_u32_e32 vcc_lo, 0, v35
	v_min_u32_e32 v19, 32, v19
	v_subrev_nc_u32_e32 v31, 29, v19
	v_sub_nc_u32_e32 v19, 30, v19
	v_lshlrev_b32_e32 v31, v31, v1
	v_cndmask_b32_e32 v19, v35, v19, vcc_lo
	v_and_b32_e32 v31, 3, v31
	v_lshl_add_u32 v19, v19, 23, 0x37800000
	v_cndmask_b32_e32 v16, v16, v31, vcc_lo
	v_and_b32_e32 v31, 0x80000000, v50
	v_lshlrev_b32_e32 v16, 21, v16
	v_or3_b32 v16, v31, v19, v16
.LBB4_8987:                             ;   in Loop: Header=BB4_8749 Depth=3
	s_or_b32 exec_lo, exec_lo, s73
	s_waitcnt vmcnt(0)
	v_cmp_gt_i16_sdwa s73, v8, v100 src0_sel:BYTE_0 src1_sel:DWORD
	s_mov_b32 s17, 0
	s_and_saveexec_b32 s74, s73
	s_xor_b32 s73, exec_lo, s74
	s_cbranch_execz .LBB4_9333
; %bb.8988:                             ;   in Loop: Header=BB4_8749 Depth=3
	v_cmp_eq_u16_sdwa s75, v8, v101 src0_sel:BYTE_0 src1_sel:DWORD
	s_mov_b32 s17, -1
	s_and_saveexec_b32 s74, s75
; %bb.8989:                             ;   in Loop: Header=BB4_8749 Depth=3
	s_xor_b32 s17, exec_lo, -1
; %bb.8990:                             ;   in Loop: Header=BB4_8749 Depth=3
	s_or_b32 exec_lo, exec_lo, s74
	s_and_b32 s17, s17, exec_lo
	s_or_saveexec_b32 s73, s73
	v_mov_b32_e32 v19, 0x7f800001
	s_xor_b32 exec_lo, exec_lo, s73
	s_cbranch_execnz .LBB4_9334
.LBB4_8991:                             ;   in Loop: Header=BB4_8749 Depth=3
	s_or_b32 exec_lo, exec_lo, s73
	s_and_saveexec_b32 s73, s17
	s_cbranch_execz .LBB4_8993
.LBB4_8992:                             ;   in Loop: Header=BB4_8749 Depth=3
	v_and_b32_e32 v19, 3, v8
	v_bfe_u32 v50, v8, 2, 5
	v_lshlrev_b32_e32 v51, 24, v8
	v_ffbh_u32_e32 v31, v19
	v_cmp_eq_u32_e32 vcc_lo, 0, v50
	v_min_u32_e32 v31, 32, v31
	v_subrev_nc_u32_e32 v35, 29, v31
	v_sub_nc_u32_e32 v31, 30, v31
	v_lshlrev_b32_e32 v35, v35, v8
	v_cndmask_b32_e32 v31, v50, v31, vcc_lo
	v_and_b32_e32 v35, 3, v35
	v_lshl_add_u32 v31, v31, 23, 0x37800000
	v_cndmask_b32_e32 v19, v19, v35, vcc_lo
	v_and_b32_e32 v35, 0x80000000, v51
	v_lshlrev_b32_e32 v19, 21, v19
	v_or3_b32 v19, v35, v31, v19
.LBB4_8993:                             ;   in Loop: Header=BB4_8749 Depth=3
	s_or_b32 exec_lo, exec_lo, s73
	v_add_f32_e32 v19, v16, v19
	v_and_b32_e32 v16, 0x7f800000, v19
	v_cmp_ne_u32_e32 vcc_lo, 0x7f800000, v16
	v_mov_b32_e32 v16, 0x80
	s_and_saveexec_b32 s73, vcc_lo
	s_cbranch_execz .LBB4_9001
; %bb.8994:                             ;   in Loop: Header=BB4_8749 Depth=3
	v_mov_b32_e32 v16, 0
	s_mov_b32 s74, exec_lo
	v_cmpx_ne_u32_e32 0, v19
	s_cbranch_execz .LBB4_9000
; %bb.8995:                             ;   in Loop: Header=BB4_8749 Depth=3
	v_bfe_u32 v16, v19, 23, 8
	v_and_b32_e32 v31, 0x7fffff, v19
	v_sub_nc_u32_e32 v35, 0x70, v16
	v_cmp_gt_u32_e32 vcc_lo, 0x71, v16
	v_or_b32_e32 v50, 0x800000, v31
	v_cndmask_b32_e32 v35, 0, v35, vcc_lo
	v_cmp_eq_u32_e32 vcc_lo, 0, v16
	v_add_nc_u32_e32 v16, 0xffffff91, v16
	v_cndmask_b32_e64 v35, v35, 0x6f, vcc_lo
	v_cndmask_b32_e32 v31, v50, v31, vcc_lo
	v_cndmask_b32_e64 v16, v16, 0xffffff92, vcc_lo
	v_lshl_add_u32 v50, 0x200000, v35, -1
	v_lshrrev_b32_e32 v51, v35, v31
	v_lshlrev_b32_e64 v97, v35, 0x100000
	v_add_nc_u32_e32 v35, v35, v16
	v_and_b32_e32 v31, v50, v31
	v_bfe_u32 v96, v51, 21, 1
	v_cmp_eq_u32_e64 s17, v31, v97
	v_add_nc_u32_e32 v50, -1, v96
	v_cndmask_b32_e64 v31, 0, v50, s17
	v_lshrrev_b32_e32 v50, 23, v51
	s_mov_b32 s17, exec_lo
	v_add_nc_u32_e32 v31, v31, v51
	v_xor_b32_e32 v50, 1, v50
	v_and_b32_e32 v16, 0x1fffff, v31
	v_add_nc_u32_e32 v31, v16, v51
                                        ; implicit-def: $vgpr16
	v_cmpx_ne_u32_e64 v35, v50
	s_xor_b32 s17, exec_lo, s17
; %bb.8996:                             ;   in Loop: Header=BB4_8749 Depth=3
	v_cmp_lt_u32_e32 vcc_lo, 0xffffff, v31
	v_sub_nc_u32_e32 v16, v35, v50
	v_cndmask_b32_e64 v35, 0, 1, vcc_lo
	v_add_co_ci_u32_e64 v16, null, 0, v16, vcc_lo
	v_lshrrev_b32_e32 v31, v35, v31
; %bb.8997:                             ;   in Loop: Header=BB4_8749 Depth=3
	s_andn2_saveexec_b32 s17, s17
; %bb.8998:                             ;   in Loop: Header=BB4_8749 Depth=3
	v_bfe_u32 v16, v31, 23, 1
; %bb.8999:                             ;   in Loop: Header=BB4_8749 Depth=3
	s_or_b32 exec_lo, exec_lo, s17
	v_lshrrev_b32_e32 v31, 21, v31
	v_min_i32_e32 v35, 31, v16
	v_cmp_gt_i32_e32 vcc_lo, 32, v16
	v_and_b32_sdwa v19, v19, v101 dst_sel:DWORD dst_unused:UNUSED_PAD src0_sel:BYTE_3 src1_sel:DWORD
	v_lshlrev_b32_e32 v35, 2, v35
	v_cndmask_b32_e32 v31, 3, v31, vcc_lo
	v_and_b32_e32 v35, 0xfc, v35
	v_and_b32_e32 v50, 3, v31
	v_or_b32_e32 v16, v16, v31
	v_or3_b32 v19, v35, v19, v50
	v_cmp_ne_u32_e32 vcc_lo, 0, v16
	v_cndmask_b32_e32 v16, 0, v19, vcc_lo
.LBB4_9000:                             ;   in Loop: Header=BB4_8749 Depth=3
	s_or_b32 exec_lo, exec_lo, s74
.LBB4_9001:                             ;   in Loop: Header=BB4_8749 Depth=3
	s_or_b32 exec_lo, exec_lo, s73
	v_cmp_gt_i16_sdwa s73, v1, v100 src0_sel:BYTE_1 src1_sel:DWORD
	s_mov_b32 s17, 0
	s_and_saveexec_b32 s74, s73
	s_xor_b32 s73, exec_lo, s74
	s_cbranch_execz .LBB4_9335
; %bb.9002:                             ;   in Loop: Header=BB4_8749 Depth=3
	v_cmp_eq_u16_sdwa s75, v1, v101 src0_sel:BYTE_1 src1_sel:DWORD
	s_mov_b32 s17, -1
	s_and_saveexec_b32 s74, s75
; %bb.9003:                             ;   in Loop: Header=BB4_8749 Depth=3
	s_xor_b32 s17, exec_lo, -1
; %bb.9004:                             ;   in Loop: Header=BB4_8749 Depth=3
	s_or_b32 exec_lo, exec_lo, s74
	s_and_b32 s17, s17, exec_lo
	s_or_saveexec_b32 s73, s73
	v_mov_b32_e32 v19, 0x7f800001
	s_xor_b32 exec_lo, exec_lo, s73
	s_cbranch_execnz .LBB4_9336
.LBB4_9005:                             ;   in Loop: Header=BB4_8749 Depth=3
	s_or_b32 exec_lo, exec_lo, s73
	s_and_saveexec_b32 s73, s17
	s_cbranch_execz .LBB4_9007
.LBB4_9006:                             ;   in Loop: Header=BB4_8749 Depth=3
	v_and_b32_sdwa v19, v102, v1 dst_sel:DWORD dst_unused:UNUSED_PAD src0_sel:DWORD src1_sel:BYTE_1
	v_and_b32_e32 v31, 3, v19
	v_bfe_u32 v51, v19, 2, 5
	v_ffbh_u32_e32 v35, v31
	v_cmp_eq_u32_e32 vcc_lo, 0, v51
	v_min_u32_e32 v35, 32, v35
	v_subrev_nc_u32_e32 v50, 29, v35
	v_sub_nc_u32_e32 v35, 30, v35
	v_lshlrev_b32_e32 v19, v50, v19
	v_lshlrev_b32_sdwa v50, v103, v1 dst_sel:DWORD dst_unused:UNUSED_PAD src0_sel:DWORD src1_sel:BYTE_1
	v_cndmask_b32_e32 v35, v51, v35, vcc_lo
	v_and_b32_e32 v19, 3, v19
	v_lshl_add_u32 v35, v35, 23, 0x37800000
	v_cndmask_b32_e32 v19, v31, v19, vcc_lo
	v_and_b32_e32 v31, 0x80000000, v50
	v_lshlrev_b32_e32 v19, 21, v19
	v_or3_b32 v19, v31, v35, v19
.LBB4_9007:                             ;   in Loop: Header=BB4_8749 Depth=3
	s_or_b32 exec_lo, exec_lo, s73
	v_cmp_gt_i16_sdwa s73, v8, v100 src0_sel:BYTE_1 src1_sel:DWORD
	s_mov_b32 s17, 0
	s_and_saveexec_b32 s74, s73
	s_xor_b32 s73, exec_lo, s74
	s_cbranch_execz .LBB4_9337
; %bb.9008:                             ;   in Loop: Header=BB4_8749 Depth=3
	v_cmp_eq_u16_sdwa s75, v8, v101 src0_sel:BYTE_1 src1_sel:DWORD
	s_mov_b32 s17, -1
	s_and_saveexec_b32 s74, s75
; %bb.9009:                             ;   in Loop: Header=BB4_8749 Depth=3
	s_xor_b32 s17, exec_lo, -1
; %bb.9010:                             ;   in Loop: Header=BB4_8749 Depth=3
	s_or_b32 exec_lo, exec_lo, s74
	s_and_b32 s17, s17, exec_lo
	s_or_saveexec_b32 s73, s73
	v_mov_b32_e32 v31, 0x7f800001
	s_xor_b32 exec_lo, exec_lo, s73
	s_cbranch_execnz .LBB4_9338
.LBB4_9011:                             ;   in Loop: Header=BB4_8749 Depth=3
	s_or_b32 exec_lo, exec_lo, s73
	s_and_saveexec_b32 s73, s17
	s_cbranch_execz .LBB4_9013
.LBB4_9012:                             ;   in Loop: Header=BB4_8749 Depth=3
	v_and_b32_sdwa v31, v102, v8 dst_sel:DWORD dst_unused:UNUSED_PAD src0_sel:DWORD src1_sel:BYTE_1
	v_and_b32_e32 v35, 3, v31
	v_bfe_u32 v96, v31, 2, 5
	v_ffbh_u32_e32 v50, v35
	v_cmp_eq_u32_e32 vcc_lo, 0, v96
	v_min_u32_e32 v50, 32, v50
	v_subrev_nc_u32_e32 v51, 29, v50
	v_sub_nc_u32_e32 v50, 30, v50
	v_lshlrev_b32_e32 v31, v51, v31
	v_lshlrev_b32_sdwa v51, v103, v8 dst_sel:DWORD dst_unused:UNUSED_PAD src0_sel:DWORD src1_sel:BYTE_1
	v_cndmask_b32_e32 v50, v96, v50, vcc_lo
	v_and_b32_e32 v31, 3, v31
	v_lshl_add_u32 v50, v50, 23, 0x37800000
	v_cndmask_b32_e32 v31, v35, v31, vcc_lo
	v_and_b32_e32 v35, 0x80000000, v51
	v_lshlrev_b32_e32 v31, 21, v31
	v_or3_b32 v31, v35, v50, v31
.LBB4_9013:                             ;   in Loop: Header=BB4_8749 Depth=3
	s_or_b32 exec_lo, exec_lo, s73
	v_add_f32_e32 v31, v19, v31
	v_and_b32_e32 v19, 0x7f800000, v31
	v_cmp_ne_u32_e32 vcc_lo, 0x7f800000, v19
	v_mov_b32_e32 v19, 0x8000
	s_and_saveexec_b32 s73, vcc_lo
	s_cbranch_execz .LBB4_9021
; %bb.9014:                             ;   in Loop: Header=BB4_8749 Depth=3
	v_mov_b32_e32 v19, 0
	s_mov_b32 s74, exec_lo
	v_cmpx_ne_u32_e32 0, v31
	s_cbranch_execz .LBB4_9020
; %bb.9015:                             ;   in Loop: Header=BB4_8749 Depth=3
	v_bfe_u32 v19, v31, 23, 8
	v_and_b32_e32 v35, 0x7fffff, v31
	v_sub_nc_u32_e32 v50, 0x70, v19
	v_cmp_gt_u32_e32 vcc_lo, 0x71, v19
	v_or_b32_e32 v51, 0x800000, v35
	v_cndmask_b32_e32 v50, 0, v50, vcc_lo
	v_cmp_eq_u32_e32 vcc_lo, 0, v19
	v_add_nc_u32_e32 v19, 0xffffff91, v19
	v_cndmask_b32_e64 v50, v50, 0x6f, vcc_lo
	v_cndmask_b32_e32 v35, v51, v35, vcc_lo
	v_cndmask_b32_e64 v19, v19, 0xffffff92, vcc_lo
	v_lshl_add_u32 v51, 0x200000, v50, -1
	v_lshrrev_b32_e32 v96, v50, v35
	v_lshlrev_b32_e64 v115, v50, 0x100000
	v_add_nc_u32_e32 v50, v50, v19
	v_and_b32_e32 v35, v51, v35
	v_bfe_u32 v97, v96, 21, 1
	v_cmp_eq_u32_e64 s17, v35, v115
	v_add_nc_u32_e32 v51, -1, v97
	v_cndmask_b32_e64 v35, 0, v51, s17
	v_lshrrev_b32_e32 v51, 23, v96
	s_mov_b32 s17, exec_lo
	v_add_nc_u32_e32 v35, v35, v96
	v_xor_b32_e32 v51, 1, v51
	v_and_b32_e32 v19, 0x1fffff, v35
	v_add_nc_u32_e32 v35, v19, v96
                                        ; implicit-def: $vgpr19
	v_cmpx_ne_u32_e64 v50, v51
	s_xor_b32 s17, exec_lo, s17
; %bb.9016:                             ;   in Loop: Header=BB4_8749 Depth=3
	v_cmp_lt_u32_e32 vcc_lo, 0xffffff, v35
	v_sub_nc_u32_e32 v19, v50, v51
	v_cndmask_b32_e64 v50, 0, 1, vcc_lo
	v_add_co_ci_u32_e64 v19, null, 0, v19, vcc_lo
	v_lshrrev_b32_e32 v35, v50, v35
; %bb.9017:                             ;   in Loop: Header=BB4_8749 Depth=3
	s_andn2_saveexec_b32 s17, s17
; %bb.9018:                             ;   in Loop: Header=BB4_8749 Depth=3
	v_bfe_u32 v19, v35, 23, 1
; %bb.9019:                             ;   in Loop: Header=BB4_8749 Depth=3
	s_or_b32 exec_lo, exec_lo, s17
	v_lshrrev_b32_e32 v35, 21, v35
	v_min_i32_e32 v50, 31, v19
	v_cmp_gt_i32_e32 vcc_lo, 32, v19
	v_and_b32_sdwa v31, v31, v101 dst_sel:DWORD dst_unused:UNUSED_PAD src0_sel:BYTE_3 src1_sel:DWORD
	v_lshlrev_b32_e32 v50, 2, v50
	v_cndmask_b32_e32 v35, 3, v35, vcc_lo
	v_and_b32_e32 v50, 0xfc, v50
	v_and_b32_e32 v51, 3, v35
	v_or_b32_e32 v19, v19, v35
	v_or3_b32 v31, v31, v50, v51
	v_cmp_ne_u32_e32 vcc_lo, 0, v19
	v_lshlrev_b32_e32 v31, 8, v31
	v_cndmask_b32_e32 v19, 0, v31, vcc_lo
.LBB4_9020:                             ;   in Loop: Header=BB4_8749 Depth=3
	s_or_b32 exec_lo, exec_lo, s74
.LBB4_9021:                             ;   in Loop: Header=BB4_8749 Depth=3
	s_or_b32 exec_lo, exec_lo, s73
	v_or_b32_e32 v31, v34, v30
	s_mov_b32 s17, 0
	v_cmp_gt_i16_sdwa s73, v31, v100 src0_sel:BYTE_0 src1_sel:DWORD
	s_and_saveexec_b32 s74, s73
	s_xor_b32 s73, exec_lo, s74
	s_cbranch_execz .LBB4_9339
; %bb.9022:                             ;   in Loop: Header=BB4_8749 Depth=3
	v_cmp_eq_u16_sdwa s75, v31, v101 src0_sel:BYTE_0 src1_sel:DWORD
	s_mov_b32 s17, -1
	s_and_saveexec_b32 s74, s75
; %bb.9023:                             ;   in Loop: Header=BB4_8749 Depth=3
	s_xor_b32 s17, exec_lo, -1
; %bb.9024:                             ;   in Loop: Header=BB4_8749 Depth=3
	s_or_b32 exec_lo, exec_lo, s74
	s_and_b32 s17, s17, exec_lo
	s_or_saveexec_b32 s73, s73
	v_mov_b32_e32 v30, 0x7f800001
	s_xor_b32 exec_lo, exec_lo, s73
	s_cbranch_execnz .LBB4_9340
.LBB4_9025:                             ;   in Loop: Header=BB4_8749 Depth=3
	s_or_b32 exec_lo, exec_lo, s73
	v_lshl_or_b32 v1, v31, 16, v1
	s_and_saveexec_b32 s73, s17
	s_cbranch_execz .LBB4_9027
.LBB4_9026:                             ;   in Loop: Header=BB4_8749 Depth=3
	v_bfe_u32 v30, v1, 16, 2
	v_bfe_u32 v35, v1, 18, 5
	v_lshlrev_b32_e32 v50, 8, v1
	v_ffbh_u32_e32 v31, v30
	v_cmp_eq_u32_e32 vcc_lo, 0, v35
	v_min_u32_e32 v31, 32, v31
	v_subrev_nc_u32_e32 v34, 29, v31
	v_sub_nc_u32_e32 v31, 30, v31
	v_lshlrev_b32_sdwa v34, v34, v1 dst_sel:DWORD dst_unused:UNUSED_PAD src0_sel:DWORD src1_sel:WORD_1
	v_cndmask_b32_e32 v31, v35, v31, vcc_lo
	v_and_b32_e32 v34, 3, v34
	v_lshl_add_u32 v31, v31, 23, 0x37800000
	v_cndmask_b32_e32 v30, v30, v34, vcc_lo
	v_and_b32_e32 v34, 0x80000000, v50
	v_lshlrev_b32_e32 v30, 21, v30
	v_or3_b32 v30, v34, v31, v30
.LBB4_9027:                             ;   in Loop: Header=BB4_8749 Depth=3
	s_or_b32 exec_lo, exec_lo, s73
	v_and_b32_sdwa v34, v8, v112 dst_sel:DWORD dst_unused:UNUSED_PAD src0_sel:WORD_1 src1_sel:DWORD
	s_mov_b32 s17, 0
	s_mov_b32 s73, exec_lo
	v_cmpx_lt_i16_e32 0x7f, v34
	s_xor_b32 s73, exec_lo, s73
	s_cbranch_execz .LBB4_9341
; %bb.9028:                             ;   in Loop: Header=BB4_8749 Depth=3
	s_mov_b32 s17, -1
	s_mov_b32 s74, exec_lo
	v_cmpx_eq_u16_e32 0x80, v34
; %bb.9029:                             ;   in Loop: Header=BB4_8749 Depth=3
	s_xor_b32 s17, exec_lo, -1
; %bb.9030:                             ;   in Loop: Header=BB4_8749 Depth=3
	s_or_b32 exec_lo, exec_lo, s74
	s_and_b32 s17, s17, exec_lo
                                        ; implicit-def: $vgpr34
	s_or_saveexec_b32 s73, s73
	v_mov_b32_e32 v31, 0x7f800001
	s_xor_b32 exec_lo, exec_lo, s73
	s_cbranch_execnz .LBB4_9342
.LBB4_9031:                             ;   in Loop: Header=BB4_8749 Depth=3
	s_or_b32 exec_lo, exec_lo, s73
	s_and_saveexec_b32 s73, s17
	s_cbranch_execz .LBB4_9033
.LBB4_9032:                             ;   in Loop: Header=BB4_8749 Depth=3
	v_and_b32_sdwa v31, v8, v114 dst_sel:DWORD dst_unused:UNUSED_PAD src0_sel:WORD_1 src1_sel:DWORD
	v_bfe_u32 v50, v8, 18, 5
	v_lshlrev_b32_sdwa v51, v103, v8 dst_sel:DWORD dst_unused:UNUSED_PAD src0_sel:DWORD src1_sel:WORD_1
	v_ffbh_u32_e32 v34, v31
	v_cmp_eq_u32_e32 vcc_lo, 0, v50
	v_min_u32_e32 v34, 32, v34
	v_subrev_nc_u32_e32 v35, 29, v34
	v_sub_nc_u32_e32 v34, 30, v34
	v_lshlrev_b32_sdwa v35, v35, v8 dst_sel:DWORD dst_unused:UNUSED_PAD src0_sel:DWORD src1_sel:WORD_1
	v_cndmask_b32_e32 v34, v50, v34, vcc_lo
	v_and_b32_e32 v35, 3, v35
	v_lshl_add_u32 v34, v34, 23, 0x37800000
	v_cndmask_b32_e32 v31, v31, v35, vcc_lo
	v_and_b32_e32 v35, 0x80000000, v51
	v_lshlrev_b32_e32 v31, 21, v31
	v_or3_b32 v31, v35, v34, v31
.LBB4_9033:                             ;   in Loop: Header=BB4_8749 Depth=3
	s_or_b32 exec_lo, exec_lo, s73
	v_add_f32_e32 v31, v30, v31
	v_and_b32_e32 v30, 0x7f800000, v31
	v_cmp_ne_u32_e32 vcc_lo, 0x7f800000, v30
	v_mov_b32_e32 v30, 0x80
	s_and_saveexec_b32 s73, vcc_lo
	s_cbranch_execz .LBB4_9041
; %bb.9034:                             ;   in Loop: Header=BB4_8749 Depth=3
	v_mov_b32_e32 v30, 0
	s_mov_b32 s74, exec_lo
	v_cmpx_ne_u32_e32 0, v31
	s_cbranch_execz .LBB4_9040
; %bb.9035:                             ;   in Loop: Header=BB4_8749 Depth=3
	v_bfe_u32 v30, v31, 23, 8
	v_and_b32_e32 v34, 0x7fffff, v31
	v_sub_nc_u32_e32 v35, 0x70, v30
	v_cmp_gt_u32_e32 vcc_lo, 0x71, v30
	v_or_b32_e32 v50, 0x800000, v34
	v_cndmask_b32_e32 v35, 0, v35, vcc_lo
	v_cmp_eq_u32_e32 vcc_lo, 0, v30
	v_add_nc_u32_e32 v30, 0xffffff91, v30
	v_cndmask_b32_e64 v35, v35, 0x6f, vcc_lo
	v_cndmask_b32_e32 v34, v50, v34, vcc_lo
	v_cndmask_b32_e64 v30, v30, 0xffffff92, vcc_lo
	v_lshl_add_u32 v50, 0x200000, v35, -1
	v_lshrrev_b32_e32 v51, v35, v34
	v_lshlrev_b32_e64 v97, v35, 0x100000
	v_add_nc_u32_e32 v35, v35, v30
	v_and_b32_e32 v34, v50, v34
	v_bfe_u32 v96, v51, 21, 1
	v_cmp_eq_u32_e64 s17, v34, v97
	v_add_nc_u32_e32 v50, -1, v96
	v_cndmask_b32_e64 v34, 0, v50, s17
	v_lshrrev_b32_e32 v50, 23, v51
	s_mov_b32 s17, exec_lo
	v_add_nc_u32_e32 v34, v34, v51
	v_xor_b32_e32 v50, 1, v50
	v_and_b32_e32 v30, 0x1fffff, v34
	v_add_nc_u32_e32 v34, v30, v51
                                        ; implicit-def: $vgpr30
	v_cmpx_ne_u32_e64 v35, v50
	s_xor_b32 s17, exec_lo, s17
; %bb.9036:                             ;   in Loop: Header=BB4_8749 Depth=3
	v_cmp_lt_u32_e32 vcc_lo, 0xffffff, v34
	v_sub_nc_u32_e32 v30, v35, v50
	v_cndmask_b32_e64 v35, 0, 1, vcc_lo
	v_add_co_ci_u32_e64 v30, null, 0, v30, vcc_lo
	v_lshrrev_b32_e32 v34, v35, v34
; %bb.9037:                             ;   in Loop: Header=BB4_8749 Depth=3
	s_andn2_saveexec_b32 s17, s17
; %bb.9038:                             ;   in Loop: Header=BB4_8749 Depth=3
	v_bfe_u32 v30, v34, 23, 1
; %bb.9039:                             ;   in Loop: Header=BB4_8749 Depth=3
	s_or_b32 exec_lo, exec_lo, s17
	v_lshrrev_b32_e32 v34, 21, v34
	v_min_i32_e32 v35, 31, v30
	v_cmp_gt_i32_e32 vcc_lo, 32, v30
	v_and_b32_sdwa v31, v31, v101 dst_sel:DWORD dst_unused:UNUSED_PAD src0_sel:BYTE_3 src1_sel:DWORD
	v_lshlrev_b32_e32 v35, 2, v35
	v_cndmask_b32_e32 v34, 3, v34, vcc_lo
	v_and_b32_e32 v35, 0xfc, v35
	v_and_b32_e32 v50, 3, v34
	v_or_b32_e32 v30, v30, v34
	v_or3_b32 v31, v35, v31, v50
	v_cmp_ne_u32_e32 vcc_lo, 0, v30
	v_cndmask_b32_e32 v30, 0, v31, vcc_lo
.LBB4_9040:                             ;   in Loop: Header=BB4_8749 Depth=3
	s_or_b32 exec_lo, exec_lo, s74
.LBB4_9041:                             ;   in Loop: Header=BB4_8749 Depth=3
	s_or_b32 exec_lo, exec_lo, s73
	v_cmp_gt_i16_sdwa s73, v1, v100 src0_sel:BYTE_3 src1_sel:DWORD
	s_mov_b32 s17, 0
	s_and_saveexec_b32 s74, s73
	s_xor_b32 s73, exec_lo, s74
	s_cbranch_execz .LBB4_9343
; %bb.9042:                             ;   in Loop: Header=BB4_8749 Depth=3
	v_cmp_eq_u16_sdwa s75, v1, v101 src0_sel:BYTE_3 src1_sel:DWORD
	s_mov_b32 s17, -1
	s_and_saveexec_b32 s74, s75
; %bb.9043:                             ;   in Loop: Header=BB4_8749 Depth=3
	s_xor_b32 s17, exec_lo, -1
; %bb.9044:                             ;   in Loop: Header=BB4_8749 Depth=3
	s_or_b32 exec_lo, exec_lo, s74
	s_and_b32 s17, s17, exec_lo
	s_or_saveexec_b32 s73, s73
	v_mov_b32_e32 v31, 0x7f800001
	s_xor_b32 exec_lo, exec_lo, s73
	s_cbranch_execnz .LBB4_9344
.LBB4_9045:                             ;   in Loop: Header=BB4_8749 Depth=3
	s_or_b32 exec_lo, exec_lo, s73
	s_and_saveexec_b32 s73, s17
	s_cbranch_execz .LBB4_9047
.LBB4_9046:                             ;   in Loop: Header=BB4_8749 Depth=3
	v_bfe_u32 v31, v1, 24, 2
	v_bfe_u32 v50, v1, 26, 5
	v_ffbh_u32_e32 v34, v31
	v_cmp_eq_u32_e32 vcc_lo, 0, v50
	v_min_u32_e32 v34, 32, v34
	v_subrev_nc_u32_e32 v35, 29, v34
	v_sub_nc_u32_e32 v34, 30, v34
	v_lshlrev_b32_sdwa v35, v35, v1 dst_sel:DWORD dst_unused:UNUSED_PAD src0_sel:DWORD src1_sel:BYTE_3
	v_cndmask_b32_e32 v34, v50, v34, vcc_lo
	v_and_b32_e32 v1, 0x80000000, v1
	v_and_b32_e32 v35, 3, v35
	v_lshl_add_u32 v34, v34, 23, 0x37800000
	v_cndmask_b32_e32 v31, v31, v35, vcc_lo
	v_lshlrev_b32_e32 v31, 21, v31
	v_or3_b32 v31, v1, v34, v31
.LBB4_9047:                             ;   in Loop: Header=BB4_8749 Depth=3
	s_or_b32 exec_lo, exec_lo, s73
	v_cmp_gt_i16_sdwa s73, v8, v100 src0_sel:BYTE_3 src1_sel:DWORD
	s_mov_b32 s17, 0
	s_and_saveexec_b32 s74, s73
	s_xor_b32 s73, exec_lo, s74
	s_cbranch_execz .LBB4_9345
; %bb.9048:                             ;   in Loop: Header=BB4_8749 Depth=3
	v_cmp_eq_u16_sdwa s75, v8, v101 src0_sel:BYTE_3 src1_sel:DWORD
	s_mov_b32 s17, -1
	s_and_saveexec_b32 s74, s75
; %bb.9049:                             ;   in Loop: Header=BB4_8749 Depth=3
	s_xor_b32 s17, exec_lo, -1
; %bb.9050:                             ;   in Loop: Header=BB4_8749 Depth=3
	s_or_b32 exec_lo, exec_lo, s74
	s_and_b32 s17, s17, exec_lo
	s_or_saveexec_b32 s73, s73
	v_mov_b32_e32 v1, 0x7f800001
	s_xor_b32 exec_lo, exec_lo, s73
	s_cbranch_execnz .LBB4_9346
.LBB4_9051:                             ;   in Loop: Header=BB4_8749 Depth=3
	s_or_b32 exec_lo, exec_lo, s73
	s_and_saveexec_b32 s73, s17
	s_cbranch_execz .LBB4_9053
.LBB4_9052:                             ;   in Loop: Header=BB4_8749 Depth=3
	v_and_b32_sdwa v1, v8, v114 dst_sel:DWORD dst_unused:UNUSED_PAD src0_sel:BYTE_3 src1_sel:DWORD
	v_bfe_u32 v50, v8, 26, 5
	v_ffbh_u32_e32 v34, v1
	v_cmp_eq_u32_e32 vcc_lo, 0, v50
	v_min_u32_e32 v34, 32, v34
	v_subrev_nc_u32_e32 v35, 29, v34
	v_sub_nc_u32_e32 v34, 30, v34
	v_lshlrev_b32_sdwa v35, v35, v8 dst_sel:DWORD dst_unused:UNUSED_PAD src0_sel:DWORD src1_sel:BYTE_3
	v_cndmask_b32_e32 v34, v50, v34, vcc_lo
	v_and_b32_e32 v8, 0x80000000, v8
	v_and_b32_e32 v35, 3, v35
	v_lshl_add_u32 v34, v34, 23, 0x37800000
	v_cndmask_b32_e32 v1, v1, v35, vcc_lo
	v_lshlrev_b32_e32 v1, 21, v1
	v_or3_b32 v1, v8, v34, v1
.LBB4_9053:                             ;   in Loop: Header=BB4_8749 Depth=3
	s_or_b32 exec_lo, exec_lo, s73
	v_add_f32_e32 v1, v31, v1
	v_and_b32_e32 v8, 0x7f800000, v1
	v_cmp_ne_u32_e32 vcc_lo, 0x7f800000, v8
	v_mov_b32_e32 v8, 0x8000
	s_and_saveexec_b32 s73, vcc_lo
	s_cbranch_execz .LBB4_9061
; %bb.9054:                             ;   in Loop: Header=BB4_8749 Depth=3
	v_mov_b32_e32 v8, 0
	s_mov_b32 s74, exec_lo
	v_cmpx_ne_u32_e32 0, v1
	s_cbranch_execz .LBB4_9060
; %bb.9055:                             ;   in Loop: Header=BB4_8749 Depth=3
	v_bfe_u32 v8, v1, 23, 8
	v_and_b32_e32 v31, 0x7fffff, v1
	v_sub_nc_u32_e32 v34, 0x70, v8
	v_cmp_gt_u32_e32 vcc_lo, 0x71, v8
	v_or_b32_e32 v35, 0x800000, v31
	v_cndmask_b32_e32 v34, 0, v34, vcc_lo
	v_cmp_eq_u32_e32 vcc_lo, 0, v8
	v_add_nc_u32_e32 v8, 0xffffff91, v8
	v_cndmask_b32_e64 v34, v34, 0x6f, vcc_lo
	v_cndmask_b32_e32 v31, v35, v31, vcc_lo
	v_cndmask_b32_e64 v8, v8, 0xffffff92, vcc_lo
	v_lshl_add_u32 v35, 0x200000, v34, -1
	v_lshrrev_b32_e32 v50, v34, v31
	v_lshlrev_b32_e64 v96, v34, 0x100000
	v_add_nc_u32_e32 v34, v34, v8
	v_and_b32_e32 v31, v35, v31
	v_bfe_u32 v51, v50, 21, 1
	v_cmp_eq_u32_e64 s17, v31, v96
	v_add_nc_u32_e32 v35, -1, v51
	v_cndmask_b32_e64 v31, 0, v35, s17
	v_lshrrev_b32_e32 v35, 23, v50
	s_mov_b32 s17, exec_lo
	v_add_nc_u32_e32 v31, v31, v50
	v_xor_b32_e32 v35, 1, v35
	v_and_b32_e32 v8, 0x1fffff, v31
	v_add_nc_u32_e32 v31, v8, v50
                                        ; implicit-def: $vgpr8
	v_cmpx_ne_u32_e64 v34, v35
	s_xor_b32 s17, exec_lo, s17
; %bb.9056:                             ;   in Loop: Header=BB4_8749 Depth=3
	v_cmp_lt_u32_e32 vcc_lo, 0xffffff, v31
	v_sub_nc_u32_e32 v8, v34, v35
	v_cndmask_b32_e64 v34, 0, 1, vcc_lo
	v_add_co_ci_u32_e64 v8, null, 0, v8, vcc_lo
	v_lshrrev_b32_e32 v31, v34, v31
; %bb.9057:                             ;   in Loop: Header=BB4_8749 Depth=3
	s_andn2_saveexec_b32 s17, s17
; %bb.9058:                             ;   in Loop: Header=BB4_8749 Depth=3
	v_bfe_u32 v8, v31, 23, 1
; %bb.9059:                             ;   in Loop: Header=BB4_8749 Depth=3
	s_or_b32 exec_lo, exec_lo, s17
	v_lshrrev_b32_e32 v31, 21, v31
	v_min_i32_e32 v34, 31, v8
	v_cmp_gt_i32_e32 vcc_lo, 32, v8
	v_and_b32_sdwa v1, v1, v101 dst_sel:DWORD dst_unused:UNUSED_PAD src0_sel:BYTE_3 src1_sel:DWORD
	v_lshlrev_b32_e32 v34, 2, v34
	v_cndmask_b32_e32 v31, 3, v31, vcc_lo
	v_and_b32_e32 v34, 0xfc, v34
	v_and_b32_e32 v35, 3, v31
	v_or_b32_e32 v8, v8, v31
	v_or3_b32 v1, v1, v34, v35
	v_cmp_ne_u32_e32 vcc_lo, 0, v8
	v_lshlrev_b32_e32 v1, 8, v1
	v_cndmask_b32_e32 v8, 0, v1, vcc_lo
.LBB4_9060:                             ;   in Loop: Header=BB4_8749 Depth=3
	s_or_b32 exec_lo, exec_lo, s74
.LBB4_9061:                             ;   in Loop: Header=BB4_8749 Depth=3
	s_or_b32 exec_lo, exec_lo, s73
	v_or_b32_e32 v1, v63, v83
	s_mov_b32 s17, 0
	v_cmp_gt_i16_sdwa s73, v1, v100 src0_sel:BYTE_0 src1_sel:DWORD
	s_and_saveexec_b32 s74, s73
	s_xor_b32 s73, exec_lo, s74
	s_cbranch_execz .LBB4_9347
; %bb.9062:                             ;   in Loop: Header=BB4_8749 Depth=3
	v_cmp_eq_u16_sdwa s75, v1, v101 src0_sel:BYTE_0 src1_sel:DWORD
	s_mov_b32 s17, -1
	s_and_saveexec_b32 s74, s75
; %bb.9063:                             ;   in Loop: Header=BB4_8749 Depth=3
	s_xor_b32 s17, exec_lo, -1
; %bb.9064:                             ;   in Loop: Header=BB4_8749 Depth=3
	s_or_b32 exec_lo, exec_lo, s74
	s_and_b32 s17, s17, exec_lo
	s_or_saveexec_b32 s73, s73
	v_mov_b32_e32 v31, 0x7f800001
	s_xor_b32 exec_lo, exec_lo, s73
	s_cbranch_execnz .LBB4_9348
.LBB4_9065:                             ;   in Loop: Header=BB4_8749 Depth=3
	s_or_b32 exec_lo, exec_lo, s73
	s_and_saveexec_b32 s73, s17
	s_cbranch_execz .LBB4_9067
.LBB4_9066:                             ;   in Loop: Header=BB4_8749 Depth=3
	v_and_b32_e32 v31, 3, v1
	v_bfe_u32 v50, v1, 2, 5
	v_lshlrev_b32_e32 v51, 24, v1
	v_ffbh_u32_e32 v34, v31
	v_cmp_eq_u32_e32 vcc_lo, 0, v50
	v_min_u32_e32 v34, 32, v34
	v_subrev_nc_u32_e32 v35, 29, v34
	v_sub_nc_u32_e32 v34, 30, v34
	v_lshlrev_b32_e32 v35, v35, v1
	v_cndmask_b32_e32 v34, v50, v34, vcc_lo
	v_and_b32_e32 v35, 3, v35
	v_lshl_add_u32 v34, v34, 23, 0x37800000
	v_cndmask_b32_e32 v31, v31, v35, vcc_lo
	v_and_b32_e32 v35, 0x80000000, v51
	v_lshlrev_b32_e32 v31, 21, v31
	v_or3_b32 v31, v35, v34, v31
.LBB4_9067:                             ;   in Loop: Header=BB4_8749 Depth=3
	s_or_b32 exec_lo, exec_lo, s73
	v_cmp_gt_i16_sdwa s73, v9, v100 src0_sel:BYTE_0 src1_sel:DWORD
	s_mov_b32 s17, 0
	s_and_saveexec_b32 s74, s73
	s_xor_b32 s73, exec_lo, s74
	s_cbranch_execz .LBB4_9349
; %bb.9068:                             ;   in Loop: Header=BB4_8749 Depth=3
	v_cmp_eq_u16_sdwa s75, v9, v101 src0_sel:BYTE_0 src1_sel:DWORD
	s_mov_b32 s17, -1
	s_and_saveexec_b32 s74, s75
; %bb.9069:                             ;   in Loop: Header=BB4_8749 Depth=3
	s_xor_b32 s17, exec_lo, -1
; %bb.9070:                             ;   in Loop: Header=BB4_8749 Depth=3
	s_or_b32 exec_lo, exec_lo, s74
	s_and_b32 s17, s17, exec_lo
	s_or_saveexec_b32 s73, s73
	v_mov_b32_e32 v34, 0x7f800001
	s_xor_b32 exec_lo, exec_lo, s73
	s_cbranch_execnz .LBB4_9350
.LBB4_9071:                             ;   in Loop: Header=BB4_8749 Depth=3
	s_or_b32 exec_lo, exec_lo, s73
	s_and_saveexec_b32 s73, s17
	s_cbranch_execz .LBB4_9073
.LBB4_9072:                             ;   in Loop: Header=BB4_8749 Depth=3
	v_and_b32_e32 v34, 3, v9
	v_bfe_u32 v51, v9, 2, 5
	v_lshlrev_b32_e32 v83, 24, v9
	v_ffbh_u32_e32 v35, v34
	v_cmp_eq_u32_e32 vcc_lo, 0, v51
	v_min_u32_e32 v35, 32, v35
	v_subrev_nc_u32_e32 v50, 29, v35
	v_sub_nc_u32_e32 v35, 30, v35
	v_lshlrev_b32_e32 v50, v50, v9
	v_cndmask_b32_e32 v35, v51, v35, vcc_lo
	v_and_b32_e32 v50, 3, v50
	v_lshl_add_u32 v35, v35, 23, 0x37800000
	v_cndmask_b32_e32 v34, v34, v50, vcc_lo
	v_and_b32_e32 v50, 0x80000000, v83
	v_lshlrev_b32_e32 v34, 21, v34
	v_or3_b32 v34, v50, v35, v34
.LBB4_9073:                             ;   in Loop: Header=BB4_8749 Depth=3
	s_or_b32 exec_lo, exec_lo, s73
	v_add_f32_e32 v31, v31, v34
	v_mov_b32_e32 v83, 0x80
	s_mov_b32 s73, exec_lo
	v_and_b32_e32 v34, 0x7f800000, v31
	v_cmpx_ne_u32_e32 0x7f800000, v34
	s_cbranch_execz .LBB4_9081
; %bb.9074:                             ;   in Loop: Header=BB4_8749 Depth=3
	v_mov_b32_e32 v83, 0
	s_mov_b32 s74, exec_lo
	v_cmpx_ne_u32_e32 0, v31
	s_cbranch_execz .LBB4_9080
; %bb.9075:                             ;   in Loop: Header=BB4_8749 Depth=3
	v_bfe_u32 v34, v31, 23, 8
	v_and_b32_e32 v35, 0x7fffff, v31
	v_sub_nc_u32_e32 v50, 0x70, v34
	v_cmp_gt_u32_e32 vcc_lo, 0x71, v34
	v_or_b32_e32 v51, 0x800000, v35
	v_cndmask_b32_e32 v50, 0, v50, vcc_lo
	v_cmp_eq_u32_e32 vcc_lo, 0, v34
	v_add_nc_u32_e32 v34, 0xffffff91, v34
	v_cndmask_b32_e64 v50, v50, 0x6f, vcc_lo
	v_cndmask_b32_e32 v35, v51, v35, vcc_lo
	v_cndmask_b32_e64 v34, v34, 0xffffff92, vcc_lo
	v_lshl_add_u32 v51, 0x200000, v50, -1
	v_lshrrev_b32_e32 v83, v50, v35
	v_lshlrev_b32_e64 v97, v50, 0x100000
	v_add_nc_u32_e32 v50, v50, v34
	v_and_b32_e32 v35, v51, v35
	v_bfe_u32 v96, v83, 21, 1
	v_cmp_eq_u32_e64 s17, v35, v97
	v_add_nc_u32_e32 v51, -1, v96
	v_cndmask_b32_e64 v35, 0, v51, s17
	v_lshrrev_b32_e32 v51, 23, v83
	s_mov_b32 s17, exec_lo
	v_add_nc_u32_e32 v35, v35, v83
	v_xor_b32_e32 v51, 1, v51
	v_and_b32_e32 v34, 0x1fffff, v35
	v_add_nc_u32_e32 v35, v34, v83
                                        ; implicit-def: $vgpr34
	v_cmpx_ne_u32_e64 v50, v51
	s_xor_b32 s17, exec_lo, s17
; %bb.9076:                             ;   in Loop: Header=BB4_8749 Depth=3
	v_cmp_lt_u32_e32 vcc_lo, 0xffffff, v35
	v_sub_nc_u32_e32 v34, v50, v51
	v_cndmask_b32_e64 v50, 0, 1, vcc_lo
	v_add_co_ci_u32_e64 v34, null, 0, v34, vcc_lo
	v_lshrrev_b32_e32 v35, v50, v35
; %bb.9077:                             ;   in Loop: Header=BB4_8749 Depth=3
	s_andn2_saveexec_b32 s17, s17
; %bb.9078:                             ;   in Loop: Header=BB4_8749 Depth=3
	v_bfe_u32 v34, v35, 23, 1
; %bb.9079:                             ;   in Loop: Header=BB4_8749 Depth=3
	s_or_b32 exec_lo, exec_lo, s17
	v_lshrrev_b32_e32 v35, 21, v35
	v_min_i32_e32 v50, 31, v34
	v_cmp_gt_i32_e32 vcc_lo, 32, v34
	v_and_b32_sdwa v31, v31, v101 dst_sel:DWORD dst_unused:UNUSED_PAD src0_sel:BYTE_3 src1_sel:DWORD
	v_lshlrev_b32_e32 v50, 2, v50
	v_cndmask_b32_e32 v35, 3, v35, vcc_lo
	v_and_b32_e32 v50, 0xfc, v50
	v_and_b32_e32 v51, 3, v35
	v_or_b32_e32 v34, v34, v35
	v_or3_b32 v31, v50, v31, v51
	v_cmp_ne_u32_e32 vcc_lo, 0, v34
	v_cndmask_b32_e32 v83, 0, v31, vcc_lo
.LBB4_9080:                             ;   in Loop: Header=BB4_8749 Depth=3
	s_or_b32 exec_lo, exec_lo, s74
.LBB4_9081:                             ;   in Loop: Header=BB4_8749 Depth=3
	s_or_b32 exec_lo, exec_lo, s73
	v_cmp_gt_i16_sdwa s73, v1, v100 src0_sel:BYTE_1 src1_sel:DWORD
	s_mov_b32 s17, 0
	s_and_saveexec_b32 s74, s73
	s_xor_b32 s73, exec_lo, s74
	s_cbranch_execz .LBB4_9351
; %bb.9082:                             ;   in Loop: Header=BB4_8749 Depth=3
	v_cmp_eq_u16_sdwa s75, v1, v101 src0_sel:BYTE_1 src1_sel:DWORD
	s_mov_b32 s17, -1
	s_and_saveexec_b32 s74, s75
; %bb.9083:                             ;   in Loop: Header=BB4_8749 Depth=3
	s_xor_b32 s17, exec_lo, -1
; %bb.9084:                             ;   in Loop: Header=BB4_8749 Depth=3
	s_or_b32 exec_lo, exec_lo, s74
	s_and_b32 s17, s17, exec_lo
	s_or_saveexec_b32 s73, s73
	v_mov_b32_e32 v31, 0x7f800001
	s_xor_b32 exec_lo, exec_lo, s73
	s_cbranch_execnz .LBB4_9352
.LBB4_9085:                             ;   in Loop: Header=BB4_8749 Depth=3
	s_or_b32 exec_lo, exec_lo, s73
	s_and_saveexec_b32 s73, s17
	s_cbranch_execz .LBB4_9087
.LBB4_9086:                             ;   in Loop: Header=BB4_8749 Depth=3
	v_and_b32_sdwa v31, v102, v1 dst_sel:DWORD dst_unused:UNUSED_PAD src0_sel:DWORD src1_sel:BYTE_1
	v_and_b32_e32 v34, 3, v31
	v_bfe_u32 v51, v31, 2, 5
	v_ffbh_u32_e32 v35, v34
	v_cmp_eq_u32_e32 vcc_lo, 0, v51
	v_min_u32_e32 v35, 32, v35
	v_subrev_nc_u32_e32 v50, 29, v35
	v_sub_nc_u32_e32 v35, 30, v35
	v_lshlrev_b32_e32 v31, v50, v31
	v_lshlrev_b32_sdwa v50, v103, v1 dst_sel:DWORD dst_unused:UNUSED_PAD src0_sel:DWORD src1_sel:BYTE_1
	v_cndmask_b32_e32 v35, v51, v35, vcc_lo
	v_and_b32_e32 v31, 3, v31
	v_lshl_add_u32 v35, v35, 23, 0x37800000
	v_cndmask_b32_e32 v31, v34, v31, vcc_lo
	v_and_b32_e32 v34, 0x80000000, v50
	v_lshlrev_b32_e32 v31, 21, v31
	v_or3_b32 v31, v34, v35, v31
.LBB4_9087:                             ;   in Loop: Header=BB4_8749 Depth=3
	s_or_b32 exec_lo, exec_lo, s73
	v_cmp_gt_i16_sdwa s73, v9, v100 src0_sel:BYTE_1 src1_sel:DWORD
	s_mov_b32 s17, 0
	s_and_saveexec_b32 s74, s73
	s_xor_b32 s73, exec_lo, s74
	s_cbranch_execz .LBB4_9353
; %bb.9088:                             ;   in Loop: Header=BB4_8749 Depth=3
	v_cmp_eq_u16_sdwa s75, v9, v101 src0_sel:BYTE_1 src1_sel:DWORD
	s_mov_b32 s17, -1
	s_and_saveexec_b32 s74, s75
; %bb.9089:                             ;   in Loop: Header=BB4_8749 Depth=3
	s_xor_b32 s17, exec_lo, -1
; %bb.9090:                             ;   in Loop: Header=BB4_8749 Depth=3
	s_or_b32 exec_lo, exec_lo, s74
	s_and_b32 s17, s17, exec_lo
	s_or_saveexec_b32 s73, s73
	v_mov_b32_e32 v34, 0x7f800001
	s_xor_b32 exec_lo, exec_lo, s73
	s_cbranch_execnz .LBB4_9354
.LBB4_9091:                             ;   in Loop: Header=BB4_8749 Depth=3
	s_or_b32 exec_lo, exec_lo, s73
	s_and_saveexec_b32 s73, s17
	s_cbranch_execz .LBB4_9093
.LBB4_9092:                             ;   in Loop: Header=BB4_8749 Depth=3
	v_and_b32_sdwa v34, v102, v9 dst_sel:DWORD dst_unused:UNUSED_PAD src0_sel:DWORD src1_sel:BYTE_1
	v_and_b32_e32 v35, 3, v34
	v_bfe_u32 v96, v34, 2, 5
	v_ffbh_u32_e32 v50, v35
	v_cmp_eq_u32_e32 vcc_lo, 0, v96
	v_min_u32_e32 v50, 32, v50
	v_subrev_nc_u32_e32 v51, 29, v50
	v_sub_nc_u32_e32 v50, 30, v50
	v_lshlrev_b32_e32 v34, v51, v34
	v_lshlrev_b32_sdwa v51, v103, v9 dst_sel:DWORD dst_unused:UNUSED_PAD src0_sel:DWORD src1_sel:BYTE_1
	v_cndmask_b32_e32 v50, v96, v50, vcc_lo
	v_and_b32_e32 v34, 3, v34
	v_lshl_add_u32 v50, v50, 23, 0x37800000
	v_cndmask_b32_e32 v34, v35, v34, vcc_lo
	v_and_b32_e32 v35, 0x80000000, v51
	v_lshlrev_b32_e32 v34, 21, v34
	v_or3_b32 v34, v35, v50, v34
.LBB4_9093:                             ;   in Loop: Header=BB4_8749 Depth=3
	s_or_b32 exec_lo, exec_lo, s73
	v_add_f32_e32 v31, v31, v34
	v_and_b32_e32 v34, 0x7f800000, v31
	v_cmp_ne_u32_e32 vcc_lo, 0x7f800000, v34
	v_mov_b32_e32 v34, 0x8000
	s_and_saveexec_b32 s73, vcc_lo
	s_cbranch_execz .LBB4_9101
; %bb.9094:                             ;   in Loop: Header=BB4_8749 Depth=3
	v_mov_b32_e32 v34, 0
	s_mov_b32 s74, exec_lo
	v_cmpx_ne_u32_e32 0, v31
	s_cbranch_execz .LBB4_9100
; %bb.9095:                             ;   in Loop: Header=BB4_8749 Depth=3
	v_bfe_u32 v34, v31, 23, 8
	v_and_b32_e32 v35, 0x7fffff, v31
	v_sub_nc_u32_e32 v50, 0x70, v34
	v_cmp_gt_u32_e32 vcc_lo, 0x71, v34
	v_or_b32_e32 v51, 0x800000, v35
	v_cndmask_b32_e32 v50, 0, v50, vcc_lo
	v_cmp_eq_u32_e32 vcc_lo, 0, v34
	v_add_nc_u32_e32 v34, 0xffffff91, v34
	v_cndmask_b32_e64 v50, v50, 0x6f, vcc_lo
	v_cndmask_b32_e32 v35, v51, v35, vcc_lo
	v_cndmask_b32_e64 v34, v34, 0xffffff92, vcc_lo
	v_lshl_add_u32 v51, 0x200000, v50, -1
	v_lshrrev_b32_e32 v96, v50, v35
	v_lshlrev_b32_e64 v115, v50, 0x100000
	v_add_nc_u32_e32 v50, v50, v34
	v_and_b32_e32 v35, v51, v35
	v_bfe_u32 v97, v96, 21, 1
	v_cmp_eq_u32_e64 s17, v35, v115
	v_add_nc_u32_e32 v51, -1, v97
	v_cndmask_b32_e64 v35, 0, v51, s17
	v_lshrrev_b32_e32 v51, 23, v96
	s_mov_b32 s17, exec_lo
	v_add_nc_u32_e32 v35, v35, v96
	v_xor_b32_e32 v51, 1, v51
	v_and_b32_e32 v34, 0x1fffff, v35
	v_add_nc_u32_e32 v35, v34, v96
                                        ; implicit-def: $vgpr34
	v_cmpx_ne_u32_e64 v50, v51
	s_xor_b32 s17, exec_lo, s17
; %bb.9096:                             ;   in Loop: Header=BB4_8749 Depth=3
	v_cmp_lt_u32_e32 vcc_lo, 0xffffff, v35
	v_sub_nc_u32_e32 v34, v50, v51
	v_cndmask_b32_e64 v50, 0, 1, vcc_lo
	v_add_co_ci_u32_e64 v34, null, 0, v34, vcc_lo
	v_lshrrev_b32_e32 v35, v50, v35
; %bb.9097:                             ;   in Loop: Header=BB4_8749 Depth=3
	s_andn2_saveexec_b32 s17, s17
; %bb.9098:                             ;   in Loop: Header=BB4_8749 Depth=3
	v_bfe_u32 v34, v35, 23, 1
; %bb.9099:                             ;   in Loop: Header=BB4_8749 Depth=3
	s_or_b32 exec_lo, exec_lo, s17
	v_lshrrev_b32_e32 v35, 21, v35
	v_min_i32_e32 v50, 31, v34
	v_cmp_gt_i32_e32 vcc_lo, 32, v34
	v_and_b32_sdwa v31, v31, v101 dst_sel:DWORD dst_unused:UNUSED_PAD src0_sel:BYTE_3 src1_sel:DWORD
	v_lshlrev_b32_e32 v50, 2, v50
	v_cndmask_b32_e32 v35, 3, v35, vcc_lo
	v_and_b32_e32 v50, 0xfc, v50
	v_and_b32_e32 v51, 3, v35
	v_or_b32_e32 v34, v34, v35
	v_or3_b32 v31, v31, v50, v51
	v_cmp_ne_u32_e32 vcc_lo, 0, v34
	v_lshlrev_b32_e32 v31, 8, v31
	v_cndmask_b32_e32 v34, 0, v31, vcc_lo
.LBB4_9100:                             ;   in Loop: Header=BB4_8749 Depth=3
	s_or_b32 exec_lo, exec_lo, s74
.LBB4_9101:                             ;   in Loop: Header=BB4_8749 Depth=3
	s_or_b32 exec_lo, exec_lo, s73
	v_or_b32_e32 v35, v62, v37
	s_mov_b32 s17, 0
	v_cmp_gt_i16_sdwa s73, v35, v100 src0_sel:BYTE_0 src1_sel:DWORD
	s_and_saveexec_b32 s74, s73
	s_xor_b32 s73, exec_lo, s74
	s_cbranch_execz .LBB4_9355
; %bb.9102:                             ;   in Loop: Header=BB4_8749 Depth=3
	v_cmp_eq_u16_sdwa s75, v35, v101 src0_sel:BYTE_0 src1_sel:DWORD
	s_mov_b32 s17, -1
	s_and_saveexec_b32 s74, s75
; %bb.9103:                             ;   in Loop: Header=BB4_8749 Depth=3
	s_xor_b32 s17, exec_lo, -1
; %bb.9104:                             ;   in Loop: Header=BB4_8749 Depth=3
	s_or_b32 exec_lo, exec_lo, s74
	s_and_b32 s17, s17, exec_lo
	s_or_saveexec_b32 s73, s73
	v_mov_b32_e32 v31, 0x7f800001
	s_xor_b32 exec_lo, exec_lo, s73
	s_cbranch_execnz .LBB4_9356
.LBB4_9105:                             ;   in Loop: Header=BB4_8749 Depth=3
	s_or_b32 exec_lo, exec_lo, s73
	v_lshl_or_b32 v1, v35, 16, v1
	s_and_saveexec_b32 s73, s17
	s_cbranch_execz .LBB4_9107
.LBB4_9106:                             ;   in Loop: Header=BB4_8749 Depth=3
	v_bfe_u32 v31, v1, 16, 2
	v_bfe_u32 v50, v1, 18, 5
	v_lshlrev_b32_e32 v51, 8, v1
	v_ffbh_u32_e32 v35, v31
	v_cmp_eq_u32_e32 vcc_lo, 0, v50
	v_min_u32_e32 v35, 32, v35
	v_subrev_nc_u32_e32 v37, 29, v35
	v_sub_nc_u32_e32 v35, 30, v35
	v_lshlrev_b32_sdwa v37, v37, v1 dst_sel:DWORD dst_unused:UNUSED_PAD src0_sel:DWORD src1_sel:WORD_1
	v_cndmask_b32_e32 v35, v50, v35, vcc_lo
	v_and_b32_e32 v37, 3, v37
	v_lshl_add_u32 v35, v35, 23, 0x37800000
	v_cndmask_b32_e32 v31, v31, v37, vcc_lo
	v_and_b32_e32 v37, 0x80000000, v51
	v_lshlrev_b32_e32 v31, 21, v31
	v_or3_b32 v31, v37, v35, v31
.LBB4_9107:                             ;   in Loop: Header=BB4_8749 Depth=3
	s_or_b32 exec_lo, exec_lo, s73
	v_and_b32_sdwa v37, v9, v112 dst_sel:DWORD dst_unused:UNUSED_PAD src0_sel:WORD_1 src1_sel:DWORD
	s_mov_b32 s17, 0
	s_mov_b32 s73, exec_lo
	v_cmpx_lt_i16_e32 0x7f, v37
	s_xor_b32 s73, exec_lo, s73
	s_cbranch_execz .LBB4_9357
; %bb.9108:                             ;   in Loop: Header=BB4_8749 Depth=3
	s_mov_b32 s17, -1
	s_mov_b32 s74, exec_lo
	v_cmpx_eq_u16_e32 0x80, v37
; %bb.9109:                             ;   in Loop: Header=BB4_8749 Depth=3
	s_xor_b32 s17, exec_lo, -1
; %bb.9110:                             ;   in Loop: Header=BB4_8749 Depth=3
	s_or_b32 exec_lo, exec_lo, s74
	s_and_b32 s17, s17, exec_lo
                                        ; implicit-def: $vgpr37
	s_or_saveexec_b32 s73, s73
	v_mov_b32_e32 v35, 0x7f800001
	s_xor_b32 exec_lo, exec_lo, s73
	s_cbranch_execnz .LBB4_9358
.LBB4_9111:                             ;   in Loop: Header=BB4_8749 Depth=3
	s_or_b32 exec_lo, exec_lo, s73
	s_and_saveexec_b32 s73, s17
	s_cbranch_execz .LBB4_9113
.LBB4_9112:                             ;   in Loop: Header=BB4_8749 Depth=3
	v_and_b32_sdwa v35, v9, v114 dst_sel:DWORD dst_unused:UNUSED_PAD src0_sel:WORD_1 src1_sel:DWORD
	v_bfe_u32 v51, v9, 18, 5
	v_lshlrev_b32_sdwa v96, v103, v9 dst_sel:DWORD dst_unused:UNUSED_PAD src0_sel:DWORD src1_sel:WORD_1
	v_ffbh_u32_e32 v37, v35
	v_cmp_eq_u32_e32 vcc_lo, 0, v51
	v_min_u32_e32 v37, 32, v37
	v_subrev_nc_u32_e32 v50, 29, v37
	v_sub_nc_u32_e32 v37, 30, v37
	v_lshlrev_b32_sdwa v50, v50, v9 dst_sel:DWORD dst_unused:UNUSED_PAD src0_sel:DWORD src1_sel:WORD_1
	v_cndmask_b32_e32 v37, v51, v37, vcc_lo
	v_and_b32_e32 v50, 3, v50
	v_lshl_add_u32 v37, v37, 23, 0x37800000
	v_cndmask_b32_e32 v35, v35, v50, vcc_lo
	v_and_b32_e32 v50, 0x80000000, v96
	v_lshlrev_b32_e32 v35, 21, v35
	v_or3_b32 v35, v50, v37, v35
.LBB4_9113:                             ;   in Loop: Header=BB4_8749 Depth=3
	s_or_b32 exec_lo, exec_lo, s73
	v_add_f32_e32 v31, v31, v35
	v_and_b32_e32 v35, 0x7f800000, v31
	v_cmp_ne_u32_e32 vcc_lo, 0x7f800000, v35
	v_mov_b32_e32 v35, 0x80
	s_and_saveexec_b32 s73, vcc_lo
	s_cbranch_execz .LBB4_9121
; %bb.9114:                             ;   in Loop: Header=BB4_8749 Depth=3
	v_mov_b32_e32 v35, 0
	s_mov_b32 s74, exec_lo
	v_cmpx_ne_u32_e32 0, v31
	s_cbranch_execz .LBB4_9120
; %bb.9115:                             ;   in Loop: Header=BB4_8749 Depth=3
	v_bfe_u32 v35, v31, 23, 8
	v_and_b32_e32 v37, 0x7fffff, v31
	v_sub_nc_u32_e32 v50, 0x70, v35
	v_cmp_gt_u32_e32 vcc_lo, 0x71, v35
	v_or_b32_e32 v51, 0x800000, v37
	v_cndmask_b32_e32 v50, 0, v50, vcc_lo
	v_cmp_eq_u32_e32 vcc_lo, 0, v35
	v_add_nc_u32_e32 v35, 0xffffff91, v35
	v_cndmask_b32_e64 v50, v50, 0x6f, vcc_lo
	v_cndmask_b32_e32 v37, v51, v37, vcc_lo
	v_cndmask_b32_e64 v35, v35, 0xffffff92, vcc_lo
	v_lshl_add_u32 v51, 0x200000, v50, -1
	v_lshrrev_b32_e32 v96, v50, v37
	v_lshlrev_b32_e64 v115, v50, 0x100000
	v_add_nc_u32_e32 v50, v50, v35
	v_and_b32_e32 v37, v51, v37
	v_bfe_u32 v97, v96, 21, 1
	v_cmp_eq_u32_e64 s17, v37, v115
	v_add_nc_u32_e32 v51, -1, v97
	v_cndmask_b32_e64 v37, 0, v51, s17
	v_lshrrev_b32_e32 v51, 23, v96
	s_mov_b32 s17, exec_lo
	v_add_nc_u32_e32 v37, v37, v96
	v_xor_b32_e32 v51, 1, v51
	v_and_b32_e32 v35, 0x1fffff, v37
	v_add_nc_u32_e32 v37, v35, v96
                                        ; implicit-def: $vgpr35
	v_cmpx_ne_u32_e64 v50, v51
	s_xor_b32 s17, exec_lo, s17
; %bb.9116:                             ;   in Loop: Header=BB4_8749 Depth=3
	v_cmp_lt_u32_e32 vcc_lo, 0xffffff, v37
	v_sub_nc_u32_e32 v35, v50, v51
	v_cndmask_b32_e64 v50, 0, 1, vcc_lo
	v_add_co_ci_u32_e64 v35, null, 0, v35, vcc_lo
	v_lshrrev_b32_e32 v37, v50, v37
; %bb.9117:                             ;   in Loop: Header=BB4_8749 Depth=3
	s_andn2_saveexec_b32 s17, s17
; %bb.9118:                             ;   in Loop: Header=BB4_8749 Depth=3
	v_bfe_u32 v35, v37, 23, 1
; %bb.9119:                             ;   in Loop: Header=BB4_8749 Depth=3
	s_or_b32 exec_lo, exec_lo, s17
	v_lshrrev_b32_e32 v37, 21, v37
	v_min_i32_e32 v50, 31, v35
	v_cmp_gt_i32_e32 vcc_lo, 32, v35
	v_and_b32_sdwa v31, v31, v101 dst_sel:DWORD dst_unused:UNUSED_PAD src0_sel:BYTE_3 src1_sel:DWORD
	v_lshlrev_b32_e32 v50, 2, v50
	v_cndmask_b32_e32 v37, 3, v37, vcc_lo
	v_and_b32_e32 v50, 0xfc, v50
	v_and_b32_e32 v51, 3, v37
	v_or_b32_e32 v35, v35, v37
	v_or3_b32 v31, v50, v31, v51
	v_cmp_ne_u32_e32 vcc_lo, 0, v35
	v_cndmask_b32_e32 v35, 0, v31, vcc_lo
.LBB4_9120:                             ;   in Loop: Header=BB4_8749 Depth=3
	s_or_b32 exec_lo, exec_lo, s74
.LBB4_9121:                             ;   in Loop: Header=BB4_8749 Depth=3
	s_or_b32 exec_lo, exec_lo, s73
	v_cmp_gt_i16_sdwa s73, v1, v100 src0_sel:BYTE_3 src1_sel:DWORD
	s_mov_b32 s17, 0
	s_and_saveexec_b32 s74, s73
	s_xor_b32 s73, exec_lo, s74
	s_cbranch_execz .LBB4_9359
; %bb.9122:                             ;   in Loop: Header=BB4_8749 Depth=3
	v_cmp_eq_u16_sdwa s75, v1, v101 src0_sel:BYTE_3 src1_sel:DWORD
	s_mov_b32 s17, -1
	s_and_saveexec_b32 s74, s75
; %bb.9123:                             ;   in Loop: Header=BB4_8749 Depth=3
	s_xor_b32 s17, exec_lo, -1
; %bb.9124:                             ;   in Loop: Header=BB4_8749 Depth=3
	s_or_b32 exec_lo, exec_lo, s74
	s_and_b32 s17, s17, exec_lo
	s_or_saveexec_b32 s73, s73
	v_mov_b32_e32 v31, 0x7f800001
	s_xor_b32 exec_lo, exec_lo, s73
	s_cbranch_execnz .LBB4_9360
.LBB4_9125:                             ;   in Loop: Header=BB4_8749 Depth=3
	s_or_b32 exec_lo, exec_lo, s73
	s_and_saveexec_b32 s73, s17
	s_cbranch_execz .LBB4_9127
.LBB4_9126:                             ;   in Loop: Header=BB4_8749 Depth=3
	v_bfe_u32 v31, v1, 24, 2
	v_bfe_u32 v51, v1, 26, 5
	v_ffbh_u32_e32 v37, v31
	v_cmp_eq_u32_e32 vcc_lo, 0, v51
	v_min_u32_e32 v37, 32, v37
	v_subrev_nc_u32_e32 v50, 29, v37
	v_sub_nc_u32_e32 v37, 30, v37
	v_lshlrev_b32_sdwa v50, v50, v1 dst_sel:DWORD dst_unused:UNUSED_PAD src0_sel:DWORD src1_sel:BYTE_3
	v_cndmask_b32_e32 v37, v51, v37, vcc_lo
	v_and_b32_e32 v1, 0x80000000, v1
	v_and_b32_e32 v50, 3, v50
	v_lshl_add_u32 v37, v37, 23, 0x37800000
	v_cndmask_b32_e32 v31, v31, v50, vcc_lo
	v_lshlrev_b32_e32 v31, 21, v31
	v_or3_b32 v31, v1, v37, v31
.LBB4_9127:                             ;   in Loop: Header=BB4_8749 Depth=3
	s_or_b32 exec_lo, exec_lo, s73
	v_cmp_gt_i16_sdwa s73, v9, v100 src0_sel:BYTE_3 src1_sel:DWORD
	s_mov_b32 s17, 0
	s_and_saveexec_b32 s74, s73
	s_xor_b32 s73, exec_lo, s74
	s_cbranch_execz .LBB4_9361
; %bb.9128:                             ;   in Loop: Header=BB4_8749 Depth=3
	v_cmp_eq_u16_sdwa s75, v9, v101 src0_sel:BYTE_3 src1_sel:DWORD
	s_mov_b32 s17, -1
	s_and_saveexec_b32 s74, s75
; %bb.9129:                             ;   in Loop: Header=BB4_8749 Depth=3
	s_xor_b32 s17, exec_lo, -1
; %bb.9130:                             ;   in Loop: Header=BB4_8749 Depth=3
	s_or_b32 exec_lo, exec_lo, s74
	s_and_b32 s17, s17, exec_lo
	s_or_saveexec_b32 s73, s73
	v_mov_b32_e32 v1, 0x7f800001
	s_xor_b32 exec_lo, exec_lo, s73
	s_cbranch_execnz .LBB4_9362
.LBB4_9131:                             ;   in Loop: Header=BB4_8749 Depth=3
	s_or_b32 exec_lo, exec_lo, s73
	s_and_saveexec_b32 s73, s17
	s_cbranch_execz .LBB4_9133
.LBB4_9132:                             ;   in Loop: Header=BB4_8749 Depth=3
	v_and_b32_sdwa v1, v9, v114 dst_sel:DWORD dst_unused:UNUSED_PAD src0_sel:BYTE_3 src1_sel:DWORD
	v_bfe_u32 v51, v9, 26, 5
	v_ffbh_u32_e32 v37, v1
	v_cmp_eq_u32_e32 vcc_lo, 0, v51
	v_min_u32_e32 v37, 32, v37
	v_subrev_nc_u32_e32 v50, 29, v37
	v_sub_nc_u32_e32 v37, 30, v37
	v_lshlrev_b32_sdwa v50, v50, v9 dst_sel:DWORD dst_unused:UNUSED_PAD src0_sel:DWORD src1_sel:BYTE_3
	v_cndmask_b32_e32 v37, v51, v37, vcc_lo
	v_and_b32_e32 v9, 0x80000000, v9
	v_and_b32_e32 v50, 3, v50
	v_lshl_add_u32 v37, v37, 23, 0x37800000
	v_cndmask_b32_e32 v1, v1, v50, vcc_lo
	v_lshlrev_b32_e32 v1, 21, v1
	v_or3_b32 v1, v9, v37, v1
.LBB4_9133:                             ;   in Loop: Header=BB4_8749 Depth=3
	s_or_b32 exec_lo, exec_lo, s73
	v_add_f32_e32 v1, v31, v1
	v_and_b32_e32 v9, 0x7f800000, v1
	v_cmp_ne_u32_e32 vcc_lo, 0x7f800000, v9
	v_mov_b32_e32 v9, 0x8000
	s_and_saveexec_b32 s73, vcc_lo
	s_cbranch_execz .LBB4_9141
; %bb.9134:                             ;   in Loop: Header=BB4_8749 Depth=3
	v_mov_b32_e32 v9, 0
	s_mov_b32 s74, exec_lo
	v_cmpx_ne_u32_e32 0, v1
	s_cbranch_execz .LBB4_9140
; %bb.9135:                             ;   in Loop: Header=BB4_8749 Depth=3
	v_bfe_u32 v9, v1, 23, 8
	v_and_b32_e32 v31, 0x7fffff, v1
	v_sub_nc_u32_e32 v37, 0x70, v9
	v_cmp_gt_u32_e32 vcc_lo, 0x71, v9
	v_or_b32_e32 v50, 0x800000, v31
	v_cndmask_b32_e32 v37, 0, v37, vcc_lo
	v_cmp_eq_u32_e32 vcc_lo, 0, v9
	v_add_nc_u32_e32 v9, 0xffffff91, v9
	v_cndmask_b32_e64 v37, v37, 0x6f, vcc_lo
	v_cndmask_b32_e32 v31, v50, v31, vcc_lo
	v_cndmask_b32_e64 v9, v9, 0xffffff92, vcc_lo
	v_lshl_add_u32 v50, 0x200000, v37, -1
	v_lshrrev_b32_e32 v51, v37, v31
	v_lshlrev_b32_e64 v97, v37, 0x100000
	v_add_nc_u32_e32 v37, v37, v9
	v_and_b32_e32 v31, v50, v31
	v_bfe_u32 v96, v51, 21, 1
	v_cmp_eq_u32_e64 s17, v31, v97
	v_add_nc_u32_e32 v50, -1, v96
	v_cndmask_b32_e64 v31, 0, v50, s17
	v_lshrrev_b32_e32 v50, 23, v51
	s_mov_b32 s17, exec_lo
	v_add_nc_u32_e32 v31, v31, v51
	v_xor_b32_e32 v50, 1, v50
	v_and_b32_e32 v9, 0x1fffff, v31
	v_add_nc_u32_e32 v31, v9, v51
                                        ; implicit-def: $vgpr9
	v_cmpx_ne_u32_e64 v37, v50
	s_xor_b32 s17, exec_lo, s17
; %bb.9136:                             ;   in Loop: Header=BB4_8749 Depth=3
	v_cmp_lt_u32_e32 vcc_lo, 0xffffff, v31
	v_sub_nc_u32_e32 v9, v37, v50
	v_cndmask_b32_e64 v37, 0, 1, vcc_lo
	v_add_co_ci_u32_e64 v9, null, 0, v9, vcc_lo
	v_lshrrev_b32_e32 v31, v37, v31
; %bb.9137:                             ;   in Loop: Header=BB4_8749 Depth=3
	s_andn2_saveexec_b32 s17, s17
; %bb.9138:                             ;   in Loop: Header=BB4_8749 Depth=3
	v_bfe_u32 v9, v31, 23, 1
; %bb.9139:                             ;   in Loop: Header=BB4_8749 Depth=3
	s_or_b32 exec_lo, exec_lo, s17
	v_lshrrev_b32_e32 v31, 21, v31
	v_min_i32_e32 v37, 31, v9
	v_cmp_gt_i32_e32 vcc_lo, 32, v9
	v_and_b32_sdwa v1, v1, v101 dst_sel:DWORD dst_unused:UNUSED_PAD src0_sel:BYTE_3 src1_sel:DWORD
	v_lshlrev_b32_e32 v37, 2, v37
	v_cndmask_b32_e32 v31, 3, v31, vcc_lo
	v_and_b32_e32 v37, 0xfc, v37
	v_and_b32_e32 v50, 3, v31
	v_or_b32_e32 v9, v9, v31
	v_or3_b32 v1, v1, v37, v50
	v_cmp_ne_u32_e32 vcc_lo, 0, v9
	v_lshlrev_b32_e32 v1, 8, v1
	v_cndmask_b32_e32 v9, 0, v1, vcc_lo
.LBB4_9140:                             ;   in Loop: Header=BB4_8749 Depth=3
	s_or_b32 exec_lo, exec_lo, s74
.LBB4_9141:                             ;   in Loop: Header=BB4_8749 Depth=3
	s_or_b32 exec_lo, exec_lo, s73
	v_or_b32_e32 v1, v82, v21
	s_mov_b32 s17, 0
	v_cmp_gt_i16_sdwa s73, v1, v100 src0_sel:BYTE_0 src1_sel:DWORD
	s_and_saveexec_b32 s74, s73
	s_xor_b32 s73, exec_lo, s74
	s_cbranch_execz .LBB4_9363
; %bb.9142:                             ;   in Loop: Header=BB4_8749 Depth=3
	v_cmp_eq_u16_sdwa s75, v1, v101 src0_sel:BYTE_0 src1_sel:DWORD
	s_mov_b32 s17, -1
	s_and_saveexec_b32 s74, s75
; %bb.9143:                             ;   in Loop: Header=BB4_8749 Depth=3
	s_xor_b32 s17, exec_lo, -1
; %bb.9144:                             ;   in Loop: Header=BB4_8749 Depth=3
	s_or_b32 exec_lo, exec_lo, s74
	s_and_b32 s17, s17, exec_lo
	s_or_saveexec_b32 s73, s73
	v_mov_b32_e32 v21, 0x7f800001
	s_xor_b32 exec_lo, exec_lo, s73
	s_cbranch_execnz .LBB4_9364
.LBB4_9145:                             ;   in Loop: Header=BB4_8749 Depth=3
	s_or_b32 exec_lo, exec_lo, s73
	s_and_saveexec_b32 s73, s17
	s_cbranch_execz .LBB4_9147
.LBB4_9146:                             ;   in Loop: Header=BB4_8749 Depth=3
	v_and_b32_e32 v21, 3, v1
	v_bfe_u32 v50, v1, 2, 5
	v_lshlrev_b32_e32 v51, 24, v1
	v_ffbh_u32_e32 v31, v21
	v_cmp_eq_u32_e32 vcc_lo, 0, v50
	v_min_u32_e32 v31, 32, v31
	v_subrev_nc_u32_e32 v37, 29, v31
	v_sub_nc_u32_e32 v31, 30, v31
	v_lshlrev_b32_e32 v37, v37, v1
	v_cndmask_b32_e32 v31, v50, v31, vcc_lo
	v_and_b32_e32 v37, 3, v37
	v_lshl_add_u32 v31, v31, 23, 0x37800000
	v_cndmask_b32_e32 v21, v21, v37, vcc_lo
	v_and_b32_e32 v37, 0x80000000, v51
	v_lshlrev_b32_e32 v21, 21, v21
	v_or3_b32 v21, v37, v31, v21
.LBB4_9147:                             ;   in Loop: Header=BB4_8749 Depth=3
	s_or_b32 exec_lo, exec_lo, s73
	v_cmp_gt_i16_sdwa s73, v10, v100 src0_sel:BYTE_0 src1_sel:DWORD
	s_mov_b32 s17, 0
	s_and_saveexec_b32 s74, s73
	s_xor_b32 s73, exec_lo, s74
	s_cbranch_execz .LBB4_9365
; %bb.9148:                             ;   in Loop: Header=BB4_8749 Depth=3
	v_cmp_eq_u16_sdwa s75, v10, v101 src0_sel:BYTE_0 src1_sel:DWORD
	s_mov_b32 s17, -1
	s_and_saveexec_b32 s74, s75
; %bb.9149:                             ;   in Loop: Header=BB4_8749 Depth=3
	s_xor_b32 s17, exec_lo, -1
; %bb.9150:                             ;   in Loop: Header=BB4_8749 Depth=3
	s_or_b32 exec_lo, exec_lo, s74
	s_and_b32 s17, s17, exec_lo
	s_or_saveexec_b32 s73, s73
	v_mov_b32_e32 v31, 0x7f800001
	s_xor_b32 exec_lo, exec_lo, s73
	s_cbranch_execnz .LBB4_9366
.LBB4_9151:                             ;   in Loop: Header=BB4_8749 Depth=3
	s_or_b32 exec_lo, exec_lo, s73
	s_and_saveexec_b32 s73, s17
	s_cbranch_execz .LBB4_9153
.LBB4_9152:                             ;   in Loop: Header=BB4_8749 Depth=3
	v_and_b32_e32 v31, 3, v10
	v_bfe_u32 v51, v10, 2, 5
	v_lshlrev_b32_e32 v82, 24, v10
	v_ffbh_u32_e32 v37, v31
	v_cmp_eq_u32_e32 vcc_lo, 0, v51
	v_min_u32_e32 v37, 32, v37
	v_subrev_nc_u32_e32 v50, 29, v37
	v_sub_nc_u32_e32 v37, 30, v37
	v_lshlrev_b32_e32 v50, v50, v10
	v_cndmask_b32_e32 v37, v51, v37, vcc_lo
	v_and_b32_e32 v50, 3, v50
	v_lshl_add_u32 v37, v37, 23, 0x37800000
	v_cndmask_b32_e32 v31, v31, v50, vcc_lo
	v_and_b32_e32 v50, 0x80000000, v82
	v_lshlrev_b32_e32 v31, 21, v31
	v_or3_b32 v31, v50, v37, v31
.LBB4_9153:                             ;   in Loop: Header=BB4_8749 Depth=3
	s_or_b32 exec_lo, exec_lo, s73
	v_add_f32_e32 v31, v21, v31
	v_and_b32_e32 v21, 0x7f800000, v31
	v_cmp_ne_u32_e32 vcc_lo, 0x7f800000, v21
	v_mov_b32_e32 v21, 0x80
	s_and_saveexec_b32 s73, vcc_lo
	s_cbranch_execz .LBB4_9161
; %bb.9154:                             ;   in Loop: Header=BB4_8749 Depth=3
	v_mov_b32_e32 v21, 0
	s_mov_b32 s74, exec_lo
	v_cmpx_ne_u32_e32 0, v31
	s_cbranch_execz .LBB4_9160
; %bb.9155:                             ;   in Loop: Header=BB4_8749 Depth=3
	v_bfe_u32 v21, v31, 23, 8
	v_and_b32_e32 v37, 0x7fffff, v31
	v_sub_nc_u32_e32 v50, 0x70, v21
	v_cmp_gt_u32_e32 vcc_lo, 0x71, v21
	v_or_b32_e32 v51, 0x800000, v37
	v_cndmask_b32_e32 v50, 0, v50, vcc_lo
	v_cmp_eq_u32_e32 vcc_lo, 0, v21
	v_add_nc_u32_e32 v21, 0xffffff91, v21
	v_cndmask_b32_e64 v50, v50, 0x6f, vcc_lo
	v_cndmask_b32_e32 v37, v51, v37, vcc_lo
	v_cndmask_b32_e64 v21, v21, 0xffffff92, vcc_lo
	v_lshl_add_u32 v51, 0x200000, v50, -1
	v_lshrrev_b32_e32 v82, v50, v37
	v_lshlrev_b32_e64 v97, v50, 0x100000
	v_add_nc_u32_e32 v50, v50, v21
	v_and_b32_e32 v37, v51, v37
	v_bfe_u32 v96, v82, 21, 1
	v_cmp_eq_u32_e64 s17, v37, v97
	v_add_nc_u32_e32 v51, -1, v96
	v_cndmask_b32_e64 v37, 0, v51, s17
	v_lshrrev_b32_e32 v51, 23, v82
	s_mov_b32 s17, exec_lo
	v_add_nc_u32_e32 v37, v37, v82
	v_xor_b32_e32 v51, 1, v51
	v_and_b32_e32 v21, 0x1fffff, v37
	v_add_nc_u32_e32 v37, v21, v82
                                        ; implicit-def: $vgpr21
	v_cmpx_ne_u32_e64 v50, v51
	s_xor_b32 s17, exec_lo, s17
; %bb.9156:                             ;   in Loop: Header=BB4_8749 Depth=3
	v_cmp_lt_u32_e32 vcc_lo, 0xffffff, v37
	v_sub_nc_u32_e32 v21, v50, v51
	v_cndmask_b32_e64 v50, 0, 1, vcc_lo
	v_add_co_ci_u32_e64 v21, null, 0, v21, vcc_lo
	v_lshrrev_b32_e32 v37, v50, v37
; %bb.9157:                             ;   in Loop: Header=BB4_8749 Depth=3
	s_andn2_saveexec_b32 s17, s17
; %bb.9158:                             ;   in Loop: Header=BB4_8749 Depth=3
	v_bfe_u32 v21, v37, 23, 1
; %bb.9159:                             ;   in Loop: Header=BB4_8749 Depth=3
	s_or_b32 exec_lo, exec_lo, s17
	v_lshrrev_b32_e32 v37, 21, v37
	v_min_i32_e32 v50, 31, v21
	v_cmp_gt_i32_e32 vcc_lo, 32, v21
	v_and_b32_sdwa v31, v31, v101 dst_sel:DWORD dst_unused:UNUSED_PAD src0_sel:BYTE_3 src1_sel:DWORD
	v_lshlrev_b32_e32 v50, 2, v50
	v_cndmask_b32_e32 v37, 3, v37, vcc_lo
	v_and_b32_e32 v50, 0xfc, v50
	v_and_b32_e32 v51, 3, v37
	v_or_b32_e32 v21, v21, v37
	v_or3_b32 v31, v50, v31, v51
	v_cmp_ne_u32_e32 vcc_lo, 0, v21
	v_cndmask_b32_e32 v21, 0, v31, vcc_lo
.LBB4_9160:                             ;   in Loop: Header=BB4_8749 Depth=3
	s_or_b32 exec_lo, exec_lo, s74
.LBB4_9161:                             ;   in Loop: Header=BB4_8749 Depth=3
	s_or_b32 exec_lo, exec_lo, s73
	v_cmp_gt_i16_sdwa s73, v1, v100 src0_sel:BYTE_1 src1_sel:DWORD
	s_mov_b32 s17, 0
	s_and_saveexec_b32 s74, s73
	s_xor_b32 s73, exec_lo, s74
	s_cbranch_execz .LBB4_9367
; %bb.9162:                             ;   in Loop: Header=BB4_8749 Depth=3
	v_cmp_eq_u16_sdwa s75, v1, v101 src0_sel:BYTE_1 src1_sel:DWORD
	s_mov_b32 s17, -1
	s_and_saveexec_b32 s74, s75
; %bb.9163:                             ;   in Loop: Header=BB4_8749 Depth=3
	s_xor_b32 s17, exec_lo, -1
; %bb.9164:                             ;   in Loop: Header=BB4_8749 Depth=3
	s_or_b32 exec_lo, exec_lo, s74
	s_and_b32 s17, s17, exec_lo
	s_or_saveexec_b32 s73, s73
	v_mov_b32_e32 v31, 0x7f800001
	s_xor_b32 exec_lo, exec_lo, s73
	s_cbranch_execnz .LBB4_9368
.LBB4_9165:                             ;   in Loop: Header=BB4_8749 Depth=3
	s_or_b32 exec_lo, exec_lo, s73
	s_and_saveexec_b32 s73, s17
	s_cbranch_execz .LBB4_9167
.LBB4_9166:                             ;   in Loop: Header=BB4_8749 Depth=3
	v_and_b32_sdwa v31, v102, v1 dst_sel:DWORD dst_unused:UNUSED_PAD src0_sel:DWORD src1_sel:BYTE_1
	v_and_b32_e32 v37, 3, v31
	v_bfe_u32 v82, v31, 2, 5
	v_ffbh_u32_e32 v50, v37
	v_cmp_eq_u32_e32 vcc_lo, 0, v82
	v_min_u32_e32 v50, 32, v50
	v_subrev_nc_u32_e32 v51, 29, v50
	v_sub_nc_u32_e32 v50, 30, v50
	v_lshlrev_b32_e32 v31, v51, v31
	v_lshlrev_b32_sdwa v51, v103, v1 dst_sel:DWORD dst_unused:UNUSED_PAD src0_sel:DWORD src1_sel:BYTE_1
	v_cndmask_b32_e32 v50, v82, v50, vcc_lo
	v_and_b32_e32 v31, 3, v31
	v_lshl_add_u32 v50, v50, 23, 0x37800000
	v_cndmask_b32_e32 v31, v37, v31, vcc_lo
	v_and_b32_e32 v37, 0x80000000, v51
	v_lshlrev_b32_e32 v31, 21, v31
	v_or3_b32 v31, v37, v50, v31
.LBB4_9167:                             ;   in Loop: Header=BB4_8749 Depth=3
	s_or_b32 exec_lo, exec_lo, s73
	v_cmp_gt_i16_sdwa s73, v10, v100 src0_sel:BYTE_1 src1_sel:DWORD
	s_mov_b32 s17, 0
	s_and_saveexec_b32 s74, s73
	s_xor_b32 s73, exec_lo, s74
	s_cbranch_execz .LBB4_9369
; %bb.9168:                             ;   in Loop: Header=BB4_8749 Depth=3
	v_cmp_eq_u16_sdwa s75, v10, v101 src0_sel:BYTE_1 src1_sel:DWORD
	s_mov_b32 s17, -1
	s_and_saveexec_b32 s74, s75
; %bb.9169:                             ;   in Loop: Header=BB4_8749 Depth=3
	s_xor_b32 s17, exec_lo, -1
; %bb.9170:                             ;   in Loop: Header=BB4_8749 Depth=3
	s_or_b32 exec_lo, exec_lo, s74
	s_and_b32 s17, s17, exec_lo
	s_or_saveexec_b32 s73, s73
	v_mov_b32_e32 v37, 0x7f800001
	s_xor_b32 exec_lo, exec_lo, s73
	s_cbranch_execnz .LBB4_9370
.LBB4_9171:                             ;   in Loop: Header=BB4_8749 Depth=3
	s_or_b32 exec_lo, exec_lo, s73
	s_and_saveexec_b32 s73, s17
	s_cbranch_execz .LBB4_9173
.LBB4_9172:                             ;   in Loop: Header=BB4_8749 Depth=3
	v_and_b32_sdwa v37, v102, v10 dst_sel:DWORD dst_unused:UNUSED_PAD src0_sel:DWORD src1_sel:BYTE_1
	v_and_b32_e32 v50, 3, v37
	v_bfe_u32 v96, v37, 2, 5
	v_ffbh_u32_e32 v51, v50
	v_cmp_eq_u32_e32 vcc_lo, 0, v96
	v_min_u32_e32 v51, 32, v51
	v_subrev_nc_u32_e32 v82, 29, v51
	v_sub_nc_u32_e32 v51, 30, v51
	v_lshlrev_b32_e32 v37, v82, v37
	v_lshlrev_b32_sdwa v82, v103, v10 dst_sel:DWORD dst_unused:UNUSED_PAD src0_sel:DWORD src1_sel:BYTE_1
	v_cndmask_b32_e32 v51, v96, v51, vcc_lo
	v_and_b32_e32 v37, 3, v37
	v_lshl_add_u32 v51, v51, 23, 0x37800000
	v_cndmask_b32_e32 v37, v50, v37, vcc_lo
	v_and_b32_e32 v50, 0x80000000, v82
	v_lshlrev_b32_e32 v37, 21, v37
	v_or3_b32 v37, v50, v51, v37
.LBB4_9173:                             ;   in Loop: Header=BB4_8749 Depth=3
	s_or_b32 exec_lo, exec_lo, s73
	v_add_f32_e32 v37, v31, v37
	v_and_b32_e32 v31, 0x7f800000, v37
	v_cmp_ne_u32_e32 vcc_lo, 0x7f800000, v31
	v_mov_b32_e32 v31, 0x8000
	s_and_saveexec_b32 s73, vcc_lo
	s_cbranch_execz .LBB4_9181
; %bb.9174:                             ;   in Loop: Header=BB4_8749 Depth=3
	v_mov_b32_e32 v31, 0
	s_mov_b32 s74, exec_lo
	v_cmpx_ne_u32_e32 0, v37
	s_cbranch_execz .LBB4_9180
; %bb.9175:                             ;   in Loop: Header=BB4_8749 Depth=3
	v_bfe_u32 v31, v37, 23, 8
	v_and_b32_e32 v50, 0x7fffff, v37
	v_sub_nc_u32_e32 v51, 0x70, v31
	v_cmp_gt_u32_e32 vcc_lo, 0x71, v31
	v_or_b32_e32 v82, 0x800000, v50
	v_cndmask_b32_e32 v51, 0, v51, vcc_lo
	v_cmp_eq_u32_e32 vcc_lo, 0, v31
	v_add_nc_u32_e32 v31, 0xffffff91, v31
	v_cndmask_b32_e64 v51, v51, 0x6f, vcc_lo
	v_cndmask_b32_e32 v50, v82, v50, vcc_lo
	v_cndmask_b32_e64 v31, v31, 0xffffff92, vcc_lo
	v_lshl_add_u32 v82, 0x200000, v51, -1
	v_lshrrev_b32_e32 v96, v51, v50
	v_lshlrev_b32_e64 v115, v51, 0x100000
	v_add_nc_u32_e32 v51, v51, v31
	v_and_b32_e32 v50, v82, v50
	v_bfe_u32 v97, v96, 21, 1
	v_cmp_eq_u32_e64 s17, v50, v115
	v_add_nc_u32_e32 v82, -1, v97
	v_cndmask_b32_e64 v50, 0, v82, s17
	v_lshrrev_b32_e32 v82, 23, v96
	s_mov_b32 s17, exec_lo
	v_add_nc_u32_e32 v50, v50, v96
	v_xor_b32_e32 v82, 1, v82
	v_and_b32_e32 v31, 0x1fffff, v50
	v_add_nc_u32_e32 v50, v31, v96
                                        ; implicit-def: $vgpr31
	v_cmpx_ne_u32_e64 v51, v82
	s_xor_b32 s17, exec_lo, s17
; %bb.9176:                             ;   in Loop: Header=BB4_8749 Depth=3
	v_cmp_lt_u32_e32 vcc_lo, 0xffffff, v50
	v_sub_nc_u32_e32 v31, v51, v82
	v_cndmask_b32_e64 v51, 0, 1, vcc_lo
	v_add_co_ci_u32_e64 v31, null, 0, v31, vcc_lo
	v_lshrrev_b32_e32 v50, v51, v50
; %bb.9177:                             ;   in Loop: Header=BB4_8749 Depth=3
	s_andn2_saveexec_b32 s17, s17
; %bb.9178:                             ;   in Loop: Header=BB4_8749 Depth=3
	v_bfe_u32 v31, v50, 23, 1
; %bb.9179:                             ;   in Loop: Header=BB4_8749 Depth=3
	s_or_b32 exec_lo, exec_lo, s17
	v_lshrrev_b32_e32 v50, 21, v50
	v_min_i32_e32 v51, 31, v31
	v_cmp_gt_i32_e32 vcc_lo, 32, v31
	v_and_b32_sdwa v37, v37, v101 dst_sel:DWORD dst_unused:UNUSED_PAD src0_sel:BYTE_3 src1_sel:DWORD
	v_lshlrev_b32_e32 v51, 2, v51
	v_cndmask_b32_e32 v50, 3, v50, vcc_lo
	v_and_b32_e32 v51, 0xfc, v51
	v_and_b32_e32 v82, 3, v50
	v_or_b32_e32 v31, v31, v50
	v_or3_b32 v37, v37, v51, v82
	v_cmp_ne_u32_e32 vcc_lo, 0, v31
	v_lshlrev_b32_e32 v37, 8, v37
	v_cndmask_b32_e32 v31, 0, v37, vcc_lo
.LBB4_9180:                             ;   in Loop: Header=BB4_8749 Depth=3
	s_or_b32 exec_lo, exec_lo, s74
.LBB4_9181:                             ;   in Loop: Header=BB4_8749 Depth=3
	s_or_b32 exec_lo, exec_lo, s73
	v_or_b32_e32 v4, v36, v4
	s_mov_b32 s17, 0
	v_cmp_gt_i16_sdwa s73, v4, v100 src0_sel:BYTE_0 src1_sel:DWORD
	s_and_saveexec_b32 s74, s73
	s_xor_b32 s73, exec_lo, s74
	s_cbranch_execz .LBB4_9371
; %bb.9182:                             ;   in Loop: Header=BB4_8749 Depth=3
	v_cmp_eq_u16_sdwa s75, v4, v101 src0_sel:BYTE_0 src1_sel:DWORD
	s_mov_b32 s17, -1
	s_and_saveexec_b32 s74, s75
; %bb.9183:                             ;   in Loop: Header=BB4_8749 Depth=3
	s_xor_b32 s17, exec_lo, -1
; %bb.9184:                             ;   in Loop: Header=BB4_8749 Depth=3
	s_or_b32 exec_lo, exec_lo, s74
	s_and_b32 s17, s17, exec_lo
	s_or_saveexec_b32 s73, s73
	v_mov_b32_e32 v36, 0x7f800001
	s_xor_b32 exec_lo, exec_lo, s73
	s_cbranch_execnz .LBB4_9372
.LBB4_9185:                             ;   in Loop: Header=BB4_8749 Depth=3
	s_or_b32 exec_lo, exec_lo, s73
	v_lshl_or_b32 v4, v4, 16, v1
	s_and_saveexec_b32 s73, s17
	s_cbranch_execz .LBB4_9187
.LBB4_9186:                             ;   in Loop: Header=BB4_8749 Depth=3
	v_bfe_u32 v1, v4, 16, 2
	v_bfe_u32 v50, v4, 18, 5
	v_lshlrev_b32_e32 v51, 8, v4
	v_ffbh_u32_e32 v36, v1
	v_cmp_eq_u32_e32 vcc_lo, 0, v50
	v_min_u32_e32 v36, 32, v36
	v_subrev_nc_u32_e32 v37, 29, v36
	v_sub_nc_u32_e32 v36, 30, v36
	v_lshlrev_b32_sdwa v37, v37, v4 dst_sel:DWORD dst_unused:UNUSED_PAD src0_sel:DWORD src1_sel:WORD_1
	v_cndmask_b32_e32 v36, v50, v36, vcc_lo
	v_and_b32_e32 v37, 3, v37
	v_lshl_add_u32 v36, v36, 23, 0x37800000
	v_cndmask_b32_e32 v1, v1, v37, vcc_lo
	v_and_b32_e32 v37, 0x80000000, v51
	v_lshlrev_b32_e32 v1, 21, v1
	v_or3_b32 v36, v37, v36, v1
.LBB4_9187:                             ;   in Loop: Header=BB4_8749 Depth=3
	s_or_b32 exec_lo, exec_lo, s73
	v_and_b32_sdwa v37, v10, v112 dst_sel:DWORD dst_unused:UNUSED_PAD src0_sel:WORD_1 src1_sel:DWORD
	s_mov_b32 s17, 0
	s_mov_b32 s73, exec_lo
	v_cmpx_lt_i16_e32 0x7f, v37
	s_xor_b32 s73, exec_lo, s73
	s_cbranch_execz .LBB4_9373
; %bb.9188:                             ;   in Loop: Header=BB4_8749 Depth=3
	s_mov_b32 s17, -1
	s_mov_b32 s74, exec_lo
	v_cmpx_eq_u16_e32 0x80, v37
; %bb.9189:                             ;   in Loop: Header=BB4_8749 Depth=3
	s_xor_b32 s17, exec_lo, -1
; %bb.9190:                             ;   in Loop: Header=BB4_8749 Depth=3
	s_or_b32 exec_lo, exec_lo, s74
	s_and_b32 s17, s17, exec_lo
                                        ; implicit-def: $vgpr37
	s_or_saveexec_b32 s73, s73
	v_mov_b32_e32 v1, 0x7f800001
	s_xor_b32 exec_lo, exec_lo, s73
	s_cbranch_execnz .LBB4_9374
.LBB4_9191:                             ;   in Loop: Header=BB4_8749 Depth=3
	s_or_b32 exec_lo, exec_lo, s73
	s_and_saveexec_b32 s73, s17
	s_cbranch_execz .LBB4_9193
.LBB4_9192:                             ;   in Loop: Header=BB4_8749 Depth=3
	v_and_b32_sdwa v1, v10, v114 dst_sel:DWORD dst_unused:UNUSED_PAD src0_sel:WORD_1 src1_sel:DWORD
	v_bfe_u32 v51, v10, 18, 5
	v_lshlrev_b32_sdwa v82, v103, v10 dst_sel:DWORD dst_unused:UNUSED_PAD src0_sel:DWORD src1_sel:WORD_1
	v_ffbh_u32_e32 v37, v1
	v_cmp_eq_u32_e32 vcc_lo, 0, v51
	v_min_u32_e32 v37, 32, v37
	v_subrev_nc_u32_e32 v50, 29, v37
	v_sub_nc_u32_e32 v37, 30, v37
	v_lshlrev_b32_sdwa v50, v50, v10 dst_sel:DWORD dst_unused:UNUSED_PAD src0_sel:DWORD src1_sel:WORD_1
	v_cndmask_b32_e32 v37, v51, v37, vcc_lo
	v_and_b32_e32 v50, 3, v50
	v_lshl_add_u32 v37, v37, 23, 0x37800000
	v_cndmask_b32_e32 v1, v1, v50, vcc_lo
	v_and_b32_e32 v50, 0x80000000, v82
	v_lshlrev_b32_e32 v1, 21, v1
	v_or3_b32 v1, v50, v37, v1
.LBB4_9193:                             ;   in Loop: Header=BB4_8749 Depth=3
	s_or_b32 exec_lo, exec_lo, s73
	v_add_f32_e32 v36, v36, v1
	v_and_b32_e32 v1, 0x7f800000, v36
	v_cmp_ne_u32_e32 vcc_lo, 0x7f800000, v1
	v_mov_b32_e32 v1, 0x80
	s_and_saveexec_b32 s73, vcc_lo
	s_cbranch_execz .LBB4_9201
; %bb.9194:                             ;   in Loop: Header=BB4_8749 Depth=3
	v_mov_b32_e32 v1, 0
	s_mov_b32 s74, exec_lo
	v_cmpx_ne_u32_e32 0, v36
	s_cbranch_execz .LBB4_9200
; %bb.9195:                             ;   in Loop: Header=BB4_8749 Depth=3
	v_bfe_u32 v1, v36, 23, 8
	v_and_b32_e32 v37, 0x7fffff, v36
	v_sub_nc_u32_e32 v50, 0x70, v1
	v_cmp_gt_u32_e32 vcc_lo, 0x71, v1
	v_or_b32_e32 v51, 0x800000, v37
	v_cndmask_b32_e32 v50, 0, v50, vcc_lo
	v_cmp_eq_u32_e32 vcc_lo, 0, v1
	v_add_nc_u32_e32 v1, 0xffffff91, v1
	v_cndmask_b32_e64 v50, v50, 0x6f, vcc_lo
	v_cndmask_b32_e32 v37, v51, v37, vcc_lo
	v_cndmask_b32_e64 v1, v1, 0xffffff92, vcc_lo
	v_lshl_add_u32 v51, 0x200000, v50, -1
	v_lshrrev_b32_e32 v82, v50, v37
	v_lshlrev_b32_e64 v97, v50, 0x100000
	v_add_nc_u32_e32 v50, v50, v1
	v_and_b32_e32 v37, v51, v37
	v_bfe_u32 v96, v82, 21, 1
	v_cmp_eq_u32_e64 s17, v37, v97
	v_add_nc_u32_e32 v51, -1, v96
	v_cndmask_b32_e64 v37, 0, v51, s17
	v_lshrrev_b32_e32 v51, 23, v82
	s_mov_b32 s17, exec_lo
	v_add_nc_u32_e32 v37, v37, v82
	v_xor_b32_e32 v51, 1, v51
	v_and_b32_e32 v1, 0x1fffff, v37
	v_add_nc_u32_e32 v37, v1, v82
                                        ; implicit-def: $vgpr1
	v_cmpx_ne_u32_e64 v50, v51
	s_xor_b32 s17, exec_lo, s17
; %bb.9196:                             ;   in Loop: Header=BB4_8749 Depth=3
	v_cmp_lt_u32_e32 vcc_lo, 0xffffff, v37
	v_sub_nc_u32_e32 v1, v50, v51
	v_cndmask_b32_e64 v50, 0, 1, vcc_lo
	v_add_co_ci_u32_e64 v1, null, 0, v1, vcc_lo
	v_lshrrev_b32_e32 v37, v50, v37
; %bb.9197:                             ;   in Loop: Header=BB4_8749 Depth=3
	s_andn2_saveexec_b32 s17, s17
; %bb.9198:                             ;   in Loop: Header=BB4_8749 Depth=3
	v_bfe_u32 v1, v37, 23, 1
; %bb.9199:                             ;   in Loop: Header=BB4_8749 Depth=3
	s_or_b32 exec_lo, exec_lo, s17
	v_lshrrev_b32_e32 v37, 21, v37
	v_min_i32_e32 v50, 31, v1
	v_cmp_gt_i32_e32 vcc_lo, 32, v1
	v_and_b32_sdwa v36, v36, v101 dst_sel:DWORD dst_unused:UNUSED_PAD src0_sel:BYTE_3 src1_sel:DWORD
	v_lshlrev_b32_e32 v50, 2, v50
	v_cndmask_b32_e32 v37, 3, v37, vcc_lo
	v_and_b32_e32 v50, 0xfc, v50
	v_and_b32_e32 v51, 3, v37
	v_or_b32_e32 v1, v1, v37
	v_or3_b32 v36, v50, v36, v51
	v_cmp_ne_u32_e32 vcc_lo, 0, v1
	v_cndmask_b32_e32 v1, 0, v36, vcc_lo
.LBB4_9200:                             ;   in Loop: Header=BB4_8749 Depth=3
	s_or_b32 exec_lo, exec_lo, s74
.LBB4_9201:                             ;   in Loop: Header=BB4_8749 Depth=3
	s_or_b32 exec_lo, exec_lo, s73
	v_cmp_gt_i16_sdwa s73, v4, v100 src0_sel:BYTE_3 src1_sel:DWORD
	s_mov_b32 s17, 0
	s_and_saveexec_b32 s74, s73
	s_xor_b32 s73, exec_lo, s74
	s_cbranch_execz .LBB4_9375
; %bb.9202:                             ;   in Loop: Header=BB4_8749 Depth=3
	v_cmp_eq_u16_sdwa s75, v4, v101 src0_sel:BYTE_3 src1_sel:DWORD
	s_mov_b32 s17, -1
	s_and_saveexec_b32 s74, s75
; %bb.9203:                             ;   in Loop: Header=BB4_8749 Depth=3
	s_xor_b32 s17, exec_lo, -1
; %bb.9204:                             ;   in Loop: Header=BB4_8749 Depth=3
	s_or_b32 exec_lo, exec_lo, s74
	s_and_b32 s17, s17, exec_lo
	s_or_saveexec_b32 s73, s73
	v_mov_b32_e32 v36, 0x7f800001
	s_xor_b32 exec_lo, exec_lo, s73
	s_cbranch_execnz .LBB4_9376
.LBB4_9205:                             ;   in Loop: Header=BB4_8749 Depth=3
	s_or_b32 exec_lo, exec_lo, s73
	s_and_saveexec_b32 s73, s17
	s_cbranch_execz .LBB4_9207
.LBB4_9206:                             ;   in Loop: Header=BB4_8749 Depth=3
	v_bfe_u32 v36, v4, 24, 2
	v_bfe_u32 v51, v4, 26, 5
	v_ffbh_u32_e32 v37, v36
	v_cmp_eq_u32_e32 vcc_lo, 0, v51
	v_min_u32_e32 v37, 32, v37
	v_subrev_nc_u32_e32 v50, 29, v37
	v_sub_nc_u32_e32 v37, 30, v37
	v_lshlrev_b32_sdwa v50, v50, v4 dst_sel:DWORD dst_unused:UNUSED_PAD src0_sel:DWORD src1_sel:BYTE_3
	v_cndmask_b32_e32 v37, v51, v37, vcc_lo
	v_and_b32_e32 v4, 0x80000000, v4
	v_and_b32_e32 v50, 3, v50
	v_lshl_add_u32 v37, v37, 23, 0x37800000
	v_cndmask_b32_e32 v36, v36, v50, vcc_lo
	v_lshlrev_b32_e32 v36, 21, v36
	v_or3_b32 v36, v4, v37, v36
.LBB4_9207:                             ;   in Loop: Header=BB4_8749 Depth=3
	s_or_b32 exec_lo, exec_lo, s73
	v_cmp_gt_i16_sdwa s73, v10, v100 src0_sel:BYTE_3 src1_sel:DWORD
	s_mov_b32 s17, 0
	s_and_saveexec_b32 s74, s73
	s_xor_b32 s73, exec_lo, s74
	s_cbranch_execz .LBB4_9377
; %bb.9208:                             ;   in Loop: Header=BB4_8749 Depth=3
	v_cmp_eq_u16_sdwa s75, v10, v101 src0_sel:BYTE_3 src1_sel:DWORD
	s_mov_b32 s17, -1
	s_and_saveexec_b32 s74, s75
; %bb.9209:                             ;   in Loop: Header=BB4_8749 Depth=3
	s_xor_b32 s17, exec_lo, -1
; %bb.9210:                             ;   in Loop: Header=BB4_8749 Depth=3
	s_or_b32 exec_lo, exec_lo, s74
	s_and_b32 s17, s17, exec_lo
	s_or_saveexec_b32 s73, s73
	v_mov_b32_e32 v4, 0x7f800001
	s_xor_b32 exec_lo, exec_lo, s73
	s_cbranch_execnz .LBB4_9378
.LBB4_9211:                             ;   in Loop: Header=BB4_8749 Depth=3
	s_or_b32 exec_lo, exec_lo, s73
	s_and_saveexec_b32 s73, s17
	s_cbranch_execz .LBB4_9213
.LBB4_9212:                             ;   in Loop: Header=BB4_8749 Depth=3
	v_and_b32_sdwa v4, v10, v114 dst_sel:DWORD dst_unused:UNUSED_PAD src0_sel:BYTE_3 src1_sel:DWORD
	v_bfe_u32 v51, v10, 26, 5
	v_ffbh_u32_e32 v37, v4
	v_cmp_eq_u32_e32 vcc_lo, 0, v51
	v_min_u32_e32 v37, 32, v37
	v_subrev_nc_u32_e32 v50, 29, v37
	v_sub_nc_u32_e32 v37, 30, v37
	v_lshlrev_b32_sdwa v50, v50, v10 dst_sel:DWORD dst_unused:UNUSED_PAD src0_sel:DWORD src1_sel:BYTE_3
	v_cndmask_b32_e32 v37, v51, v37, vcc_lo
	v_and_b32_e32 v10, 0x80000000, v10
	v_and_b32_e32 v50, 3, v50
	v_lshl_add_u32 v37, v37, 23, 0x37800000
	v_cndmask_b32_e32 v4, v4, v50, vcc_lo
	v_lshlrev_b32_e32 v4, 21, v4
	v_or3_b32 v4, v10, v37, v4
.LBB4_9213:                             ;   in Loop: Header=BB4_8749 Depth=3
	s_or_b32 exec_lo, exec_lo, s73
	v_add_f32_e32 v10, v36, v4
	v_and_b32_e32 v4, 0x7f800000, v10
	v_cmp_ne_u32_e32 vcc_lo, 0x7f800000, v4
	v_mov_b32_e32 v4, 0x8000
	s_and_saveexec_b32 s73, vcc_lo
	s_cbranch_execz .LBB4_9221
; %bb.9214:                             ;   in Loop: Header=BB4_8749 Depth=3
	v_mov_b32_e32 v4, 0
	s_mov_b32 s74, exec_lo
	v_cmpx_ne_u32_e32 0, v10
	s_cbranch_execz .LBB4_9220
; %bb.9215:                             ;   in Loop: Header=BB4_8749 Depth=3
	v_bfe_u32 v4, v10, 23, 8
	v_and_b32_e32 v36, 0x7fffff, v10
	v_sub_nc_u32_e32 v37, 0x70, v4
	v_cmp_gt_u32_e32 vcc_lo, 0x71, v4
	v_or_b32_e32 v50, 0x800000, v36
	v_cndmask_b32_e32 v37, 0, v37, vcc_lo
	v_cmp_eq_u32_e32 vcc_lo, 0, v4
	v_add_nc_u32_e32 v4, 0xffffff91, v4
	v_cndmask_b32_e64 v37, v37, 0x6f, vcc_lo
	v_cndmask_b32_e32 v36, v50, v36, vcc_lo
	v_cndmask_b32_e64 v4, v4, 0xffffff92, vcc_lo
	v_lshl_add_u32 v50, 0x200000, v37, -1
	v_lshrrev_b32_e32 v51, v37, v36
	v_lshlrev_b32_e64 v96, v37, 0x100000
	v_add_nc_u32_e32 v37, v37, v4
	v_and_b32_e32 v36, v50, v36
	v_bfe_u32 v82, v51, 21, 1
	v_cmp_eq_u32_e64 s17, v36, v96
	v_add_nc_u32_e32 v50, -1, v82
	v_cndmask_b32_e64 v36, 0, v50, s17
	v_lshrrev_b32_e32 v50, 23, v51
	s_mov_b32 s17, exec_lo
	v_add_nc_u32_e32 v36, v36, v51
	v_xor_b32_e32 v50, 1, v50
	v_and_b32_e32 v4, 0x1fffff, v36
	v_add_nc_u32_e32 v36, v4, v51
                                        ; implicit-def: $vgpr4
	v_cmpx_ne_u32_e64 v37, v50
	s_xor_b32 s17, exec_lo, s17
; %bb.9216:                             ;   in Loop: Header=BB4_8749 Depth=3
	v_cmp_lt_u32_e32 vcc_lo, 0xffffff, v36
	v_sub_nc_u32_e32 v4, v37, v50
	v_cndmask_b32_e64 v37, 0, 1, vcc_lo
	v_add_co_ci_u32_e64 v4, null, 0, v4, vcc_lo
	v_lshrrev_b32_e32 v36, v37, v36
; %bb.9217:                             ;   in Loop: Header=BB4_8749 Depth=3
	s_andn2_saveexec_b32 s17, s17
; %bb.9218:                             ;   in Loop: Header=BB4_8749 Depth=3
	v_bfe_u32 v4, v36, 23, 1
; %bb.9219:                             ;   in Loop: Header=BB4_8749 Depth=3
	s_or_b32 exec_lo, exec_lo, s17
	v_lshrrev_b32_e32 v36, 21, v36
	v_min_i32_e32 v37, 31, v4
	v_cmp_gt_i32_e32 vcc_lo, 32, v4
	v_and_b32_sdwa v10, v10, v101 dst_sel:DWORD dst_unused:UNUSED_PAD src0_sel:BYTE_3 src1_sel:DWORD
	v_lshlrev_b32_e32 v37, 2, v37
	v_cndmask_b32_e32 v36, 3, v36, vcc_lo
	v_and_b32_e32 v37, 0xfc, v37
	v_and_b32_e32 v50, 3, v36
	v_or_b32_e32 v4, v4, v36
	v_or3_b32 v10, v10, v37, v50
	v_cmp_ne_u32_e32 vcc_lo, 0, v4
	v_lshlrev_b32_e32 v10, 8, v10
	v_cndmask_b32_e32 v4, 0, v10, vcc_lo
.LBB4_9220:                             ;   in Loop: Header=BB4_8749 Depth=3
	s_or_b32 exec_lo, exec_lo, s74
.LBB4_9221:                             ;   in Loop: Header=BB4_8749 Depth=3
	s_or_b32 exec_lo, exec_lo, s73
	v_or_b32_e32 v10, v5, v18
	s_mov_b32 s17, 0
	v_cmp_gt_i16_sdwa s73, v10, v100 src0_sel:BYTE_0 src1_sel:DWORD
	s_and_saveexec_b32 s74, s73
	s_xor_b32 s73, exec_lo, s74
	s_cbranch_execz .LBB4_9379
; %bb.9222:                             ;   in Loop: Header=BB4_8749 Depth=3
	v_cmp_eq_u16_sdwa s75, v10, v101 src0_sel:BYTE_0 src1_sel:DWORD
	s_mov_b32 s17, -1
	s_and_saveexec_b32 s74, s75
; %bb.9223:                             ;   in Loop: Header=BB4_8749 Depth=3
	s_xor_b32 s17, exec_lo, -1
; %bb.9224:                             ;   in Loop: Header=BB4_8749 Depth=3
	s_or_b32 exec_lo, exec_lo, s74
	s_and_b32 s17, s17, exec_lo
	s_or_saveexec_b32 s73, s73
	v_mov_b32_e32 v5, 0x7f800001
	s_xor_b32 exec_lo, exec_lo, s73
	s_cbranch_execnz .LBB4_9380
.LBB4_9225:                             ;   in Loop: Header=BB4_8749 Depth=3
	s_or_b32 exec_lo, exec_lo, s73
	s_and_saveexec_b32 s73, s17
	s_cbranch_execz .LBB4_9227
.LBB4_9226:                             ;   in Loop: Header=BB4_8749 Depth=3
	v_and_b32_e32 v5, 3, v10
	v_bfe_u32 v37, v10, 2, 5
	v_lshlrev_b32_e32 v50, 24, v10
	v_ffbh_u32_e32 v18, v5
	v_cmp_eq_u32_e32 vcc_lo, 0, v37
	v_min_u32_e32 v18, 32, v18
	v_subrev_nc_u32_e32 v36, 29, v18
	v_sub_nc_u32_e32 v18, 30, v18
	v_lshlrev_b32_e32 v36, v36, v10
	v_cndmask_b32_e32 v18, v37, v18, vcc_lo
	v_and_b32_e32 v36, 3, v36
	v_lshl_add_u32 v18, v18, 23, 0x37800000
	v_cndmask_b32_e32 v5, v5, v36, vcc_lo
	v_and_b32_e32 v36, 0x80000000, v50
	v_lshlrev_b32_e32 v5, 21, v5
	v_or3_b32 v5, v36, v18, v5
.LBB4_9227:                             ;   in Loop: Header=BB4_8749 Depth=3
	s_or_b32 exec_lo, exec_lo, s73
	v_cmp_gt_i16_sdwa s73, v11, v100 src0_sel:BYTE_0 src1_sel:DWORD
	s_mov_b32 s17, 0
	s_and_saveexec_b32 s74, s73
	s_xor_b32 s73, exec_lo, s74
	s_cbranch_execz .LBB4_9381
; %bb.9228:                             ;   in Loop: Header=BB4_8749 Depth=3
	v_cmp_eq_u16_sdwa s75, v11, v101 src0_sel:BYTE_0 src1_sel:DWORD
	s_mov_b32 s17, -1
	s_and_saveexec_b32 s74, s75
; %bb.9229:                             ;   in Loop: Header=BB4_8749 Depth=3
	s_xor_b32 s17, exec_lo, -1
; %bb.9230:                             ;   in Loop: Header=BB4_8749 Depth=3
	s_or_b32 exec_lo, exec_lo, s74
	s_and_b32 s17, s17, exec_lo
	s_or_saveexec_b32 s73, s73
	v_mov_b32_e32 v18, 0x7f800001
	s_xor_b32 exec_lo, exec_lo, s73
	s_cbranch_execnz .LBB4_9382
.LBB4_9231:                             ;   in Loop: Header=BB4_8749 Depth=3
	s_or_b32 exec_lo, exec_lo, s73
	s_and_saveexec_b32 s73, s17
	s_cbranch_execz .LBB4_9233
.LBB4_9232:                             ;   in Loop: Header=BB4_8749 Depth=3
	v_and_b32_e32 v18, 3, v11
	v_bfe_u32 v50, v11, 2, 5
	v_lshlrev_b32_e32 v51, 24, v11
	v_ffbh_u32_e32 v36, v18
	v_cmp_eq_u32_e32 vcc_lo, 0, v50
	v_min_u32_e32 v36, 32, v36
	v_subrev_nc_u32_e32 v37, 29, v36
	v_sub_nc_u32_e32 v36, 30, v36
	v_lshlrev_b32_e32 v37, v37, v11
	v_cndmask_b32_e32 v36, v50, v36, vcc_lo
	v_and_b32_e32 v37, 3, v37
	v_lshl_add_u32 v36, v36, 23, 0x37800000
	v_cndmask_b32_e32 v18, v18, v37, vcc_lo
	v_and_b32_e32 v37, 0x80000000, v51
	v_lshlrev_b32_e32 v18, 21, v18
	v_or3_b32 v18, v37, v36, v18
.LBB4_9233:                             ;   in Loop: Header=BB4_8749 Depth=3
	s_or_b32 exec_lo, exec_lo, s73
	v_add_f32_e32 v18, v5, v18
	v_and_b32_e32 v5, 0x7f800000, v18
	v_cmp_ne_u32_e32 vcc_lo, 0x7f800000, v5
	v_mov_b32_e32 v5, 0x80
	s_and_saveexec_b32 s73, vcc_lo
	s_cbranch_execz .LBB4_9241
; %bb.9234:                             ;   in Loop: Header=BB4_8749 Depth=3
	v_mov_b32_e32 v5, 0
	s_mov_b32 s74, exec_lo
	v_cmpx_ne_u32_e32 0, v18
	s_cbranch_execz .LBB4_9240
; %bb.9235:                             ;   in Loop: Header=BB4_8749 Depth=3
	v_bfe_u32 v5, v18, 23, 8
	v_and_b32_e32 v36, 0x7fffff, v18
	v_sub_nc_u32_e32 v37, 0x70, v5
	v_cmp_gt_u32_e32 vcc_lo, 0x71, v5
	v_or_b32_e32 v50, 0x800000, v36
	v_cndmask_b32_e32 v37, 0, v37, vcc_lo
	v_cmp_eq_u32_e32 vcc_lo, 0, v5
	v_add_nc_u32_e32 v5, 0xffffff91, v5
	v_cndmask_b32_e64 v37, v37, 0x6f, vcc_lo
	v_cndmask_b32_e32 v36, v50, v36, vcc_lo
	v_cndmask_b32_e64 v5, v5, 0xffffff92, vcc_lo
	v_lshl_add_u32 v50, 0x200000, v37, -1
	v_lshrrev_b32_e32 v51, v37, v36
	v_lshlrev_b32_e64 v96, v37, 0x100000
	v_add_nc_u32_e32 v37, v37, v5
	v_and_b32_e32 v36, v50, v36
	v_bfe_u32 v82, v51, 21, 1
	v_cmp_eq_u32_e64 s17, v36, v96
	v_add_nc_u32_e32 v50, -1, v82
	v_cndmask_b32_e64 v36, 0, v50, s17
	v_lshrrev_b32_e32 v50, 23, v51
	s_mov_b32 s17, exec_lo
	v_add_nc_u32_e32 v36, v36, v51
	v_xor_b32_e32 v50, 1, v50
	v_and_b32_e32 v5, 0x1fffff, v36
	v_add_nc_u32_e32 v36, v5, v51
                                        ; implicit-def: $vgpr5
	v_cmpx_ne_u32_e64 v37, v50
	s_xor_b32 s17, exec_lo, s17
; %bb.9236:                             ;   in Loop: Header=BB4_8749 Depth=3
	v_cmp_lt_u32_e32 vcc_lo, 0xffffff, v36
	v_sub_nc_u32_e32 v5, v37, v50
	v_cndmask_b32_e64 v37, 0, 1, vcc_lo
	v_add_co_ci_u32_e64 v5, null, 0, v5, vcc_lo
	v_lshrrev_b32_e32 v36, v37, v36
; %bb.9237:                             ;   in Loop: Header=BB4_8749 Depth=3
	s_andn2_saveexec_b32 s17, s17
; %bb.9238:                             ;   in Loop: Header=BB4_8749 Depth=3
	v_bfe_u32 v5, v36, 23, 1
; %bb.9239:                             ;   in Loop: Header=BB4_8749 Depth=3
	s_or_b32 exec_lo, exec_lo, s17
	v_lshrrev_b32_e32 v36, 21, v36
	v_min_i32_e32 v37, 31, v5
	v_cmp_gt_i32_e32 vcc_lo, 32, v5
	v_and_b32_sdwa v18, v18, v101 dst_sel:DWORD dst_unused:UNUSED_PAD src0_sel:BYTE_3 src1_sel:DWORD
	v_lshlrev_b32_e32 v37, 2, v37
	v_cndmask_b32_e32 v36, 3, v36, vcc_lo
	v_and_b32_e32 v37, 0xfc, v37
	v_and_b32_e32 v50, 3, v36
	v_or_b32_e32 v5, v5, v36
	v_or3_b32 v18, v37, v18, v50
	v_cmp_ne_u32_e32 vcc_lo, 0, v5
	v_cndmask_b32_e32 v5, 0, v18, vcc_lo
.LBB4_9240:                             ;   in Loop: Header=BB4_8749 Depth=3
	s_or_b32 exec_lo, exec_lo, s74
.LBB4_9241:                             ;   in Loop: Header=BB4_8749 Depth=3
	s_or_b32 exec_lo, exec_lo, s73
	v_cmp_gt_i16_sdwa s73, v10, v100 src0_sel:BYTE_1 src1_sel:DWORD
	s_mov_b32 s17, 0
	s_and_saveexec_b32 s74, s73
	s_xor_b32 s73, exec_lo, s74
	s_cbranch_execz .LBB4_9383
; %bb.9242:                             ;   in Loop: Header=BB4_8749 Depth=3
	v_cmp_eq_u16_sdwa s75, v10, v101 src0_sel:BYTE_1 src1_sel:DWORD
	s_mov_b32 s17, -1
	s_and_saveexec_b32 s74, s75
; %bb.9243:                             ;   in Loop: Header=BB4_8749 Depth=3
	s_xor_b32 s17, exec_lo, -1
; %bb.9244:                             ;   in Loop: Header=BB4_8749 Depth=3
	s_or_b32 exec_lo, exec_lo, s74
	s_and_b32 s17, s17, exec_lo
	s_or_saveexec_b32 s73, s73
	v_mov_b32_e32 v18, 0x7f800001
	s_xor_b32 exec_lo, exec_lo, s73
	s_cbranch_execnz .LBB4_9384
.LBB4_9245:                             ;   in Loop: Header=BB4_8749 Depth=3
	s_or_b32 exec_lo, exec_lo, s73
	s_and_saveexec_b32 s73, s17
	s_cbranch_execz .LBB4_9247
.LBB4_9246:                             ;   in Loop: Header=BB4_8749 Depth=3
	v_and_b32_sdwa v18, v102, v10 dst_sel:DWORD dst_unused:UNUSED_PAD src0_sel:DWORD src1_sel:BYTE_1
	v_and_b32_e32 v36, 3, v18
	v_bfe_u32 v51, v18, 2, 5
	v_ffbh_u32_e32 v37, v36
	v_cmp_eq_u32_e32 vcc_lo, 0, v51
	v_min_u32_e32 v37, 32, v37
	v_subrev_nc_u32_e32 v50, 29, v37
	v_sub_nc_u32_e32 v37, 30, v37
	v_lshlrev_b32_e32 v18, v50, v18
	v_lshlrev_b32_sdwa v50, v103, v10 dst_sel:DWORD dst_unused:UNUSED_PAD src0_sel:DWORD src1_sel:BYTE_1
	v_cndmask_b32_e32 v37, v51, v37, vcc_lo
	v_and_b32_e32 v18, 3, v18
	v_lshl_add_u32 v37, v37, 23, 0x37800000
	v_cndmask_b32_e32 v18, v36, v18, vcc_lo
	v_and_b32_e32 v36, 0x80000000, v50
	v_lshlrev_b32_e32 v18, 21, v18
	v_or3_b32 v18, v36, v37, v18
.LBB4_9247:                             ;   in Loop: Header=BB4_8749 Depth=3
	s_or_b32 exec_lo, exec_lo, s73
	v_cmp_gt_i16_sdwa s73, v11, v100 src0_sel:BYTE_1 src1_sel:DWORD
	s_mov_b32 s17, 0
	s_and_saveexec_b32 s74, s73
	s_xor_b32 s73, exec_lo, s74
	s_cbranch_execz .LBB4_9385
; %bb.9248:                             ;   in Loop: Header=BB4_8749 Depth=3
	v_cmp_eq_u16_sdwa s75, v11, v101 src0_sel:BYTE_1 src1_sel:DWORD
	s_mov_b32 s17, -1
	s_and_saveexec_b32 s74, s75
; %bb.9249:                             ;   in Loop: Header=BB4_8749 Depth=3
	s_xor_b32 s17, exec_lo, -1
; %bb.9250:                             ;   in Loop: Header=BB4_8749 Depth=3
	s_or_b32 exec_lo, exec_lo, s74
	s_and_b32 s17, s17, exec_lo
	s_or_saveexec_b32 s73, s73
	v_mov_b32_e32 v36, 0x7f800001
	s_xor_b32 exec_lo, exec_lo, s73
	s_cbranch_execnz .LBB4_9386
.LBB4_9251:                             ;   in Loop: Header=BB4_8749 Depth=3
	s_or_b32 exec_lo, exec_lo, s73
	s_and_saveexec_b32 s73, s17
	s_cbranch_execz .LBB4_9253
.LBB4_9252:                             ;   in Loop: Header=BB4_8749 Depth=3
	v_and_b32_sdwa v36, v102, v11 dst_sel:DWORD dst_unused:UNUSED_PAD src0_sel:DWORD src1_sel:BYTE_1
	v_and_b32_e32 v37, 3, v36
	v_bfe_u32 v82, v36, 2, 5
	v_ffbh_u32_e32 v50, v37
	v_cmp_eq_u32_e32 vcc_lo, 0, v82
	v_min_u32_e32 v50, 32, v50
	v_subrev_nc_u32_e32 v51, 29, v50
	v_sub_nc_u32_e32 v50, 30, v50
	v_lshlrev_b32_e32 v36, v51, v36
	v_lshlrev_b32_sdwa v51, v103, v11 dst_sel:DWORD dst_unused:UNUSED_PAD src0_sel:DWORD src1_sel:BYTE_1
	v_cndmask_b32_e32 v50, v82, v50, vcc_lo
	v_and_b32_e32 v36, 3, v36
	v_lshl_add_u32 v50, v50, 23, 0x37800000
	v_cndmask_b32_e32 v36, v37, v36, vcc_lo
	v_and_b32_e32 v37, 0x80000000, v51
	v_lshlrev_b32_e32 v36, 21, v36
	v_or3_b32 v36, v37, v50, v36
.LBB4_9253:                             ;   in Loop: Header=BB4_8749 Depth=3
	s_or_b32 exec_lo, exec_lo, s73
	v_add_f32_e32 v36, v18, v36
	v_and_b32_e32 v18, 0x7f800000, v36
	v_cmp_ne_u32_e32 vcc_lo, 0x7f800000, v18
	v_mov_b32_e32 v18, 0x8000
	s_and_saveexec_b32 s73, vcc_lo
	s_cbranch_execz .LBB4_9261
; %bb.9254:                             ;   in Loop: Header=BB4_8749 Depth=3
	v_mov_b32_e32 v18, 0
	s_mov_b32 s74, exec_lo
	v_cmpx_ne_u32_e32 0, v36
	s_cbranch_execz .LBB4_9260
; %bb.9255:                             ;   in Loop: Header=BB4_8749 Depth=3
	v_bfe_u32 v18, v36, 23, 8
	v_and_b32_e32 v37, 0x7fffff, v36
	v_sub_nc_u32_e32 v50, 0x70, v18
	v_cmp_gt_u32_e32 vcc_lo, 0x71, v18
	v_or_b32_e32 v51, 0x800000, v37
	v_cndmask_b32_e32 v50, 0, v50, vcc_lo
	v_cmp_eq_u32_e32 vcc_lo, 0, v18
	v_add_nc_u32_e32 v18, 0xffffff91, v18
	v_cndmask_b32_e64 v50, v50, 0x6f, vcc_lo
	v_cndmask_b32_e32 v37, v51, v37, vcc_lo
	v_cndmask_b32_e64 v18, v18, 0xffffff92, vcc_lo
	v_lshl_add_u32 v51, 0x200000, v50, -1
	v_lshrrev_b32_e32 v82, v50, v37
	v_lshlrev_b32_e64 v97, v50, 0x100000
	v_add_nc_u32_e32 v50, v50, v18
	v_and_b32_e32 v37, v51, v37
	v_bfe_u32 v96, v82, 21, 1
	v_cmp_eq_u32_e64 s17, v37, v97
	v_add_nc_u32_e32 v51, -1, v96
	v_cndmask_b32_e64 v37, 0, v51, s17
	v_lshrrev_b32_e32 v51, 23, v82
	s_mov_b32 s17, exec_lo
	v_add_nc_u32_e32 v37, v37, v82
	v_xor_b32_e32 v51, 1, v51
	v_and_b32_e32 v18, 0x1fffff, v37
	v_add_nc_u32_e32 v37, v18, v82
                                        ; implicit-def: $vgpr18
	v_cmpx_ne_u32_e64 v50, v51
	s_xor_b32 s17, exec_lo, s17
; %bb.9256:                             ;   in Loop: Header=BB4_8749 Depth=3
	v_cmp_lt_u32_e32 vcc_lo, 0xffffff, v37
	v_sub_nc_u32_e32 v18, v50, v51
	v_cndmask_b32_e64 v50, 0, 1, vcc_lo
	v_add_co_ci_u32_e64 v18, null, 0, v18, vcc_lo
	v_lshrrev_b32_e32 v37, v50, v37
; %bb.9257:                             ;   in Loop: Header=BB4_8749 Depth=3
	s_andn2_saveexec_b32 s17, s17
; %bb.9258:                             ;   in Loop: Header=BB4_8749 Depth=3
	v_bfe_u32 v18, v37, 23, 1
; %bb.9259:                             ;   in Loop: Header=BB4_8749 Depth=3
	s_or_b32 exec_lo, exec_lo, s17
	v_lshrrev_b32_e32 v37, 21, v37
	v_min_i32_e32 v50, 31, v18
	v_cmp_gt_i32_e32 vcc_lo, 32, v18
	v_and_b32_sdwa v36, v36, v101 dst_sel:DWORD dst_unused:UNUSED_PAD src0_sel:BYTE_3 src1_sel:DWORD
	v_lshlrev_b32_e32 v50, 2, v50
	v_cndmask_b32_e32 v37, 3, v37, vcc_lo
	v_and_b32_e32 v50, 0xfc, v50
	v_and_b32_e32 v51, 3, v37
	v_or_b32_e32 v18, v18, v37
	v_or3_b32 v36, v36, v50, v51
	v_cmp_ne_u32_e32 vcc_lo, 0, v18
	v_lshlrev_b32_e32 v36, 8, v36
	v_cndmask_b32_e32 v18, 0, v36, vcc_lo
.LBB4_9260:                             ;   in Loop: Header=BB4_8749 Depth=3
	s_or_b32 exec_lo, exec_lo, s74
.LBB4_9261:                             ;   in Loop: Header=BB4_8749 Depth=3
	s_or_b32 exec_lo, exec_lo, s73
	v_or_b32_e32 v17, v20, v17
	s_mov_b32 s17, 0
	v_cmp_gt_i16_sdwa s73, v17, v100 src0_sel:BYTE_0 src1_sel:DWORD
	s_and_saveexec_b32 s74, s73
	s_xor_b32 s73, exec_lo, s74
	s_cbranch_execz .LBB4_9387
; %bb.9262:                             ;   in Loop: Header=BB4_8749 Depth=3
	v_cmp_eq_u16_sdwa s75, v17, v101 src0_sel:BYTE_0 src1_sel:DWORD
	s_mov_b32 s17, -1
	s_and_saveexec_b32 s74, s75
; %bb.9263:                             ;   in Loop: Header=BB4_8749 Depth=3
	s_xor_b32 s17, exec_lo, -1
; %bb.9264:                             ;   in Loop: Header=BB4_8749 Depth=3
	s_or_b32 exec_lo, exec_lo, s74
	s_and_b32 s17, s17, exec_lo
	s_or_saveexec_b32 s73, s73
	v_mov_b32_e32 v20, 0x7f800001
	s_xor_b32 exec_lo, exec_lo, s73
	s_cbranch_execnz .LBB4_9388
.LBB4_9265:                             ;   in Loop: Header=BB4_8749 Depth=3
	s_or_b32 exec_lo, exec_lo, s73
	v_lshl_or_b32 v17, v17, 16, v10
	s_and_saveexec_b32 s73, s17
	s_cbranch_execz .LBB4_9267
.LBB4_9266:                             ;   in Loop: Header=BB4_8749 Depth=3
	v_bfe_u32 v10, v17, 16, 2
	v_bfe_u32 v37, v17, 18, 5
	v_lshlrev_b32_e32 v50, 8, v17
	v_ffbh_u32_e32 v20, v10
	v_cmp_eq_u32_e32 vcc_lo, 0, v37
	v_min_u32_e32 v20, 32, v20
	v_subrev_nc_u32_e32 v36, 29, v20
	v_sub_nc_u32_e32 v20, 30, v20
	v_lshlrev_b32_sdwa v36, v36, v17 dst_sel:DWORD dst_unused:UNUSED_PAD src0_sel:DWORD src1_sel:WORD_1
	v_cndmask_b32_e32 v20, v37, v20, vcc_lo
	v_and_b32_e32 v36, 3, v36
	v_lshl_add_u32 v20, v20, 23, 0x37800000
	v_cndmask_b32_e32 v10, v10, v36, vcc_lo
	v_and_b32_e32 v36, 0x80000000, v50
	v_lshlrev_b32_e32 v10, 21, v10
	v_or3_b32 v20, v36, v20, v10
.LBB4_9267:                             ;   in Loop: Header=BB4_8749 Depth=3
	s_or_b32 exec_lo, exec_lo, s73
	v_and_b32_sdwa v36, v11, v112 dst_sel:DWORD dst_unused:UNUSED_PAD src0_sel:WORD_1 src1_sel:DWORD
	s_mov_b32 s17, 0
	s_mov_b32 s73, exec_lo
	v_cmpx_lt_i16_e32 0x7f, v36
	s_xor_b32 s73, exec_lo, s73
	s_cbranch_execz .LBB4_9389
; %bb.9268:                             ;   in Loop: Header=BB4_8749 Depth=3
	s_mov_b32 s17, -1
	s_mov_b32 s74, exec_lo
	v_cmpx_eq_u16_e32 0x80, v36
; %bb.9269:                             ;   in Loop: Header=BB4_8749 Depth=3
	s_xor_b32 s17, exec_lo, -1
; %bb.9270:                             ;   in Loop: Header=BB4_8749 Depth=3
	s_or_b32 exec_lo, exec_lo, s74
	s_and_b32 s17, s17, exec_lo
                                        ; implicit-def: $vgpr36
	s_or_saveexec_b32 s73, s73
	v_mov_b32_e32 v10, 0x7f800001
	s_xor_b32 exec_lo, exec_lo, s73
	s_cbranch_execnz .LBB4_9390
.LBB4_9271:                             ;   in Loop: Header=BB4_8749 Depth=3
	s_or_b32 exec_lo, exec_lo, s73
	s_and_saveexec_b32 s73, s17
	s_cbranch_execz .LBB4_9273
.LBB4_9272:                             ;   in Loop: Header=BB4_8749 Depth=3
	v_and_b32_sdwa v10, v11, v114 dst_sel:DWORD dst_unused:UNUSED_PAD src0_sel:WORD_1 src1_sel:DWORD
	v_bfe_u32 v50, v11, 18, 5
	v_lshlrev_b32_sdwa v51, v103, v11 dst_sel:DWORD dst_unused:UNUSED_PAD src0_sel:DWORD src1_sel:WORD_1
	v_ffbh_u32_e32 v36, v10
	v_cmp_eq_u32_e32 vcc_lo, 0, v50
	v_min_u32_e32 v36, 32, v36
	v_subrev_nc_u32_e32 v37, 29, v36
	v_sub_nc_u32_e32 v36, 30, v36
	v_lshlrev_b32_sdwa v37, v37, v11 dst_sel:DWORD dst_unused:UNUSED_PAD src0_sel:DWORD src1_sel:WORD_1
	v_cndmask_b32_e32 v36, v50, v36, vcc_lo
	v_and_b32_e32 v37, 3, v37
	v_lshl_add_u32 v36, v36, 23, 0x37800000
	v_cndmask_b32_e32 v10, v10, v37, vcc_lo
	v_and_b32_e32 v37, 0x80000000, v51
	v_lshlrev_b32_e32 v10, 21, v10
	v_or3_b32 v10, v37, v36, v10
.LBB4_9273:                             ;   in Loop: Header=BB4_8749 Depth=3
	s_or_b32 exec_lo, exec_lo, s73
	v_add_f32_e32 v20, v20, v10
	v_and_b32_e32 v10, 0x7f800000, v20
	v_cmp_ne_u32_e32 vcc_lo, 0x7f800000, v10
	v_mov_b32_e32 v10, 0x80
	s_and_saveexec_b32 s73, vcc_lo
	s_cbranch_execz .LBB4_9281
; %bb.9274:                             ;   in Loop: Header=BB4_8749 Depth=3
	v_mov_b32_e32 v10, 0
	s_mov_b32 s74, exec_lo
	v_cmpx_ne_u32_e32 0, v20
	s_cbranch_execz .LBB4_9280
; %bb.9275:                             ;   in Loop: Header=BB4_8749 Depth=3
	v_bfe_u32 v10, v20, 23, 8
	v_and_b32_e32 v36, 0x7fffff, v20
	v_sub_nc_u32_e32 v37, 0x70, v10
	v_cmp_gt_u32_e32 vcc_lo, 0x71, v10
	v_or_b32_e32 v50, 0x800000, v36
	v_cndmask_b32_e32 v37, 0, v37, vcc_lo
	v_cmp_eq_u32_e32 vcc_lo, 0, v10
	v_add_nc_u32_e32 v10, 0xffffff91, v10
	v_cndmask_b32_e64 v37, v37, 0x6f, vcc_lo
	v_cndmask_b32_e32 v36, v50, v36, vcc_lo
	v_cndmask_b32_e64 v10, v10, 0xffffff92, vcc_lo
	v_lshl_add_u32 v50, 0x200000, v37, -1
	v_lshrrev_b32_e32 v51, v37, v36
	v_lshlrev_b32_e64 v96, v37, 0x100000
	v_add_nc_u32_e32 v37, v37, v10
	v_and_b32_e32 v36, v50, v36
	v_bfe_u32 v82, v51, 21, 1
	v_cmp_eq_u32_e64 s17, v36, v96
	v_add_nc_u32_e32 v50, -1, v82
	v_cndmask_b32_e64 v36, 0, v50, s17
	v_lshrrev_b32_e32 v50, 23, v51
	s_mov_b32 s17, exec_lo
	v_add_nc_u32_e32 v36, v36, v51
	v_xor_b32_e32 v50, 1, v50
	v_and_b32_e32 v10, 0x1fffff, v36
	v_add_nc_u32_e32 v36, v10, v51
                                        ; implicit-def: $vgpr10
	v_cmpx_ne_u32_e64 v37, v50
	s_xor_b32 s17, exec_lo, s17
; %bb.9276:                             ;   in Loop: Header=BB4_8749 Depth=3
	v_cmp_lt_u32_e32 vcc_lo, 0xffffff, v36
	v_sub_nc_u32_e32 v10, v37, v50
	v_cndmask_b32_e64 v37, 0, 1, vcc_lo
	v_add_co_ci_u32_e64 v10, null, 0, v10, vcc_lo
	v_lshrrev_b32_e32 v36, v37, v36
; %bb.9277:                             ;   in Loop: Header=BB4_8749 Depth=3
	s_andn2_saveexec_b32 s17, s17
; %bb.9278:                             ;   in Loop: Header=BB4_8749 Depth=3
	v_bfe_u32 v10, v36, 23, 1
; %bb.9279:                             ;   in Loop: Header=BB4_8749 Depth=3
	s_or_b32 exec_lo, exec_lo, s17
	v_lshrrev_b32_e32 v36, 21, v36
	v_min_i32_e32 v37, 31, v10
	v_cmp_gt_i32_e32 vcc_lo, 32, v10
	v_and_b32_sdwa v20, v20, v101 dst_sel:DWORD dst_unused:UNUSED_PAD src0_sel:BYTE_3 src1_sel:DWORD
	v_lshlrev_b32_e32 v37, 2, v37
	v_cndmask_b32_e32 v36, 3, v36, vcc_lo
	v_and_b32_e32 v37, 0xfc, v37
	v_and_b32_e32 v50, 3, v36
	v_or_b32_e32 v10, v10, v36
	v_or3_b32 v20, v37, v20, v50
	v_cmp_ne_u32_e32 vcc_lo, 0, v10
	v_cndmask_b32_e32 v10, 0, v20, vcc_lo
.LBB4_9280:                             ;   in Loop: Header=BB4_8749 Depth=3
	s_or_b32 exec_lo, exec_lo, s74
.LBB4_9281:                             ;   in Loop: Header=BB4_8749 Depth=3
	s_or_b32 exec_lo, exec_lo, s73
	v_cmp_gt_i16_sdwa s73, v17, v100 src0_sel:BYTE_3 src1_sel:DWORD
	s_mov_b32 s17, 0
	s_and_saveexec_b32 s74, s73
	s_xor_b32 s73, exec_lo, s74
	s_cbranch_execz .LBB4_9391
; %bb.9282:                             ;   in Loop: Header=BB4_8749 Depth=3
	v_cmp_eq_u16_sdwa s75, v17, v101 src0_sel:BYTE_3 src1_sel:DWORD
	s_mov_b32 s17, -1
	s_and_saveexec_b32 s74, s75
; %bb.9283:                             ;   in Loop: Header=BB4_8749 Depth=3
	s_xor_b32 s17, exec_lo, -1
; %bb.9284:                             ;   in Loop: Header=BB4_8749 Depth=3
	s_or_b32 exec_lo, exec_lo, s74
	s_and_b32 s17, s17, exec_lo
	s_or_saveexec_b32 s73, s73
	v_mov_b32_e32 v20, 0x7f800001
	s_xor_b32 exec_lo, exec_lo, s73
	s_cbranch_execnz .LBB4_9392
.LBB4_9285:                             ;   in Loop: Header=BB4_8749 Depth=3
	s_or_b32 exec_lo, exec_lo, s73
	s_and_saveexec_b32 s73, s17
	s_cbranch_execz .LBB4_9287
.LBB4_9286:                             ;   in Loop: Header=BB4_8749 Depth=3
	v_bfe_u32 v20, v17, 24, 2
	v_bfe_u32 v50, v17, 26, 5
	v_ffbh_u32_e32 v36, v20
	v_cmp_eq_u32_e32 vcc_lo, 0, v50
	v_min_u32_e32 v36, 32, v36
	v_subrev_nc_u32_e32 v37, 29, v36
	v_sub_nc_u32_e32 v36, 30, v36
	v_lshlrev_b32_sdwa v37, v37, v17 dst_sel:DWORD dst_unused:UNUSED_PAD src0_sel:DWORD src1_sel:BYTE_3
	v_cndmask_b32_e32 v36, v50, v36, vcc_lo
	v_and_b32_e32 v17, 0x80000000, v17
	v_and_b32_e32 v37, 3, v37
	v_lshl_add_u32 v36, v36, 23, 0x37800000
	v_cndmask_b32_e32 v20, v20, v37, vcc_lo
	v_lshlrev_b32_e32 v20, 21, v20
	v_or3_b32 v20, v17, v36, v20
.LBB4_9287:                             ;   in Loop: Header=BB4_8749 Depth=3
	s_or_b32 exec_lo, exec_lo, s73
	v_cmp_gt_i16_sdwa s73, v11, v100 src0_sel:BYTE_3 src1_sel:DWORD
	s_mov_b32 s17, 0
	s_and_saveexec_b32 s74, s73
	s_xor_b32 s73, exec_lo, s74
	s_cbranch_execz .LBB4_9393
; %bb.9288:                             ;   in Loop: Header=BB4_8749 Depth=3
	v_cmp_eq_u16_sdwa s75, v11, v101 src0_sel:BYTE_3 src1_sel:DWORD
	s_mov_b32 s17, -1
	s_and_saveexec_b32 s74, s75
; %bb.9289:                             ;   in Loop: Header=BB4_8749 Depth=3
	s_xor_b32 s17, exec_lo, -1
; %bb.9290:                             ;   in Loop: Header=BB4_8749 Depth=3
	s_or_b32 exec_lo, exec_lo, s74
	s_and_b32 s17, s17, exec_lo
	s_or_saveexec_b32 s73, s73
	v_mov_b32_e32 v17, 0x7f800001
	s_xor_b32 exec_lo, exec_lo, s73
	s_cbranch_execnz .LBB4_9394
.LBB4_9291:                             ;   in Loop: Header=BB4_8749 Depth=3
	s_or_b32 exec_lo, exec_lo, s73
	s_and_saveexec_b32 s73, s17
	s_cbranch_execz .LBB4_9293
.LBB4_9292:                             ;   in Loop: Header=BB4_8749 Depth=3
	v_and_b32_sdwa v17, v11, v114 dst_sel:DWORD dst_unused:UNUSED_PAD src0_sel:BYTE_3 src1_sel:DWORD
	v_bfe_u32 v50, v11, 26, 5
	v_ffbh_u32_e32 v36, v17
	v_cmp_eq_u32_e32 vcc_lo, 0, v50
	v_min_u32_e32 v36, 32, v36
	v_subrev_nc_u32_e32 v37, 29, v36
	v_sub_nc_u32_e32 v36, 30, v36
	v_lshlrev_b32_sdwa v37, v37, v11 dst_sel:DWORD dst_unused:UNUSED_PAD src0_sel:DWORD src1_sel:BYTE_3
	v_cndmask_b32_e32 v36, v50, v36, vcc_lo
	v_and_b32_e32 v11, 0x80000000, v11
	v_and_b32_e32 v37, 3, v37
	v_lshl_add_u32 v36, v36, 23, 0x37800000
	v_cndmask_b32_e32 v17, v17, v37, vcc_lo
	v_lshlrev_b32_e32 v17, 21, v17
	v_or3_b32 v17, v11, v36, v17
.LBB4_9293:                             ;   in Loop: Header=BB4_8749 Depth=3
	s_or_b32 exec_lo, exec_lo, s73
	v_add_f32_e32 v11, v20, v17
	v_and_b32_e32 v17, 0x7f800000, v11
	v_cmp_ne_u32_e32 vcc_lo, 0x7f800000, v17
	v_mov_b32_e32 v17, 0x8000
	s_and_saveexec_b32 s73, vcc_lo
	s_cbranch_execz .LBB4_8748
; %bb.9294:                             ;   in Loop: Header=BB4_8749 Depth=3
	v_mov_b32_e32 v17, 0
	s_mov_b32 s74, exec_lo
	v_cmpx_ne_u32_e32 0, v11
	s_cbranch_execz .LBB4_8747
; %bb.9295:                             ;   in Loop: Header=BB4_8749 Depth=3
	v_bfe_u32 v17, v11, 23, 8
	v_and_b32_e32 v20, 0x7fffff, v11
	v_sub_nc_u32_e32 v36, 0x70, v17
	v_cmp_gt_u32_e32 vcc_lo, 0x71, v17
	v_or_b32_e32 v37, 0x800000, v20
	v_cndmask_b32_e32 v36, 0, v36, vcc_lo
	v_cmp_eq_u32_e32 vcc_lo, 0, v17
	v_add_nc_u32_e32 v17, 0xffffff91, v17
	v_cndmask_b32_e64 v36, v36, 0x6f, vcc_lo
	v_cndmask_b32_e32 v20, v37, v20, vcc_lo
	v_cndmask_b32_e64 v17, v17, 0xffffff92, vcc_lo
	v_lshl_add_u32 v37, 0x200000, v36, -1
	v_lshrrev_b32_e32 v50, v36, v20
	v_lshlrev_b32_e64 v82, v36, 0x100000
	v_add_nc_u32_e32 v36, v36, v17
	v_and_b32_e32 v20, v37, v20
	v_bfe_u32 v51, v50, 21, 1
	v_cmp_eq_u32_e64 s17, v20, v82
	v_add_nc_u32_e32 v37, -1, v51
	v_cndmask_b32_e64 v20, 0, v37, s17
	v_lshrrev_b32_e32 v37, 23, v50
	s_mov_b32 s17, exec_lo
	v_add_nc_u32_e32 v20, v20, v50
	v_xor_b32_e32 v37, 1, v37
	v_and_b32_e32 v17, 0x1fffff, v20
	v_add_nc_u32_e32 v20, v17, v50
                                        ; implicit-def: $vgpr17
	v_cmpx_ne_u32_e64 v36, v37
	s_xor_b32 s17, exec_lo, s17
; %bb.9296:                             ;   in Loop: Header=BB4_8749 Depth=3
	v_cmp_lt_u32_e32 vcc_lo, 0xffffff, v20
	v_sub_nc_u32_e32 v17, v36, v37
	v_cndmask_b32_e64 v36, 0, 1, vcc_lo
	v_add_co_ci_u32_e64 v17, null, 0, v17, vcc_lo
	v_lshrrev_b32_e32 v20, v36, v20
; %bb.9297:                             ;   in Loop: Header=BB4_8749 Depth=3
	s_andn2_saveexec_b32 s17, s17
	s_cbranch_execz .LBB4_8746
; %bb.9298:                             ;   in Loop: Header=BB4_8749 Depth=3
	v_bfe_u32 v17, v20, 23, 1
	s_branch .LBB4_8746
.LBB4_9299:                             ;   in Loop: Header=BB4_8749 Depth=3
	s_or_saveexec_b32 s74, s74
	v_mov_b32_e32 v1, 0x7f800001
	s_xor_b32 exec_lo, exec_lo, s74
	s_cbranch_execz .LBB4_8761
.LBB4_9300:                             ;   in Loop: Header=BB4_8749 Depth=3
	v_cmp_ne_u16_sdwa s75, v8, v2 src0_sel:BYTE_0 src1_sel:DWORD
	v_mov_b32_e32 v1, 0
	s_andn2_b32 s17, s17, exec_lo
	s_and_b32 s75, s75, exec_lo
	s_or_b32 s17, s17, s75
	s_or_b32 exec_lo, exec_lo, s74
	s_and_saveexec_b32 s74, s17
	s_cbranch_execnz .LBB4_8762
	s_branch .LBB4_8763
.LBB4_9301:                             ;   in Loop: Header=BB4_8749 Depth=3
	s_or_saveexec_b32 s74, s74
	v_mov_b32_e32 v1, 0x7f800001
	s_xor_b32 exec_lo, exec_lo, s74
	s_cbranch_execz .LBB4_8775
.LBB4_9302:                             ;   in Loop: Header=BB4_8749 Depth=3
	v_cmp_ne_u16_sdwa s75, v8, v2 src0_sel:BYTE_1 src1_sel:DWORD
	v_mov_b32_e32 v1, 0
	s_andn2_b32 s17, s17, exec_lo
	s_and_b32 s75, s75, exec_lo
	s_or_b32 s17, s17, s75
	s_or_b32 exec_lo, exec_lo, s74
	s_and_saveexec_b32 s74, s17
	s_cbranch_execnz .LBB4_8776
	s_branch .LBB4_8777
.LBB4_9303:                             ;   in Loop: Header=BB4_8749 Depth=3
	s_or_saveexec_b32 s74, s74
	v_mov_b32_e32 v1, 0x7f800001
	s_xor_b32 exec_lo, exec_lo, s74
	s_cbranch_execz .LBB4_8789
.LBB4_9304:                             ;   in Loop: Header=BB4_8749 Depth=3
	v_cmp_ne_u16_e32 vcc_lo, 0, v4
	v_mov_b32_e32 v1, 0
	s_andn2_b32 s17, s17, exec_lo
	s_and_b32 s75, vcc_lo, exec_lo
	s_or_b32 s17, s17, s75
	s_or_b32 exec_lo, exec_lo, s74
	s_and_saveexec_b32 s74, s17
	s_cbranch_execnz .LBB4_8790
	s_branch .LBB4_8791
.LBB4_9305:                             ;   in Loop: Header=BB4_8749 Depth=3
	s_or_saveexec_b32 s74, s74
	v_mov_b32_e32 v1, 0x7f800001
	s_xor_b32 exec_lo, exec_lo, s74
	s_cbranch_execz .LBB4_8803
.LBB4_9306:                             ;   in Loop: Header=BB4_8749 Depth=3
	v_cmp_ne_u16_sdwa s75, v8, v2 src0_sel:BYTE_3 src1_sel:DWORD
	v_mov_b32_e32 v1, 0
	s_andn2_b32 s17, s17, exec_lo
	s_and_b32 s75, s75, exec_lo
	s_or_b32 s17, s17, s75
	s_or_b32 exec_lo, exec_lo, s74
	s_and_saveexec_b32 s74, s17
	s_cbranch_execnz .LBB4_8804
	s_branch .LBB4_8805
.LBB4_9307:                             ;   in Loop: Header=BB4_8749 Depth=3
	s_or_saveexec_b32 s74, s74
	v_mov_b32_e32 v1, 0x7f800001
	s_xor_b32 exec_lo, exec_lo, s74
	s_cbranch_execz .LBB4_8817
.LBB4_9308:                             ;   in Loop: Header=BB4_8749 Depth=3
	v_cmp_ne_u16_sdwa s75, v9, v2 src0_sel:BYTE_0 src1_sel:DWORD
	v_mov_b32_e32 v1, 0
	s_andn2_b32 s17, s17, exec_lo
	s_and_b32 s75, s75, exec_lo
	s_or_b32 s17, s17, s75
	s_or_b32 exec_lo, exec_lo, s74
	s_and_saveexec_b32 s74, s17
	s_cbranch_execnz .LBB4_8818
	s_branch .LBB4_8819
.LBB4_9309:                             ;   in Loop: Header=BB4_8749 Depth=3
	s_or_saveexec_b32 s74, s74
	v_mov_b32_e32 v1, 0x7f800001
	s_xor_b32 exec_lo, exec_lo, s74
	s_cbranch_execz .LBB4_8831
.LBB4_9310:                             ;   in Loop: Header=BB4_8749 Depth=3
	v_cmp_ne_u16_sdwa s75, v9, v2 src0_sel:BYTE_1 src1_sel:DWORD
	v_mov_b32_e32 v1, 0
	s_andn2_b32 s17, s17, exec_lo
	s_and_b32 s75, s75, exec_lo
	s_or_b32 s17, s17, s75
	s_or_b32 exec_lo, exec_lo, s74
	s_and_saveexec_b32 s74, s17
	s_cbranch_execnz .LBB4_8832
	s_branch .LBB4_8833
.LBB4_9311:                             ;   in Loop: Header=BB4_8749 Depth=3
	s_or_saveexec_b32 s74, s74
	v_mov_b32_e32 v1, 0x7f800001
	s_xor_b32 exec_lo, exec_lo, s74
	s_cbranch_execz .LBB4_8845
.LBB4_9312:                             ;   in Loop: Header=BB4_8749 Depth=3
	v_cmp_ne_u16_e32 vcc_lo, 0, v4
	v_mov_b32_e32 v1, 0
	s_andn2_b32 s17, s17, exec_lo
	s_and_b32 s75, vcc_lo, exec_lo
	s_or_b32 s17, s17, s75
	s_or_b32 exec_lo, exec_lo, s74
	s_and_saveexec_b32 s74, s17
	s_cbranch_execnz .LBB4_8846
	s_branch .LBB4_8847
.LBB4_9313:                             ;   in Loop: Header=BB4_8749 Depth=3
	s_or_saveexec_b32 s74, s74
	v_mov_b32_e32 v1, 0x7f800001
	s_xor_b32 exec_lo, exec_lo, s74
	s_cbranch_execz .LBB4_8859
.LBB4_9314:                             ;   in Loop: Header=BB4_8749 Depth=3
	v_cmp_ne_u16_sdwa s75, v9, v2 src0_sel:BYTE_3 src1_sel:DWORD
	v_mov_b32_e32 v1, 0
	s_andn2_b32 s17, s17, exec_lo
	s_and_b32 s75, s75, exec_lo
	s_or_b32 s17, s17, s75
	s_or_b32 exec_lo, exec_lo, s74
	s_and_saveexec_b32 s74, s17
	s_cbranch_execnz .LBB4_8860
	s_branch .LBB4_8861
.LBB4_9315:                             ;   in Loop: Header=BB4_8749 Depth=3
	s_or_saveexec_b32 s74, s74
	v_mov_b32_e32 v1, 0x7f800001
	s_xor_b32 exec_lo, exec_lo, s74
	s_cbranch_execz .LBB4_8873
.LBB4_9316:                             ;   in Loop: Header=BB4_8749 Depth=3
	v_cmp_ne_u16_sdwa s75, v10, v2 src0_sel:BYTE_0 src1_sel:DWORD
	v_mov_b32_e32 v1, 0
	s_andn2_b32 s17, s17, exec_lo
	s_and_b32 s75, s75, exec_lo
	s_or_b32 s17, s17, s75
	s_or_b32 exec_lo, exec_lo, s74
	s_and_saveexec_b32 s74, s17
	s_cbranch_execnz .LBB4_8874
	s_branch .LBB4_8875
.LBB4_9317:                             ;   in Loop: Header=BB4_8749 Depth=3
	s_or_saveexec_b32 s74, s74
	v_mov_b32_e32 v1, 0x7f800001
	s_xor_b32 exec_lo, exec_lo, s74
	s_cbranch_execz .LBB4_8887
.LBB4_9318:                             ;   in Loop: Header=BB4_8749 Depth=3
	v_cmp_ne_u16_sdwa s75, v10, v2 src0_sel:BYTE_1 src1_sel:DWORD
	v_mov_b32_e32 v1, 0
	s_andn2_b32 s17, s17, exec_lo
	s_and_b32 s75, s75, exec_lo
	s_or_b32 s17, s17, s75
	s_or_b32 exec_lo, exec_lo, s74
	s_and_saveexec_b32 s74, s17
	s_cbranch_execnz .LBB4_8888
	s_branch .LBB4_8889
.LBB4_9319:                             ;   in Loop: Header=BB4_8749 Depth=3
	s_or_saveexec_b32 s74, s74
	v_mov_b32_e32 v1, 0x7f800001
	s_xor_b32 exec_lo, exec_lo, s74
	s_cbranch_execz .LBB4_8901
.LBB4_9320:                             ;   in Loop: Header=BB4_8749 Depth=3
	v_cmp_ne_u16_e32 vcc_lo, 0, v4
	v_mov_b32_e32 v1, 0
	s_andn2_b32 s17, s17, exec_lo
	s_and_b32 s75, vcc_lo, exec_lo
	s_or_b32 s17, s17, s75
	s_or_b32 exec_lo, exec_lo, s74
	s_and_saveexec_b32 s74, s17
	s_cbranch_execnz .LBB4_8902
	s_branch .LBB4_8903
.LBB4_9321:                             ;   in Loop: Header=BB4_8749 Depth=3
	s_or_saveexec_b32 s74, s74
	v_mov_b32_e32 v1, 0x7f800001
	s_xor_b32 exec_lo, exec_lo, s74
	s_cbranch_execz .LBB4_8915
.LBB4_9322:                             ;   in Loop: Header=BB4_8749 Depth=3
	v_cmp_ne_u16_sdwa s75, v10, v2 src0_sel:BYTE_3 src1_sel:DWORD
	v_mov_b32_e32 v1, 0
	s_andn2_b32 s17, s17, exec_lo
	s_and_b32 s75, s75, exec_lo
	s_or_b32 s17, s17, s75
	s_or_b32 exec_lo, exec_lo, s74
	s_and_saveexec_b32 s74, s17
	s_cbranch_execnz .LBB4_8916
	s_branch .LBB4_8917
.LBB4_9323:                             ;   in Loop: Header=BB4_8749 Depth=3
	s_or_saveexec_b32 s74, s74
	v_mov_b32_e32 v1, 0x7f800001
	s_xor_b32 exec_lo, exec_lo, s74
	s_cbranch_execz .LBB4_8929
.LBB4_9324:                             ;   in Loop: Header=BB4_8749 Depth=3
	v_cmp_ne_u16_sdwa s75, v11, v2 src0_sel:BYTE_0 src1_sel:DWORD
	v_mov_b32_e32 v1, 0
	s_andn2_b32 s17, s17, exec_lo
	s_and_b32 s75, s75, exec_lo
	s_or_b32 s17, s17, s75
	s_or_b32 exec_lo, exec_lo, s74
	s_and_saveexec_b32 s74, s17
	s_cbranch_execnz .LBB4_8930
	s_branch .LBB4_8931
.LBB4_9325:                             ;   in Loop: Header=BB4_8749 Depth=3
	s_or_saveexec_b32 s74, s74
	v_mov_b32_e32 v1, 0x7f800001
	s_xor_b32 exec_lo, exec_lo, s74
	s_cbranch_execz .LBB4_8943
.LBB4_9326:                             ;   in Loop: Header=BB4_8749 Depth=3
	v_cmp_ne_u16_sdwa s75, v11, v2 src0_sel:BYTE_1 src1_sel:DWORD
	v_mov_b32_e32 v1, 0
	s_andn2_b32 s17, s17, exec_lo
	s_and_b32 s75, s75, exec_lo
	s_or_b32 s17, s17, s75
	s_or_b32 exec_lo, exec_lo, s74
	s_and_saveexec_b32 s74, s17
	s_cbranch_execnz .LBB4_8944
	s_branch .LBB4_8945
.LBB4_9327:                             ;   in Loop: Header=BB4_8749 Depth=3
	s_or_saveexec_b32 s74, s74
	v_mov_b32_e32 v1, 0x7f800001
	s_xor_b32 exec_lo, exec_lo, s74
	s_cbranch_execz .LBB4_8957
.LBB4_9328:                             ;   in Loop: Header=BB4_8749 Depth=3
	v_cmp_ne_u16_e32 vcc_lo, 0, v8
	v_mov_b32_e32 v1, 0
	s_andn2_b32 s17, s17, exec_lo
	s_and_b32 s75, vcc_lo, exec_lo
	s_or_b32 s17, s17, s75
	s_or_b32 exec_lo, exec_lo, s74
	s_and_saveexec_b32 s74, s17
	s_cbranch_execnz .LBB4_8958
	s_branch .LBB4_8959
.LBB4_9329:                             ;   in Loop: Header=BB4_8749 Depth=3
	s_or_saveexec_b32 s74, s74
	v_mov_b32_e32 v1, 0x7f800001
	s_xor_b32 exec_lo, exec_lo, s74
	s_cbranch_execz .LBB4_8971
.LBB4_9330:                             ;   in Loop: Header=BB4_8749 Depth=3
	v_cmp_ne_u16_sdwa s75, v11, v2 src0_sel:BYTE_3 src1_sel:DWORD
	v_mov_b32_e32 v1, 0
	s_andn2_b32 s17, s17, exec_lo
	s_and_b32 s75, s75, exec_lo
	s_or_b32 s17, s17, s75
	s_or_b32 exec_lo, exec_lo, s74
	s_and_saveexec_b32 s74, s17
	s_cbranch_execnz .LBB4_8972
	s_branch .LBB4_8973
.LBB4_9331:                             ;   in Loop: Header=BB4_8749 Depth=3
	s_or_saveexec_b32 s73, s73
	v_mov_b32_e32 v16, 0x7f800001
	s_xor_b32 exec_lo, exec_lo, s73
	s_cbranch_execz .LBB4_8985
.LBB4_9332:                             ;   in Loop: Header=BB4_8749 Depth=3
	v_cmp_ne_u16_sdwa s74, v1, v2 src0_sel:BYTE_0 src1_sel:DWORD
	v_mov_b32_e32 v16, 0
	s_andn2_b32 s17, s17, exec_lo
	s_and_b32 s74, s74, exec_lo
	s_or_b32 s17, s17, s74
	s_or_b32 exec_lo, exec_lo, s73
	s_and_saveexec_b32 s73, s17
	s_cbranch_execnz .LBB4_8986
	s_branch .LBB4_8987
.LBB4_9333:                             ;   in Loop: Header=BB4_8749 Depth=3
	s_or_saveexec_b32 s73, s73
	v_mov_b32_e32 v19, 0x7f800001
	s_xor_b32 exec_lo, exec_lo, s73
	s_cbranch_execz .LBB4_8991
.LBB4_9334:                             ;   in Loop: Header=BB4_8749 Depth=3
	v_cmp_ne_u16_sdwa s74, v8, v2 src0_sel:BYTE_0 src1_sel:DWORD
	v_mov_b32_e32 v19, 0
	s_andn2_b32 s17, s17, exec_lo
	s_and_b32 s74, s74, exec_lo
	s_or_b32 s17, s17, s74
	s_or_b32 exec_lo, exec_lo, s73
	s_and_saveexec_b32 s73, s17
	s_cbranch_execnz .LBB4_8992
	s_branch .LBB4_8993
.LBB4_9335:                             ;   in Loop: Header=BB4_8749 Depth=3
	s_or_saveexec_b32 s73, s73
	v_mov_b32_e32 v19, 0x7f800001
	s_xor_b32 exec_lo, exec_lo, s73
	s_cbranch_execz .LBB4_9005
.LBB4_9336:                             ;   in Loop: Header=BB4_8749 Depth=3
	v_cmp_ne_u16_sdwa s74, v1, v2 src0_sel:BYTE_1 src1_sel:DWORD
	v_mov_b32_e32 v19, 0
	s_andn2_b32 s17, s17, exec_lo
	s_and_b32 s74, s74, exec_lo
	s_or_b32 s17, s17, s74
	s_or_b32 exec_lo, exec_lo, s73
	s_and_saveexec_b32 s73, s17
	s_cbranch_execnz .LBB4_9006
	s_branch .LBB4_9007
.LBB4_9337:                             ;   in Loop: Header=BB4_8749 Depth=3
	s_or_saveexec_b32 s73, s73
	v_mov_b32_e32 v31, 0x7f800001
	s_xor_b32 exec_lo, exec_lo, s73
	s_cbranch_execz .LBB4_9011
.LBB4_9338:                             ;   in Loop: Header=BB4_8749 Depth=3
	v_cmp_ne_u16_sdwa s74, v8, v2 src0_sel:BYTE_1 src1_sel:DWORD
	v_mov_b32_e32 v31, 0
	s_andn2_b32 s17, s17, exec_lo
	s_and_b32 s74, s74, exec_lo
	s_or_b32 s17, s17, s74
	s_or_b32 exec_lo, exec_lo, s73
	s_and_saveexec_b32 s73, s17
	s_cbranch_execnz .LBB4_9012
	s_branch .LBB4_9013
.LBB4_9339:                             ;   in Loop: Header=BB4_8749 Depth=3
	s_or_saveexec_b32 s73, s73
	v_mov_b32_e32 v30, 0x7f800001
	s_xor_b32 exec_lo, exec_lo, s73
	s_cbranch_execz .LBB4_9025
.LBB4_9340:                             ;   in Loop: Header=BB4_8749 Depth=3
	v_cmp_ne_u16_sdwa s74, v31, v2 src0_sel:BYTE_0 src1_sel:DWORD
	v_mov_b32_e32 v30, 0
	s_andn2_b32 s17, s17, exec_lo
	s_and_b32 s74, s74, exec_lo
	s_or_b32 s17, s17, s74
	s_or_b32 exec_lo, exec_lo, s73
	v_lshl_or_b32 v1, v31, 16, v1
	s_and_saveexec_b32 s73, s17
	s_cbranch_execnz .LBB4_9026
	s_branch .LBB4_9027
.LBB4_9341:                             ;   in Loop: Header=BB4_8749 Depth=3
	s_or_saveexec_b32 s73, s73
	v_mov_b32_e32 v31, 0x7f800001
	s_xor_b32 exec_lo, exec_lo, s73
	s_cbranch_execz .LBB4_9031
.LBB4_9342:                             ;   in Loop: Header=BB4_8749 Depth=3
	v_cmp_ne_u16_e32 vcc_lo, 0, v34
	v_mov_b32_e32 v31, 0
	s_andn2_b32 s17, s17, exec_lo
	s_and_b32 s74, vcc_lo, exec_lo
	s_or_b32 s17, s17, s74
	s_or_b32 exec_lo, exec_lo, s73
	s_and_saveexec_b32 s73, s17
	s_cbranch_execnz .LBB4_9032
	s_branch .LBB4_9033
.LBB4_9343:                             ;   in Loop: Header=BB4_8749 Depth=3
	s_or_saveexec_b32 s73, s73
	v_mov_b32_e32 v31, 0x7f800001
	s_xor_b32 exec_lo, exec_lo, s73
	s_cbranch_execz .LBB4_9045
.LBB4_9344:                             ;   in Loop: Header=BB4_8749 Depth=3
	v_cmp_ne_u16_sdwa s74, v1, v2 src0_sel:BYTE_3 src1_sel:DWORD
	v_mov_b32_e32 v31, 0
	s_andn2_b32 s17, s17, exec_lo
	s_and_b32 s74, s74, exec_lo
	s_or_b32 s17, s17, s74
	s_or_b32 exec_lo, exec_lo, s73
	s_and_saveexec_b32 s73, s17
	s_cbranch_execnz .LBB4_9046
	s_branch .LBB4_9047
.LBB4_9345:                             ;   in Loop: Header=BB4_8749 Depth=3
	s_or_saveexec_b32 s73, s73
	v_mov_b32_e32 v1, 0x7f800001
	s_xor_b32 exec_lo, exec_lo, s73
	s_cbranch_execz .LBB4_9051
.LBB4_9346:                             ;   in Loop: Header=BB4_8749 Depth=3
	v_cmp_ne_u16_sdwa s74, v8, v2 src0_sel:BYTE_3 src1_sel:DWORD
	v_mov_b32_e32 v1, 0
	s_andn2_b32 s17, s17, exec_lo
	s_and_b32 s74, s74, exec_lo
	s_or_b32 s17, s17, s74
	s_or_b32 exec_lo, exec_lo, s73
	s_and_saveexec_b32 s73, s17
	s_cbranch_execnz .LBB4_9052
	s_branch .LBB4_9053
.LBB4_9347:                             ;   in Loop: Header=BB4_8749 Depth=3
	s_or_saveexec_b32 s73, s73
	v_mov_b32_e32 v31, 0x7f800001
	s_xor_b32 exec_lo, exec_lo, s73
	s_cbranch_execz .LBB4_9065
.LBB4_9348:                             ;   in Loop: Header=BB4_8749 Depth=3
	v_cmp_ne_u16_sdwa s74, v1, v2 src0_sel:BYTE_0 src1_sel:DWORD
	v_mov_b32_e32 v31, 0
	s_andn2_b32 s17, s17, exec_lo
	s_and_b32 s74, s74, exec_lo
	s_or_b32 s17, s17, s74
	s_or_b32 exec_lo, exec_lo, s73
	s_and_saveexec_b32 s73, s17
	s_cbranch_execnz .LBB4_9066
	s_branch .LBB4_9067
.LBB4_9349:                             ;   in Loop: Header=BB4_8749 Depth=3
	s_or_saveexec_b32 s73, s73
	v_mov_b32_e32 v34, 0x7f800001
	s_xor_b32 exec_lo, exec_lo, s73
	s_cbranch_execz .LBB4_9071
.LBB4_9350:                             ;   in Loop: Header=BB4_8749 Depth=3
	v_cmp_ne_u16_sdwa s74, v9, v2 src0_sel:BYTE_0 src1_sel:DWORD
	v_mov_b32_e32 v34, 0
	s_andn2_b32 s17, s17, exec_lo
	s_and_b32 s74, s74, exec_lo
	s_or_b32 s17, s17, s74
	s_or_b32 exec_lo, exec_lo, s73
	s_and_saveexec_b32 s73, s17
	s_cbranch_execnz .LBB4_9072
	s_branch .LBB4_9073
.LBB4_9351:                             ;   in Loop: Header=BB4_8749 Depth=3
	s_or_saveexec_b32 s73, s73
	v_mov_b32_e32 v31, 0x7f800001
	s_xor_b32 exec_lo, exec_lo, s73
	s_cbranch_execz .LBB4_9085
.LBB4_9352:                             ;   in Loop: Header=BB4_8749 Depth=3
	v_cmp_ne_u16_sdwa s74, v1, v2 src0_sel:BYTE_1 src1_sel:DWORD
	v_mov_b32_e32 v31, 0
	s_andn2_b32 s17, s17, exec_lo
	s_and_b32 s74, s74, exec_lo
	s_or_b32 s17, s17, s74
	s_or_b32 exec_lo, exec_lo, s73
	s_and_saveexec_b32 s73, s17
	s_cbranch_execnz .LBB4_9086
	s_branch .LBB4_9087
.LBB4_9353:                             ;   in Loop: Header=BB4_8749 Depth=3
	s_or_saveexec_b32 s73, s73
	v_mov_b32_e32 v34, 0x7f800001
	s_xor_b32 exec_lo, exec_lo, s73
	s_cbranch_execz .LBB4_9091
.LBB4_9354:                             ;   in Loop: Header=BB4_8749 Depth=3
	v_cmp_ne_u16_sdwa s74, v9, v2 src0_sel:BYTE_1 src1_sel:DWORD
	v_mov_b32_e32 v34, 0
	s_andn2_b32 s17, s17, exec_lo
	s_and_b32 s74, s74, exec_lo
	s_or_b32 s17, s17, s74
	s_or_b32 exec_lo, exec_lo, s73
	s_and_saveexec_b32 s73, s17
	s_cbranch_execnz .LBB4_9092
	s_branch .LBB4_9093
.LBB4_9355:                             ;   in Loop: Header=BB4_8749 Depth=3
	s_or_saveexec_b32 s73, s73
	v_mov_b32_e32 v31, 0x7f800001
	s_xor_b32 exec_lo, exec_lo, s73
	s_cbranch_execz .LBB4_9105
.LBB4_9356:                             ;   in Loop: Header=BB4_8749 Depth=3
	v_cmp_ne_u16_sdwa s74, v35, v2 src0_sel:BYTE_0 src1_sel:DWORD
	v_mov_b32_e32 v31, 0
	s_andn2_b32 s17, s17, exec_lo
	s_and_b32 s74, s74, exec_lo
	s_or_b32 s17, s17, s74
	s_or_b32 exec_lo, exec_lo, s73
	v_lshl_or_b32 v1, v35, 16, v1
	s_and_saveexec_b32 s73, s17
	s_cbranch_execnz .LBB4_9106
	s_branch .LBB4_9107
.LBB4_9357:                             ;   in Loop: Header=BB4_8749 Depth=3
	s_or_saveexec_b32 s73, s73
	v_mov_b32_e32 v35, 0x7f800001
	s_xor_b32 exec_lo, exec_lo, s73
	s_cbranch_execz .LBB4_9111
.LBB4_9358:                             ;   in Loop: Header=BB4_8749 Depth=3
	v_cmp_ne_u16_e32 vcc_lo, 0, v37
	v_mov_b32_e32 v35, 0
	s_andn2_b32 s17, s17, exec_lo
	s_and_b32 s74, vcc_lo, exec_lo
	s_or_b32 s17, s17, s74
	s_or_b32 exec_lo, exec_lo, s73
	s_and_saveexec_b32 s73, s17
	s_cbranch_execnz .LBB4_9112
	s_branch .LBB4_9113
.LBB4_9359:                             ;   in Loop: Header=BB4_8749 Depth=3
	s_or_saveexec_b32 s73, s73
	v_mov_b32_e32 v31, 0x7f800001
	s_xor_b32 exec_lo, exec_lo, s73
	s_cbranch_execz .LBB4_9125
.LBB4_9360:                             ;   in Loop: Header=BB4_8749 Depth=3
	v_cmp_ne_u16_sdwa s74, v1, v2 src0_sel:BYTE_3 src1_sel:DWORD
	v_mov_b32_e32 v31, 0
	s_andn2_b32 s17, s17, exec_lo
	s_and_b32 s74, s74, exec_lo
	s_or_b32 s17, s17, s74
	s_or_b32 exec_lo, exec_lo, s73
	s_and_saveexec_b32 s73, s17
	s_cbranch_execnz .LBB4_9126
	s_branch .LBB4_9127
.LBB4_9361:                             ;   in Loop: Header=BB4_8749 Depth=3
	s_or_saveexec_b32 s73, s73
	v_mov_b32_e32 v1, 0x7f800001
	s_xor_b32 exec_lo, exec_lo, s73
	s_cbranch_execz .LBB4_9131
.LBB4_9362:                             ;   in Loop: Header=BB4_8749 Depth=3
	v_cmp_ne_u16_sdwa s74, v9, v2 src0_sel:BYTE_3 src1_sel:DWORD
	v_mov_b32_e32 v1, 0
	s_andn2_b32 s17, s17, exec_lo
	s_and_b32 s74, s74, exec_lo
	s_or_b32 s17, s17, s74
	s_or_b32 exec_lo, exec_lo, s73
	s_and_saveexec_b32 s73, s17
	s_cbranch_execnz .LBB4_9132
	s_branch .LBB4_9133
.LBB4_9363:                             ;   in Loop: Header=BB4_8749 Depth=3
	s_or_saveexec_b32 s73, s73
	v_mov_b32_e32 v21, 0x7f800001
	s_xor_b32 exec_lo, exec_lo, s73
	s_cbranch_execz .LBB4_9145
.LBB4_9364:                             ;   in Loop: Header=BB4_8749 Depth=3
	v_cmp_ne_u16_sdwa s74, v1, v2 src0_sel:BYTE_0 src1_sel:DWORD
	v_mov_b32_e32 v21, 0
	s_andn2_b32 s17, s17, exec_lo
	s_and_b32 s74, s74, exec_lo
	s_or_b32 s17, s17, s74
	s_or_b32 exec_lo, exec_lo, s73
	s_and_saveexec_b32 s73, s17
	s_cbranch_execnz .LBB4_9146
	s_branch .LBB4_9147
.LBB4_9365:                             ;   in Loop: Header=BB4_8749 Depth=3
	s_or_saveexec_b32 s73, s73
	v_mov_b32_e32 v31, 0x7f800001
	s_xor_b32 exec_lo, exec_lo, s73
	s_cbranch_execz .LBB4_9151
.LBB4_9366:                             ;   in Loop: Header=BB4_8749 Depth=3
	v_cmp_ne_u16_sdwa s74, v10, v2 src0_sel:BYTE_0 src1_sel:DWORD
	v_mov_b32_e32 v31, 0
	s_andn2_b32 s17, s17, exec_lo
	s_and_b32 s74, s74, exec_lo
	s_or_b32 s17, s17, s74
	s_or_b32 exec_lo, exec_lo, s73
	s_and_saveexec_b32 s73, s17
	s_cbranch_execnz .LBB4_9152
	s_branch .LBB4_9153
.LBB4_9367:                             ;   in Loop: Header=BB4_8749 Depth=3
	s_or_saveexec_b32 s73, s73
	v_mov_b32_e32 v31, 0x7f800001
	s_xor_b32 exec_lo, exec_lo, s73
	s_cbranch_execz .LBB4_9165
.LBB4_9368:                             ;   in Loop: Header=BB4_8749 Depth=3
	v_cmp_ne_u16_sdwa s74, v1, v2 src0_sel:BYTE_1 src1_sel:DWORD
	v_mov_b32_e32 v31, 0
	s_andn2_b32 s17, s17, exec_lo
	s_and_b32 s74, s74, exec_lo
	s_or_b32 s17, s17, s74
	s_or_b32 exec_lo, exec_lo, s73
	s_and_saveexec_b32 s73, s17
	s_cbranch_execnz .LBB4_9166
	s_branch .LBB4_9167
.LBB4_9369:                             ;   in Loop: Header=BB4_8749 Depth=3
	s_or_saveexec_b32 s73, s73
	v_mov_b32_e32 v37, 0x7f800001
	s_xor_b32 exec_lo, exec_lo, s73
	s_cbranch_execz .LBB4_9171
.LBB4_9370:                             ;   in Loop: Header=BB4_8749 Depth=3
	v_cmp_ne_u16_sdwa s74, v10, v2 src0_sel:BYTE_1 src1_sel:DWORD
	v_mov_b32_e32 v37, 0
	s_andn2_b32 s17, s17, exec_lo
	s_and_b32 s74, s74, exec_lo
	s_or_b32 s17, s17, s74
	s_or_b32 exec_lo, exec_lo, s73
	s_and_saveexec_b32 s73, s17
	s_cbranch_execnz .LBB4_9172
	s_branch .LBB4_9173
.LBB4_9371:                             ;   in Loop: Header=BB4_8749 Depth=3
	s_or_saveexec_b32 s73, s73
	v_mov_b32_e32 v36, 0x7f800001
	s_xor_b32 exec_lo, exec_lo, s73
	s_cbranch_execz .LBB4_9185
.LBB4_9372:                             ;   in Loop: Header=BB4_8749 Depth=3
	v_cmp_ne_u16_sdwa s74, v4, v2 src0_sel:BYTE_0 src1_sel:DWORD
	v_mov_b32_e32 v36, 0
	s_andn2_b32 s17, s17, exec_lo
	s_and_b32 s74, s74, exec_lo
	s_or_b32 s17, s17, s74
	s_or_b32 exec_lo, exec_lo, s73
	v_lshl_or_b32 v4, v4, 16, v1
	s_and_saveexec_b32 s73, s17
	s_cbranch_execnz .LBB4_9186
	s_branch .LBB4_9187
.LBB4_9373:                             ;   in Loop: Header=BB4_8749 Depth=3
	s_or_saveexec_b32 s73, s73
	v_mov_b32_e32 v1, 0x7f800001
	s_xor_b32 exec_lo, exec_lo, s73
	s_cbranch_execz .LBB4_9191
.LBB4_9374:                             ;   in Loop: Header=BB4_8749 Depth=3
	v_cmp_ne_u16_e32 vcc_lo, 0, v37
	v_mov_b32_e32 v1, 0
	s_andn2_b32 s17, s17, exec_lo
	s_and_b32 s74, vcc_lo, exec_lo
	s_or_b32 s17, s17, s74
	s_or_b32 exec_lo, exec_lo, s73
	s_and_saveexec_b32 s73, s17
	s_cbranch_execnz .LBB4_9192
	s_branch .LBB4_9193
.LBB4_9375:                             ;   in Loop: Header=BB4_8749 Depth=3
	s_or_saveexec_b32 s73, s73
	v_mov_b32_e32 v36, 0x7f800001
	s_xor_b32 exec_lo, exec_lo, s73
	s_cbranch_execz .LBB4_9205
.LBB4_9376:                             ;   in Loop: Header=BB4_8749 Depth=3
	v_cmp_ne_u16_sdwa s74, v4, v2 src0_sel:BYTE_3 src1_sel:DWORD
	v_mov_b32_e32 v36, 0
	s_andn2_b32 s17, s17, exec_lo
	s_and_b32 s74, s74, exec_lo
	s_or_b32 s17, s17, s74
	s_or_b32 exec_lo, exec_lo, s73
	s_and_saveexec_b32 s73, s17
	s_cbranch_execnz .LBB4_9206
	s_branch .LBB4_9207
.LBB4_9377:                             ;   in Loop: Header=BB4_8749 Depth=3
	s_or_saveexec_b32 s73, s73
	v_mov_b32_e32 v4, 0x7f800001
	s_xor_b32 exec_lo, exec_lo, s73
	s_cbranch_execz .LBB4_9211
.LBB4_9378:                             ;   in Loop: Header=BB4_8749 Depth=3
	v_cmp_ne_u16_sdwa s74, v10, v2 src0_sel:BYTE_3 src1_sel:DWORD
	v_mov_b32_e32 v4, 0
	s_andn2_b32 s17, s17, exec_lo
	s_and_b32 s74, s74, exec_lo
	s_or_b32 s17, s17, s74
	s_or_b32 exec_lo, exec_lo, s73
	s_and_saveexec_b32 s73, s17
	s_cbranch_execnz .LBB4_9212
	s_branch .LBB4_9213
.LBB4_9379:                             ;   in Loop: Header=BB4_8749 Depth=3
	s_or_saveexec_b32 s73, s73
	v_mov_b32_e32 v5, 0x7f800001
	s_xor_b32 exec_lo, exec_lo, s73
	s_cbranch_execz .LBB4_9225
.LBB4_9380:                             ;   in Loop: Header=BB4_8749 Depth=3
	v_cmp_ne_u16_sdwa s74, v10, v2 src0_sel:BYTE_0 src1_sel:DWORD
	v_mov_b32_e32 v5, 0
	s_andn2_b32 s17, s17, exec_lo
	s_and_b32 s74, s74, exec_lo
	s_or_b32 s17, s17, s74
	s_or_b32 exec_lo, exec_lo, s73
	s_and_saveexec_b32 s73, s17
	s_cbranch_execnz .LBB4_9226
	s_branch .LBB4_9227
.LBB4_9381:                             ;   in Loop: Header=BB4_8749 Depth=3
	s_or_saveexec_b32 s73, s73
	v_mov_b32_e32 v18, 0x7f800001
	s_xor_b32 exec_lo, exec_lo, s73
	s_cbranch_execz .LBB4_9231
.LBB4_9382:                             ;   in Loop: Header=BB4_8749 Depth=3
	v_cmp_ne_u16_sdwa s74, v11, v2 src0_sel:BYTE_0 src1_sel:DWORD
	v_mov_b32_e32 v18, 0
	s_andn2_b32 s17, s17, exec_lo
	s_and_b32 s74, s74, exec_lo
	s_or_b32 s17, s17, s74
	s_or_b32 exec_lo, exec_lo, s73
	s_and_saveexec_b32 s73, s17
	s_cbranch_execnz .LBB4_9232
	s_branch .LBB4_9233
.LBB4_9383:                             ;   in Loop: Header=BB4_8749 Depth=3
	s_or_saveexec_b32 s73, s73
	v_mov_b32_e32 v18, 0x7f800001
	s_xor_b32 exec_lo, exec_lo, s73
	s_cbranch_execz .LBB4_9245
.LBB4_9384:                             ;   in Loop: Header=BB4_8749 Depth=3
	v_cmp_ne_u16_sdwa s74, v10, v2 src0_sel:BYTE_1 src1_sel:DWORD
	v_mov_b32_e32 v18, 0
	s_andn2_b32 s17, s17, exec_lo
	s_and_b32 s74, s74, exec_lo
	s_or_b32 s17, s17, s74
	s_or_b32 exec_lo, exec_lo, s73
	s_and_saveexec_b32 s73, s17
	s_cbranch_execnz .LBB4_9246
	s_branch .LBB4_9247
.LBB4_9385:                             ;   in Loop: Header=BB4_8749 Depth=3
	s_or_saveexec_b32 s73, s73
	v_mov_b32_e32 v36, 0x7f800001
	s_xor_b32 exec_lo, exec_lo, s73
	s_cbranch_execz .LBB4_9251
.LBB4_9386:                             ;   in Loop: Header=BB4_8749 Depth=3
	v_cmp_ne_u16_sdwa s74, v11, v2 src0_sel:BYTE_1 src1_sel:DWORD
	v_mov_b32_e32 v36, 0
	s_andn2_b32 s17, s17, exec_lo
	s_and_b32 s74, s74, exec_lo
	s_or_b32 s17, s17, s74
	s_or_b32 exec_lo, exec_lo, s73
	s_and_saveexec_b32 s73, s17
	s_cbranch_execnz .LBB4_9252
	s_branch .LBB4_9253
.LBB4_9387:                             ;   in Loop: Header=BB4_8749 Depth=3
	s_or_saveexec_b32 s73, s73
	v_mov_b32_e32 v20, 0x7f800001
	s_xor_b32 exec_lo, exec_lo, s73
	s_cbranch_execz .LBB4_9265
.LBB4_9388:                             ;   in Loop: Header=BB4_8749 Depth=3
	v_cmp_ne_u16_sdwa s74, v17, v2 src0_sel:BYTE_0 src1_sel:DWORD
	v_mov_b32_e32 v20, 0
	s_andn2_b32 s17, s17, exec_lo
	s_and_b32 s74, s74, exec_lo
	s_or_b32 s17, s17, s74
	s_or_b32 exec_lo, exec_lo, s73
	v_lshl_or_b32 v17, v17, 16, v10
	s_and_saveexec_b32 s73, s17
	s_cbranch_execnz .LBB4_9266
	s_branch .LBB4_9267
.LBB4_9389:                             ;   in Loop: Header=BB4_8749 Depth=3
	s_or_saveexec_b32 s73, s73
	v_mov_b32_e32 v10, 0x7f800001
	s_xor_b32 exec_lo, exec_lo, s73
	s_cbranch_execz .LBB4_9271
.LBB4_9390:                             ;   in Loop: Header=BB4_8749 Depth=3
	v_cmp_ne_u16_e32 vcc_lo, 0, v36
	v_mov_b32_e32 v10, 0
	s_andn2_b32 s17, s17, exec_lo
	s_and_b32 s74, vcc_lo, exec_lo
	s_or_b32 s17, s17, s74
	s_or_b32 exec_lo, exec_lo, s73
	s_and_saveexec_b32 s73, s17
	s_cbranch_execnz .LBB4_9272
	s_branch .LBB4_9273
.LBB4_9391:                             ;   in Loop: Header=BB4_8749 Depth=3
	s_or_saveexec_b32 s73, s73
	v_mov_b32_e32 v20, 0x7f800001
	s_xor_b32 exec_lo, exec_lo, s73
	s_cbranch_execz .LBB4_9285
.LBB4_9392:                             ;   in Loop: Header=BB4_8749 Depth=3
	v_cmp_ne_u16_sdwa s74, v17, v2 src0_sel:BYTE_3 src1_sel:DWORD
	v_mov_b32_e32 v20, 0
	s_andn2_b32 s17, s17, exec_lo
	s_and_b32 s74, s74, exec_lo
	s_or_b32 s17, s17, s74
	s_or_b32 exec_lo, exec_lo, s73
	s_and_saveexec_b32 s73, s17
	s_cbranch_execnz .LBB4_9286
	s_branch .LBB4_9287
.LBB4_9393:                             ;   in Loop: Header=BB4_8749 Depth=3
	s_or_saveexec_b32 s73, s73
	v_mov_b32_e32 v17, 0x7f800001
	s_xor_b32 exec_lo, exec_lo, s73
	s_cbranch_execz .LBB4_9291
.LBB4_9394:                             ;   in Loop: Header=BB4_8749 Depth=3
	v_cmp_ne_u16_sdwa s74, v11, v2 src0_sel:BYTE_3 src1_sel:DWORD
	v_mov_b32_e32 v17, 0
	s_andn2_b32 s17, s17, exec_lo
	s_and_b32 s74, s74, exec_lo
	s_or_b32 s17, s17, s74
	s_or_b32 exec_lo, exec_lo, s73
	s_and_saveexec_b32 s73, s17
	s_cbranch_execnz .LBB4_9292
	s_branch .LBB4_9293
.LBB4_9395:                             ;   in Loop: Header=BB4_4707 Depth=2
	s_or_b32 exec_lo, exec_lo, s22
.LBB4_9396:                             ;   in Loop: Header=BB4_4707 Depth=2
	s_or_b32 exec_lo, exec_lo, s19
	v_and_b32_e32 v1, 15, v61
	v_cmp_lt_i32_e32 vcc_lo, 0, v80
	v_sub_nc_u32_e32 v4, v71, v1
	v_cndmask_b32_e32 v5, 0, v87, vcc_lo
	v_cndmask_b32_e64 v67, v71, v1, s16
	v_cndmask_b32_e64 v1, 0, v4, s16
	v_sub_nc_u32_e32 v4, v5, v80
	v_cmp_ne_u32_e32 vcc_lo, 0, v67
	v_add3_u32 v66, v70, v69, v1
	v_lshl_add_u32 v68, v4, 5, v68
	s_and_b32 s16, vcc_lo, exec_lo
.LBB4_9397:                             ;   in Loop: Header=BB4_4707 Depth=2
	s_or_b32 exec_lo, exec_lo, s18
	s_and_saveexec_b32 s17, s16
	s_cbranch_execz .LBB4_10102
.LBB4_9398:                             ;   in Loop: Header=BB4_4707 Depth=2
	v_ashrrev_i32_e32 v1, 31, v68
	v_ashrrev_i32_e32 v4, 31, v67
	s_mov_b32 s18, exec_lo
	v_lshrrev_b32_e32 v1, 27, v1
	v_lshrrev_b32_e32 v4, 23, v4
	v_add_nc_u32_e32 v1, v68, v1
	v_add_nc_u32_e32 v4, v67, v4
	v_ashrrev_i32_e32 v69, 5, v1
	v_ashrrev_i32_e32 v71, 9, v4
	v_sub_nc_u32_e32 v70, v71, v69
	v_cmpx_lt_i32_e32 0, v70
	s_cbranch_execz .LBB4_10050
; %bb.9399:                             ;   in Loop: Header=BB4_4707 Depth=2
	v_and_b32_e32 v1, 0xffffffe0, v1
	s_trap 2
	ds_read_b64 v[4:5], v0
	v_lshlrev_b32_e32 v8, 9, v69
	v_add_co_u32 v12, vcc_lo, 0x1e0, v64
	v_sub_nc_u32_e32 v1, v68, v1
	v_add_co_ci_u32_e64 v14, null, 0, v65, vcc_lo
	s_mov_b32 s19, 0
	v_add3_u32 v1, v66, v1, v8
	v_ashrrev_i32_e32 v13, 31, v1
	v_add_co_u32 v8, vcc_lo, v1, v53
	v_add_co_ci_u32_e64 v9, null, v13, v54, vcc_lo
	s_waitcnt lgkmcnt(0)
	v_add_co_u32 v10, vcc_lo, v4, v1
	v_add_co_ci_u32_e64 v11, null, v5, v13, vcc_lo
	v_add_co_u32 v12, vcc_lo, v12, v1
	v_add_co_ci_u32_e64 v13, null, v14, v13, vcc_lo
	s_branch .LBB4_9403
.LBB4_9400:                             ;   in Loop: Header=BB4_9403 Depth=3
	s_or_b32 exec_lo, exec_lo, s16
	v_lshrrev_b32_e32 v18, 21, v18
	v_cmp_gt_i32_e32 vcc_lo, 32, v14
	v_min_i32_e32 v19, 31, v14
	v_and_b32_sdwa v15, v15, v101 dst_sel:DWORD dst_unused:UNUSED_PAD src0_sel:BYTE_3 src1_sel:DWORD
	v_cndmask_b32_e32 v18, 3, v18, vcc_lo
	v_lshlrev_b32_e32 v19, 2, v19
	v_and_b32_e32 v31, 3, v18
	v_or_b32_e32 v14, v14, v18
	v_or3_b32 v15, v19, v15, v31
	v_cmp_ne_u32_e32 vcc_lo, 0, v14
	v_cndmask_b32_e32 v14, 0, v15, vcc_lo
.LBB4_9401:                             ;   in Loop: Header=BB4_9403 Depth=3
	s_or_b32 exec_lo, exec_lo, s23
.LBB4_9402:                             ;   in Loop: Header=BB4_9403 Depth=3
	s_or_b32 exec_lo, exec_lo, s22
	v_add_co_u32 v18, vcc_lo, 0xfffffe20, v12
	v_add_co_ci_u32_e64 v19, null, -1, v13, vcc_lo
	v_add_co_u32 v50, vcc_lo, 0xfffffe40, v12
	v_add_co_ci_u32_e64 v51, null, -1, v13, vcc_lo
	;; [unrolled: 2-line block ×5, first 2 shown]
	v_add_co_u32 v15, vcc_lo, 0xfffffec0, v12
	flat_store_byte v[18:19], v16 glc slc
	flat_store_byte v[50:51], v30 glc slc
	;; [unrolled: 1-line block ×5, first 2 shown]
	v_add_co_ci_u32_e64 v16, null, -1, v13, vcc_lo
	v_add_co_u32 v18, vcc_lo, 0xfffffee0, v12
	v_add_co_ci_u32_e64 v19, null, -1, v13, vcc_lo
	v_add_co_u32 v30, vcc_lo, 0xffffff00, v12
	;; [unrolled: 2-line block ×4, first 2 shown]
	v_add_co_ci_u32_e64 v81, null, -1, v13, vcc_lo
	flat_store_byte v[15:16], v35 glc slc
	flat_store_byte v[18:19], v64 glc slc
	;; [unrolled: 1-line block ×5, first 2 shown]
	v_add_co_u32 v15, vcc_lo, 0xffffff60, v12
	v_add_co_ci_u32_e64 v16, null, -1, v13, vcc_lo
	v_add_co_u32 v18, vcc_lo, 0xffffff80, v12
	v_add_co_ci_u32_e64 v19, null, -1, v13, vcc_lo
	;; [unrolled: 2-line block ×4, first 2 shown]
	v_add_co_u32 v36, vcc_lo, 0xffffffe0, v12
	v_sub_nc_u32_e32 v70, v70, v87
	v_add_co_ci_u32_e64 v37, null, -1, v13, vcc_lo
	v_add_co_u32 v8, vcc_lo, v8, v117
	v_add_co_ci_u32_e64 v9, null, 0, v9, vcc_lo
	v_add_co_u32 v10, vcc_lo, v10, v117
	flat_store_byte v[15:16], v1 glc slc
	flat_store_byte v[18:19], v21 glc slc
	flat_store_byte v[30:31], v20 glc slc
	flat_store_byte v[34:35], v5 glc slc
	flat_store_byte v[36:37], v17 glc slc
	flat_store_byte v[12:13], v14 glc slc
	v_add_co_ci_u32_e64 v11, null, 0, v11, vcc_lo
	v_cmp_gt_i32_e32 vcc_lo, 1, v70
	v_add_co_u32 v12, s16, v12, v117
	v_add_co_ci_u32_e64 v13, null, 0, v13, s16
	s_or_b32 s19, vcc_lo, s19
	s_andn2_b32 exec_lo, exec_lo, s19
	s_cbranch_execz .LBB4_10049
.LBB4_9403:                             ;   Parent Loop BB4_47 Depth=1
                                        ;     Parent Loop BB4_4707 Depth=2
                                        ; =>    This Inner Loop Header: Depth=3
	s_trap 2
	ds_read_b64 v[14:15], v0
	s_waitcnt lgkmcnt(0)
	v_readfirstlane_b32 s16, v14
	s_and_b32 s22, s16, 0xff
	s_cmpk_lt_i32 s22, 0x80
	s_cbranch_scc1 .LBB4_9407
; %bb.9404:                             ;   in Loop: Header=BB4_9403 Depth=3
	s_and_b32 s23, 0xffff, s22
	s_cmpk_eq_i32 s23, 0x80
	s_mov_b32 s23, -1
	s_cbranch_scc0 .LBB4_9406
; %bb.9405:                             ;   in Loop: Header=BB4_9403 Depth=3
	s_mov_b32 s23, 0
.LBB4_9406:                             ;   in Loop: Header=BB4_9403 Depth=3
	s_mov_b32 s72, 0x7f800001
	s_branch .LBB4_9409
.LBB4_9407:                             ;   in Loop: Header=BB4_9403 Depth=3
	s_mov_b32 s23, 0
	s_mov_b32 s72, 0x7f800001
	s_cbranch_execz .LBB4_9409
; %bb.9408:                             ;   in Loop: Header=BB4_9403 Depth=3
	s_and_b32 s22, 0xffff, s22
	s_mov_b32 s72, 0
	s_cmp_lg_u32 s22, 0
	s_cselect_b32 s23, -1, 0
.LBB4_9409:                             ;   in Loop: Header=BB4_9403 Depth=3
	v_mov_b32_e32 v5, s72
	s_andn2_b32 vcc_lo, exec_lo, s23
	s_cbranch_vccnz .LBB4_9411
; %bb.9410:                             ;   in Loop: Header=BB4_9403 Depth=3
	s_and_b32 s22, s16, 3
	s_bfe_u32 s72, s16, 0x50002
	s_flbit_i32_b32 s23, s22
	v_lshlrev_b32_e32 v1, 24, v14
	s_min_u32 s23, s23, 32
	s_sub_i32 s73, s23, 29
	s_sub_i32 s23, 30, s23
	s_lshl_b32 s16, s16, s73
	v_and_b32_e32 v1, 0x80000000, v1
	s_and_b32 s16, s16, 3
	s_cmp_eq_u32 s72, 0
	s_cselect_b32 s23, s23, s72
	s_cselect_b32 s16, s16, s22
	s_lshl_b32 s22, s23, 23
	s_lshl_b32 s16, s16, 21
	s_add_i32 s22, s22, 0x37800000
	v_or_b32_e32 v1, s22, v1
	v_or_b32_e32 v5, s16, v1
.LBB4_9411:                             ;   in Loop: Header=BB4_9403 Depth=3
	flat_load_ubyte v1, v[8:9] slc
	s_mov_b32 s16, 0
	s_mov_b32 s22, exec_lo
	s_waitcnt vmcnt(0) lgkmcnt(0)
	v_cmpx_lt_i16_e32 0x7f, v1
	s_xor_b32 s22, exec_lo, s22
	s_cbranch_execz .LBB4_9953
; %bb.9412:                             ;   in Loop: Header=BB4_9403 Depth=3
	s_mov_b32 s16, -1
	s_mov_b32 s23, exec_lo
	v_cmpx_eq_u16_e32 0x80, v1
; %bb.9413:                             ;   in Loop: Header=BB4_9403 Depth=3
	s_xor_b32 s16, exec_lo, -1
; %bb.9414:                             ;   in Loop: Header=BB4_9403 Depth=3
	s_or_b32 exec_lo, exec_lo, s23
	s_and_b32 s16, s16, exec_lo
	s_or_saveexec_b32 s22, s22
	v_mov_b32_e32 v4, 0x7f800001
	s_xor_b32 exec_lo, exec_lo, s22
	s_cbranch_execnz .LBB4_9954
.LBB4_9415:                             ;   in Loop: Header=BB4_9403 Depth=3
	s_or_b32 exec_lo, exec_lo, s22
	s_and_saveexec_b32 s22, s16
	s_cbranch_execz .LBB4_9417
.LBB4_9416:                             ;   in Loop: Header=BB4_9403 Depth=3
	v_and_b32_e32 v4, 0xffff, v1
	v_lshlrev_b32_e32 v1, 24, v1
	v_and_b32_e32 v14, 3, v4
	v_bfe_u32 v17, v4, 2, 5
	v_and_b32_e32 v1, 0x80000000, v1
	v_ffbh_u32_e32 v15, v14
	v_cmp_eq_u32_e32 vcc_lo, 0, v17
	v_min_u32_e32 v15, 32, v15
	v_subrev_nc_u32_e32 v16, 29, v15
	v_sub_nc_u32_e32 v15, 30, v15
	v_lshlrev_b32_e32 v4, v16, v4
	v_cndmask_b32_e32 v15, v17, v15, vcc_lo
	v_and_b32_e32 v4, 3, v4
	v_cndmask_b32_e32 v4, v14, v4, vcc_lo
	v_lshl_add_u32 v14, v15, 23, 0x37800000
	v_lshlrev_b32_e32 v4, 21, v4
	v_or3_b32 v4, v1, v14, v4
.LBB4_9417:                             ;   in Loop: Header=BB4_9403 Depth=3
	s_or_b32 exec_lo, exec_lo, s22
	v_mul_f32_e32 v1, v5, v4
	v_mov_b32_e32 v16, 0x80
	s_mov_b32 s22, exec_lo
	v_and_b32_e32 v4, 0x7f800000, v1
	v_cmpx_ne_u32_e32 0x7f800000, v4
	s_cbranch_execz .LBB4_9425
; %bb.9418:                             ;   in Loop: Header=BB4_9403 Depth=3
	v_mov_b32_e32 v16, 0
	s_mov_b32 s23, exec_lo
	v_cmpx_ne_u32_e32 0, v1
	s_cbranch_execz .LBB4_9424
; %bb.9419:                             ;   in Loop: Header=BB4_9403 Depth=3
	v_bfe_u32 v4, v1, 23, 8
	v_and_b32_e32 v14, 0x7fffff, v1
	v_sub_nc_u32_e32 v15, 0x70, v4
	v_cmp_gt_u32_e32 vcc_lo, 0x71, v4
	v_or_b32_e32 v16, 0x800000, v14
	v_cndmask_b32_e32 v15, 0, v15, vcc_lo
	v_cmp_eq_u32_e32 vcc_lo, 0, v4
	v_add_nc_u32_e32 v4, 0xffffff91, v4
	v_cndmask_b32_e64 v15, v15, 0x6f, vcc_lo
	v_cndmask_b32_e32 v14, v16, v14, vcc_lo
	v_cndmask_b32_e64 v4, v4, 0xffffff92, vcc_lo
	v_lshl_add_u32 v16, 0x200000, v15, -1
	v_lshrrev_b32_e32 v17, v15, v14
	v_lshlrev_b32_e64 v19, v15, 0x100000
	v_add_nc_u32_e32 v15, v15, v4
	v_and_b32_e32 v14, v16, v14
	v_bfe_u32 v18, v17, 21, 1
	v_cmp_eq_u32_e64 s16, v14, v19
	v_add_nc_u32_e32 v16, -1, v18
	v_cndmask_b32_e64 v14, 0, v16, s16
	v_lshrrev_b32_e32 v16, 23, v17
	s_mov_b32 s16, exec_lo
	v_add_nc_u32_e32 v14, v14, v17
	v_xor_b32_e32 v16, 1, v16
	v_and_b32_e32 v4, 0x1fffff, v14
	v_add_nc_u32_e32 v14, v4, v17
                                        ; implicit-def: $vgpr4
	v_cmpx_ne_u32_e64 v15, v16
	s_xor_b32 s16, exec_lo, s16
; %bb.9420:                             ;   in Loop: Header=BB4_9403 Depth=3
	v_cmp_lt_u32_e32 vcc_lo, 0xffffff, v14
	v_sub_nc_u32_e32 v4, v15, v16
	v_cndmask_b32_e64 v15, 0, 1, vcc_lo
	v_add_co_ci_u32_e64 v4, null, 0, v4, vcc_lo
	v_lshrrev_b32_e32 v14, v15, v14
; %bb.9421:                             ;   in Loop: Header=BB4_9403 Depth=3
	s_andn2_saveexec_b32 s16, s16
; %bb.9422:                             ;   in Loop: Header=BB4_9403 Depth=3
	v_bfe_u32 v4, v14, 23, 1
; %bb.9423:                             ;   in Loop: Header=BB4_9403 Depth=3
	s_or_b32 exec_lo, exec_lo, s16
	v_lshrrev_b32_e32 v14, 21, v14
	v_cmp_gt_i32_e32 vcc_lo, 32, v4
	v_min_i32_e32 v15, 31, v4
	v_and_b32_sdwa v1, v1, v101 dst_sel:DWORD dst_unused:UNUSED_PAD src0_sel:BYTE_3 src1_sel:DWORD
	v_cndmask_b32_e32 v14, 3, v14, vcc_lo
	v_lshlrev_b32_e32 v15, 2, v15
	v_and_b32_e32 v16, 3, v14
	v_or_b32_e32 v4, v4, v14
	v_or3_b32 v1, v15, v1, v16
	v_cmp_ne_u32_e32 vcc_lo, 0, v4
	v_cndmask_b32_e32 v16, 0, v1, vcc_lo
.LBB4_9424:                             ;   in Loop: Header=BB4_9403 Depth=3
	s_or_b32 exec_lo, exec_lo, s23
.LBB4_9425:                             ;   in Loop: Header=BB4_9403 Depth=3
	s_or_b32 exec_lo, exec_lo, s22
	flat_load_ubyte v1, v[8:9] offset:32 slc
	s_mov_b32 s16, 0
	s_mov_b32 s22, exec_lo
	s_waitcnt vmcnt(0) lgkmcnt(0)
	v_cmpx_lt_i16_e32 0x7f, v1
	s_xor_b32 s22, exec_lo, s22
	s_cbranch_execz .LBB4_9955
; %bb.9426:                             ;   in Loop: Header=BB4_9403 Depth=3
	s_mov_b32 s16, -1
	s_mov_b32 s23, exec_lo
	v_cmpx_eq_u16_e32 0x80, v1
; %bb.9427:                             ;   in Loop: Header=BB4_9403 Depth=3
	s_xor_b32 s16, exec_lo, -1
; %bb.9428:                             ;   in Loop: Header=BB4_9403 Depth=3
	s_or_b32 exec_lo, exec_lo, s23
	s_and_b32 s16, s16, exec_lo
	s_or_saveexec_b32 s22, s22
	v_mov_b32_e32 v4, 0x7f800001
	s_xor_b32 exec_lo, exec_lo, s22
	s_cbranch_execnz .LBB4_9956
.LBB4_9429:                             ;   in Loop: Header=BB4_9403 Depth=3
	s_or_b32 exec_lo, exec_lo, s22
	s_and_saveexec_b32 s22, s16
	s_cbranch_execz .LBB4_9431
.LBB4_9430:                             ;   in Loop: Header=BB4_9403 Depth=3
	v_and_b32_e32 v4, 0xffff, v1
	v_lshlrev_b32_e32 v1, 24, v1
	v_and_b32_e32 v14, 3, v4
	v_bfe_u32 v18, v4, 2, 5
	v_and_b32_e32 v1, 0x80000000, v1
	v_ffbh_u32_e32 v15, v14
	v_cmp_eq_u32_e32 vcc_lo, 0, v18
	v_min_u32_e32 v15, 32, v15
	v_subrev_nc_u32_e32 v17, 29, v15
	v_sub_nc_u32_e32 v15, 30, v15
	v_lshlrev_b32_e32 v4, v17, v4
	v_cndmask_b32_e32 v15, v18, v15, vcc_lo
	v_and_b32_e32 v4, 3, v4
	v_cndmask_b32_e32 v4, v14, v4, vcc_lo
	v_lshl_add_u32 v14, v15, 23, 0x37800000
	v_lshlrev_b32_e32 v4, 21, v4
	v_or3_b32 v4, v1, v14, v4
.LBB4_9431:                             ;   in Loop: Header=BB4_9403 Depth=3
	s_or_b32 exec_lo, exec_lo, s22
	v_mul_f32_e32 v1, v5, v4
	v_mov_b32_e32 v30, 0x80
	s_mov_b32 s22, exec_lo
	v_and_b32_e32 v4, 0x7f800000, v1
	v_cmpx_ne_u32_e32 0x7f800000, v4
	s_cbranch_execz .LBB4_9439
; %bb.9432:                             ;   in Loop: Header=BB4_9403 Depth=3
	v_mov_b32_e32 v30, 0
	s_mov_b32 s23, exec_lo
	v_cmpx_ne_u32_e32 0, v1
	s_cbranch_execz .LBB4_9438
; %bb.9433:                             ;   in Loop: Header=BB4_9403 Depth=3
	v_bfe_u32 v4, v1, 23, 8
	v_and_b32_e32 v14, 0x7fffff, v1
	v_sub_nc_u32_e32 v15, 0x70, v4
	v_cmp_gt_u32_e32 vcc_lo, 0x71, v4
	v_or_b32_e32 v17, 0x800000, v14
	v_cndmask_b32_e32 v15, 0, v15, vcc_lo
	v_cmp_eq_u32_e32 vcc_lo, 0, v4
	v_add_nc_u32_e32 v4, 0xffffff91, v4
	v_cndmask_b32_e64 v15, v15, 0x6f, vcc_lo
	v_cndmask_b32_e32 v14, v17, v14, vcc_lo
	v_cndmask_b32_e64 v4, v4, 0xffffff92, vcc_lo
	v_lshl_add_u32 v17, 0x200000, v15, -1
	v_lshrrev_b32_e32 v18, v15, v14
	v_lshlrev_b32_e64 v20, v15, 0x100000
	v_add_nc_u32_e32 v15, v15, v4
	v_and_b32_e32 v14, v17, v14
	v_bfe_u32 v19, v18, 21, 1
	v_cmp_eq_u32_e64 s16, v14, v20
	v_add_nc_u32_e32 v17, -1, v19
	v_cndmask_b32_e64 v14, 0, v17, s16
	v_lshrrev_b32_e32 v17, 23, v18
	s_mov_b32 s16, exec_lo
	v_add_nc_u32_e32 v14, v14, v18
	v_xor_b32_e32 v17, 1, v17
	v_and_b32_e32 v4, 0x1fffff, v14
	v_add_nc_u32_e32 v14, v4, v18
                                        ; implicit-def: $vgpr4
	v_cmpx_ne_u32_e64 v15, v17
	s_xor_b32 s16, exec_lo, s16
; %bb.9434:                             ;   in Loop: Header=BB4_9403 Depth=3
	v_cmp_lt_u32_e32 vcc_lo, 0xffffff, v14
	v_sub_nc_u32_e32 v4, v15, v17
	v_cndmask_b32_e64 v15, 0, 1, vcc_lo
	v_add_co_ci_u32_e64 v4, null, 0, v4, vcc_lo
	v_lshrrev_b32_e32 v14, v15, v14
; %bb.9435:                             ;   in Loop: Header=BB4_9403 Depth=3
	s_andn2_saveexec_b32 s16, s16
; %bb.9436:                             ;   in Loop: Header=BB4_9403 Depth=3
	v_bfe_u32 v4, v14, 23, 1
; %bb.9437:                             ;   in Loop: Header=BB4_9403 Depth=3
	s_or_b32 exec_lo, exec_lo, s16
	v_lshrrev_b32_e32 v14, 21, v14
	v_cmp_gt_i32_e32 vcc_lo, 32, v4
	v_min_i32_e32 v15, 31, v4
	v_and_b32_sdwa v1, v1, v101 dst_sel:DWORD dst_unused:UNUSED_PAD src0_sel:BYTE_3 src1_sel:DWORD
	v_cndmask_b32_e32 v14, 3, v14, vcc_lo
	v_lshlrev_b32_e32 v15, 2, v15
	v_and_b32_e32 v17, 3, v14
	v_or_b32_e32 v4, v4, v14
	v_or3_b32 v1, v15, v1, v17
	v_cmp_ne_u32_e32 vcc_lo, 0, v4
	v_cndmask_b32_e32 v30, 0, v1, vcc_lo
.LBB4_9438:                             ;   in Loop: Header=BB4_9403 Depth=3
	s_or_b32 exec_lo, exec_lo, s23
.LBB4_9439:                             ;   in Loop: Header=BB4_9403 Depth=3
	s_or_b32 exec_lo, exec_lo, s22
	flat_load_ubyte v1, v[8:9] offset:64 slc
	s_mov_b32 s16, 0
	s_mov_b32 s22, exec_lo
	s_waitcnt vmcnt(0) lgkmcnt(0)
	v_cmpx_lt_i16_e32 0x7f, v1
	s_xor_b32 s22, exec_lo, s22
	s_cbranch_execz .LBB4_9957
; %bb.9440:                             ;   in Loop: Header=BB4_9403 Depth=3
	s_mov_b32 s16, -1
	s_mov_b32 s23, exec_lo
	v_cmpx_eq_u16_e32 0x80, v1
; %bb.9441:                             ;   in Loop: Header=BB4_9403 Depth=3
	s_xor_b32 s16, exec_lo, -1
; %bb.9442:                             ;   in Loop: Header=BB4_9403 Depth=3
	s_or_b32 exec_lo, exec_lo, s23
	s_and_b32 s16, s16, exec_lo
	s_or_saveexec_b32 s22, s22
	v_mov_b32_e32 v4, 0x7f800001
	s_xor_b32 exec_lo, exec_lo, s22
	s_cbranch_execnz .LBB4_9958
.LBB4_9443:                             ;   in Loop: Header=BB4_9403 Depth=3
	s_or_b32 exec_lo, exec_lo, s22
	s_and_saveexec_b32 s22, s16
	s_cbranch_execz .LBB4_9445
.LBB4_9444:                             ;   in Loop: Header=BB4_9403 Depth=3
	v_and_b32_e32 v4, 0xffff, v1
	v_lshlrev_b32_e32 v1, 24, v1
	v_and_b32_e32 v14, 3, v4
	v_bfe_u32 v18, v4, 2, 5
	v_and_b32_e32 v1, 0x80000000, v1
	v_ffbh_u32_e32 v15, v14
	v_cmp_eq_u32_e32 vcc_lo, 0, v18
	v_min_u32_e32 v15, 32, v15
	v_subrev_nc_u32_e32 v17, 29, v15
	v_sub_nc_u32_e32 v15, 30, v15
	v_lshlrev_b32_e32 v4, v17, v4
	v_cndmask_b32_e32 v15, v18, v15, vcc_lo
	v_and_b32_e32 v4, 3, v4
	v_cndmask_b32_e32 v4, v14, v4, vcc_lo
	v_lshl_add_u32 v14, v15, 23, 0x37800000
	v_lshlrev_b32_e32 v4, 21, v4
	v_or3_b32 v4, v1, v14, v4
.LBB4_9445:                             ;   in Loop: Header=BB4_9403 Depth=3
	s_or_b32 exec_lo, exec_lo, s22
	v_mul_f32_e32 v1, v5, v4
	v_mov_b32_e32 v53, 0x80
	s_mov_b32 s22, exec_lo
	v_and_b32_e32 v4, 0x7f800000, v1
	v_cmpx_ne_u32_e32 0x7f800000, v4
	s_cbranch_execz .LBB4_9453
; %bb.9446:                             ;   in Loop: Header=BB4_9403 Depth=3
	v_mov_b32_e32 v53, 0
	s_mov_b32 s23, exec_lo
	v_cmpx_ne_u32_e32 0, v1
	s_cbranch_execz .LBB4_9452
; %bb.9447:                             ;   in Loop: Header=BB4_9403 Depth=3
	v_bfe_u32 v4, v1, 23, 8
	v_and_b32_e32 v14, 0x7fffff, v1
	v_sub_nc_u32_e32 v15, 0x70, v4
	v_cmp_gt_u32_e32 vcc_lo, 0x71, v4
	v_or_b32_e32 v17, 0x800000, v14
	v_cndmask_b32_e32 v15, 0, v15, vcc_lo
	v_cmp_eq_u32_e32 vcc_lo, 0, v4
	v_add_nc_u32_e32 v4, 0xffffff91, v4
	v_cndmask_b32_e64 v15, v15, 0x6f, vcc_lo
	v_cndmask_b32_e32 v14, v17, v14, vcc_lo
	v_cndmask_b32_e64 v4, v4, 0xffffff92, vcc_lo
	v_lshl_add_u32 v17, 0x200000, v15, -1
	v_lshrrev_b32_e32 v18, v15, v14
	v_lshlrev_b32_e64 v20, v15, 0x100000
	v_add_nc_u32_e32 v15, v15, v4
	v_and_b32_e32 v14, v17, v14
	v_bfe_u32 v19, v18, 21, 1
	v_cmp_eq_u32_e64 s16, v14, v20
	v_add_nc_u32_e32 v17, -1, v19
	v_cndmask_b32_e64 v14, 0, v17, s16
	v_lshrrev_b32_e32 v17, 23, v18
	s_mov_b32 s16, exec_lo
	v_add_nc_u32_e32 v14, v14, v18
	v_xor_b32_e32 v17, 1, v17
	v_and_b32_e32 v4, 0x1fffff, v14
	v_add_nc_u32_e32 v14, v4, v18
                                        ; implicit-def: $vgpr4
	v_cmpx_ne_u32_e64 v15, v17
	s_xor_b32 s16, exec_lo, s16
; %bb.9448:                             ;   in Loop: Header=BB4_9403 Depth=3
	v_cmp_lt_u32_e32 vcc_lo, 0xffffff, v14
	v_sub_nc_u32_e32 v4, v15, v17
	v_cndmask_b32_e64 v15, 0, 1, vcc_lo
	v_add_co_ci_u32_e64 v4, null, 0, v4, vcc_lo
	v_lshrrev_b32_e32 v14, v15, v14
; %bb.9449:                             ;   in Loop: Header=BB4_9403 Depth=3
	s_andn2_saveexec_b32 s16, s16
; %bb.9450:                             ;   in Loop: Header=BB4_9403 Depth=3
	v_bfe_u32 v4, v14, 23, 1
; %bb.9451:                             ;   in Loop: Header=BB4_9403 Depth=3
	s_or_b32 exec_lo, exec_lo, s16
	v_lshrrev_b32_e32 v14, 21, v14
	v_cmp_gt_i32_e32 vcc_lo, 32, v4
	v_min_i32_e32 v15, 31, v4
	v_and_b32_sdwa v1, v1, v101 dst_sel:DWORD dst_unused:UNUSED_PAD src0_sel:BYTE_3 src1_sel:DWORD
	v_cndmask_b32_e32 v14, 3, v14, vcc_lo
	v_lshlrev_b32_e32 v15, 2, v15
	v_and_b32_e32 v17, 3, v14
	v_or_b32_e32 v4, v4, v14
	v_or3_b32 v1, v15, v1, v17
	v_cmp_ne_u32_e32 vcc_lo, 0, v4
	v_cndmask_b32_e32 v53, 0, v1, vcc_lo
.LBB4_9452:                             ;   in Loop: Header=BB4_9403 Depth=3
	s_or_b32 exec_lo, exec_lo, s23
.LBB4_9453:                             ;   in Loop: Header=BB4_9403 Depth=3
	s_or_b32 exec_lo, exec_lo, s22
	flat_load_ubyte v1, v[8:9] offset:96 slc
	s_mov_b32 s16, 0
	s_mov_b32 s22, exec_lo
	s_waitcnt vmcnt(0) lgkmcnt(0)
	v_cmpx_lt_i16_e32 0x7f, v1
	s_xor_b32 s22, exec_lo, s22
	s_cbranch_execz .LBB4_9959
; %bb.9454:                             ;   in Loop: Header=BB4_9403 Depth=3
	s_mov_b32 s16, -1
	s_mov_b32 s23, exec_lo
	v_cmpx_eq_u16_e32 0x80, v1
; %bb.9455:                             ;   in Loop: Header=BB4_9403 Depth=3
	s_xor_b32 s16, exec_lo, -1
; %bb.9456:                             ;   in Loop: Header=BB4_9403 Depth=3
	s_or_b32 exec_lo, exec_lo, s23
	s_and_b32 s16, s16, exec_lo
	s_or_saveexec_b32 s22, s22
	v_mov_b32_e32 v4, 0x7f800001
	s_xor_b32 exec_lo, exec_lo, s22
	s_cbranch_execnz .LBB4_9960
.LBB4_9457:                             ;   in Loop: Header=BB4_9403 Depth=3
	s_or_b32 exec_lo, exec_lo, s22
	s_and_saveexec_b32 s22, s16
	s_cbranch_execz .LBB4_9459
.LBB4_9458:                             ;   in Loop: Header=BB4_9403 Depth=3
	v_and_b32_e32 v4, 0xffff, v1
	v_lshlrev_b32_e32 v1, 24, v1
	v_and_b32_e32 v14, 3, v4
	v_bfe_u32 v18, v4, 2, 5
	v_and_b32_e32 v1, 0x80000000, v1
	v_ffbh_u32_e32 v15, v14
	v_cmp_eq_u32_e32 vcc_lo, 0, v18
	v_min_u32_e32 v15, 32, v15
	v_subrev_nc_u32_e32 v17, 29, v15
	v_sub_nc_u32_e32 v15, 30, v15
	v_lshlrev_b32_e32 v4, v17, v4
	v_cndmask_b32_e32 v15, v18, v15, vcc_lo
	v_and_b32_e32 v4, 3, v4
	v_cndmask_b32_e32 v4, v14, v4, vcc_lo
	v_lshl_add_u32 v14, v15, 23, 0x37800000
	v_lshlrev_b32_e32 v4, 21, v4
	v_or3_b32 v4, v1, v14, v4
.LBB4_9459:                             ;   in Loop: Header=BB4_9403 Depth=3
	s_or_b32 exec_lo, exec_lo, s22
	v_mul_f32_e32 v1, v5, v4
	v_mov_b32_e32 v81, 0x80
	s_mov_b32 s22, exec_lo
	v_and_b32_e32 v4, 0x7f800000, v1
	v_cmpx_ne_u32_e32 0x7f800000, v4
	s_cbranch_execz .LBB4_9467
; %bb.9460:                             ;   in Loop: Header=BB4_9403 Depth=3
	v_mov_b32_e32 v81, 0
	s_mov_b32 s23, exec_lo
	v_cmpx_ne_u32_e32 0, v1
	s_cbranch_execz .LBB4_9466
; %bb.9461:                             ;   in Loop: Header=BB4_9403 Depth=3
	v_bfe_u32 v4, v1, 23, 8
	v_and_b32_e32 v14, 0x7fffff, v1
	v_sub_nc_u32_e32 v15, 0x70, v4
	v_cmp_gt_u32_e32 vcc_lo, 0x71, v4
	v_or_b32_e32 v17, 0x800000, v14
	v_cndmask_b32_e32 v15, 0, v15, vcc_lo
	v_cmp_eq_u32_e32 vcc_lo, 0, v4
	v_add_nc_u32_e32 v4, 0xffffff91, v4
	v_cndmask_b32_e64 v15, v15, 0x6f, vcc_lo
	v_cndmask_b32_e32 v14, v17, v14, vcc_lo
	v_cndmask_b32_e64 v4, v4, 0xffffff92, vcc_lo
	v_lshl_add_u32 v17, 0x200000, v15, -1
	v_lshrrev_b32_e32 v18, v15, v14
	v_lshlrev_b32_e64 v20, v15, 0x100000
	v_add_nc_u32_e32 v15, v15, v4
	v_and_b32_e32 v14, v17, v14
	v_bfe_u32 v19, v18, 21, 1
	v_cmp_eq_u32_e64 s16, v14, v20
	v_add_nc_u32_e32 v17, -1, v19
	v_cndmask_b32_e64 v14, 0, v17, s16
	v_lshrrev_b32_e32 v17, 23, v18
	s_mov_b32 s16, exec_lo
	v_add_nc_u32_e32 v14, v14, v18
	v_xor_b32_e32 v17, 1, v17
	v_and_b32_e32 v4, 0x1fffff, v14
	v_add_nc_u32_e32 v14, v4, v18
                                        ; implicit-def: $vgpr4
	v_cmpx_ne_u32_e64 v15, v17
	s_xor_b32 s16, exec_lo, s16
; %bb.9462:                             ;   in Loop: Header=BB4_9403 Depth=3
	v_cmp_lt_u32_e32 vcc_lo, 0xffffff, v14
	v_sub_nc_u32_e32 v4, v15, v17
	v_cndmask_b32_e64 v15, 0, 1, vcc_lo
	v_add_co_ci_u32_e64 v4, null, 0, v4, vcc_lo
	v_lshrrev_b32_e32 v14, v15, v14
; %bb.9463:                             ;   in Loop: Header=BB4_9403 Depth=3
	s_andn2_saveexec_b32 s16, s16
; %bb.9464:                             ;   in Loop: Header=BB4_9403 Depth=3
	v_bfe_u32 v4, v14, 23, 1
; %bb.9465:                             ;   in Loop: Header=BB4_9403 Depth=3
	s_or_b32 exec_lo, exec_lo, s16
	v_lshrrev_b32_e32 v14, 21, v14
	v_cmp_gt_i32_e32 vcc_lo, 32, v4
	v_min_i32_e32 v15, 31, v4
	v_and_b32_sdwa v1, v1, v101 dst_sel:DWORD dst_unused:UNUSED_PAD src0_sel:BYTE_3 src1_sel:DWORD
	v_cndmask_b32_e32 v14, 3, v14, vcc_lo
	v_lshlrev_b32_e32 v15, 2, v15
	v_and_b32_e32 v17, 3, v14
	v_or_b32_e32 v4, v4, v14
	v_or3_b32 v1, v15, v1, v17
	v_cmp_ne_u32_e32 vcc_lo, 0, v4
	v_cndmask_b32_e32 v81, 0, v1, vcc_lo
.LBB4_9466:                             ;   in Loop: Header=BB4_9403 Depth=3
	s_or_b32 exec_lo, exec_lo, s23
.LBB4_9467:                             ;   in Loop: Header=BB4_9403 Depth=3
	s_or_b32 exec_lo, exec_lo, s22
	flat_load_ubyte v1, v[8:9] offset:128 slc
	s_mov_b32 s16, 0
	s_mov_b32 s22, exec_lo
	s_waitcnt vmcnt(0) lgkmcnt(0)
	v_cmpx_lt_i16_e32 0x7f, v1
	s_xor_b32 s22, exec_lo, s22
	s_cbranch_execz .LBB4_9961
; %bb.9468:                             ;   in Loop: Header=BB4_9403 Depth=3
	s_mov_b32 s16, -1
	s_mov_b32 s23, exec_lo
	v_cmpx_eq_u16_e32 0x80, v1
; %bb.9469:                             ;   in Loop: Header=BB4_9403 Depth=3
	s_xor_b32 s16, exec_lo, -1
; %bb.9470:                             ;   in Loop: Header=BB4_9403 Depth=3
	s_or_b32 exec_lo, exec_lo, s23
	s_and_b32 s16, s16, exec_lo
	s_or_saveexec_b32 s22, s22
	v_mov_b32_e32 v4, 0x7f800001
	s_xor_b32 exec_lo, exec_lo, s22
	s_cbranch_execnz .LBB4_9962
.LBB4_9471:                             ;   in Loop: Header=BB4_9403 Depth=3
	s_or_b32 exec_lo, exec_lo, s22
	s_and_saveexec_b32 s22, s16
	s_cbranch_execz .LBB4_9473
.LBB4_9472:                             ;   in Loop: Header=BB4_9403 Depth=3
	v_and_b32_e32 v4, 0xffff, v1
	v_lshlrev_b32_e32 v1, 24, v1
	v_and_b32_e32 v14, 3, v4
	v_bfe_u32 v18, v4, 2, 5
	v_and_b32_e32 v1, 0x80000000, v1
	v_ffbh_u32_e32 v15, v14
	v_cmp_eq_u32_e32 vcc_lo, 0, v18
	v_min_u32_e32 v15, 32, v15
	v_subrev_nc_u32_e32 v17, 29, v15
	v_sub_nc_u32_e32 v15, 30, v15
	v_lshlrev_b32_e32 v4, v17, v4
	v_cndmask_b32_e32 v15, v18, v15, vcc_lo
	v_and_b32_e32 v4, 3, v4
	v_cndmask_b32_e32 v4, v14, v4, vcc_lo
	v_lshl_add_u32 v14, v15, 23, 0x37800000
	v_lshlrev_b32_e32 v4, 21, v4
	v_or3_b32 v4, v1, v14, v4
.LBB4_9473:                             ;   in Loop: Header=BB4_9403 Depth=3
	s_or_b32 exec_lo, exec_lo, s22
	v_mul_f32_e32 v1, v5, v4
	v_mov_b32_e32 v82, 0x80
	s_mov_b32 s22, exec_lo
	v_and_b32_e32 v4, 0x7f800000, v1
	v_cmpx_ne_u32_e32 0x7f800000, v4
	s_cbranch_execz .LBB4_9481
; %bb.9474:                             ;   in Loop: Header=BB4_9403 Depth=3
	v_mov_b32_e32 v82, 0
	s_mov_b32 s23, exec_lo
	v_cmpx_ne_u32_e32 0, v1
	s_cbranch_execz .LBB4_9480
; %bb.9475:                             ;   in Loop: Header=BB4_9403 Depth=3
	v_bfe_u32 v4, v1, 23, 8
	v_and_b32_e32 v14, 0x7fffff, v1
	v_sub_nc_u32_e32 v15, 0x70, v4
	v_cmp_gt_u32_e32 vcc_lo, 0x71, v4
	v_or_b32_e32 v17, 0x800000, v14
	v_cndmask_b32_e32 v15, 0, v15, vcc_lo
	v_cmp_eq_u32_e32 vcc_lo, 0, v4
	v_add_nc_u32_e32 v4, 0xffffff91, v4
	v_cndmask_b32_e64 v15, v15, 0x6f, vcc_lo
	v_cndmask_b32_e32 v14, v17, v14, vcc_lo
	v_cndmask_b32_e64 v4, v4, 0xffffff92, vcc_lo
	v_lshl_add_u32 v17, 0x200000, v15, -1
	v_lshrrev_b32_e32 v18, v15, v14
	v_lshlrev_b32_e64 v20, v15, 0x100000
	v_add_nc_u32_e32 v15, v15, v4
	v_and_b32_e32 v14, v17, v14
	v_bfe_u32 v19, v18, 21, 1
	v_cmp_eq_u32_e64 s16, v14, v20
	v_add_nc_u32_e32 v17, -1, v19
	v_cndmask_b32_e64 v14, 0, v17, s16
	v_lshrrev_b32_e32 v17, 23, v18
	s_mov_b32 s16, exec_lo
	v_add_nc_u32_e32 v14, v14, v18
	v_xor_b32_e32 v17, 1, v17
	v_and_b32_e32 v4, 0x1fffff, v14
	v_add_nc_u32_e32 v14, v4, v18
                                        ; implicit-def: $vgpr4
	v_cmpx_ne_u32_e64 v15, v17
	s_xor_b32 s16, exec_lo, s16
; %bb.9476:                             ;   in Loop: Header=BB4_9403 Depth=3
	v_cmp_lt_u32_e32 vcc_lo, 0xffffff, v14
	v_sub_nc_u32_e32 v4, v15, v17
	v_cndmask_b32_e64 v15, 0, 1, vcc_lo
	v_add_co_ci_u32_e64 v4, null, 0, v4, vcc_lo
	v_lshrrev_b32_e32 v14, v15, v14
; %bb.9477:                             ;   in Loop: Header=BB4_9403 Depth=3
	s_andn2_saveexec_b32 s16, s16
; %bb.9478:                             ;   in Loop: Header=BB4_9403 Depth=3
	v_bfe_u32 v4, v14, 23, 1
; %bb.9479:                             ;   in Loop: Header=BB4_9403 Depth=3
	s_or_b32 exec_lo, exec_lo, s16
	v_lshrrev_b32_e32 v14, 21, v14
	v_cmp_gt_i32_e32 vcc_lo, 32, v4
	v_min_i32_e32 v15, 31, v4
	v_and_b32_sdwa v1, v1, v101 dst_sel:DWORD dst_unused:UNUSED_PAD src0_sel:BYTE_3 src1_sel:DWORD
	v_cndmask_b32_e32 v14, 3, v14, vcc_lo
	v_lshlrev_b32_e32 v15, 2, v15
	v_and_b32_e32 v17, 3, v14
	v_or_b32_e32 v4, v4, v14
	v_or3_b32 v1, v15, v1, v17
	v_cmp_ne_u32_e32 vcc_lo, 0, v4
	v_cndmask_b32_e32 v82, 0, v1, vcc_lo
.LBB4_9480:                             ;   in Loop: Header=BB4_9403 Depth=3
	s_or_b32 exec_lo, exec_lo, s23
.LBB4_9481:                             ;   in Loop: Header=BB4_9403 Depth=3
	s_or_b32 exec_lo, exec_lo, s22
	flat_load_ubyte v1, v[8:9] offset:160 slc
	s_mov_b32 s16, 0
	s_mov_b32 s22, exec_lo
	s_waitcnt vmcnt(0) lgkmcnt(0)
	v_cmpx_lt_i16_e32 0x7f, v1
	s_xor_b32 s22, exec_lo, s22
	s_cbranch_execz .LBB4_9963
; %bb.9482:                             ;   in Loop: Header=BB4_9403 Depth=3
	s_mov_b32 s16, -1
	s_mov_b32 s23, exec_lo
	v_cmpx_eq_u16_e32 0x80, v1
; %bb.9483:                             ;   in Loop: Header=BB4_9403 Depth=3
	s_xor_b32 s16, exec_lo, -1
; %bb.9484:                             ;   in Loop: Header=BB4_9403 Depth=3
	s_or_b32 exec_lo, exec_lo, s23
	s_and_b32 s16, s16, exec_lo
	s_or_saveexec_b32 s22, s22
	v_mov_b32_e32 v4, 0x7f800001
	s_xor_b32 exec_lo, exec_lo, s22
	s_cbranch_execnz .LBB4_9964
.LBB4_9485:                             ;   in Loop: Header=BB4_9403 Depth=3
	s_or_b32 exec_lo, exec_lo, s22
	s_and_saveexec_b32 s22, s16
	s_cbranch_execz .LBB4_9487
.LBB4_9486:                             ;   in Loop: Header=BB4_9403 Depth=3
	v_and_b32_e32 v4, 0xffff, v1
	v_lshlrev_b32_e32 v1, 24, v1
	v_and_b32_e32 v14, 3, v4
	v_bfe_u32 v18, v4, 2, 5
	v_and_b32_e32 v1, 0x80000000, v1
	v_ffbh_u32_e32 v15, v14
	v_cmp_eq_u32_e32 vcc_lo, 0, v18
	v_min_u32_e32 v15, 32, v15
	v_subrev_nc_u32_e32 v17, 29, v15
	v_sub_nc_u32_e32 v15, 30, v15
	v_lshlrev_b32_e32 v4, v17, v4
	v_cndmask_b32_e32 v15, v18, v15, vcc_lo
	v_and_b32_e32 v4, 3, v4
	v_cndmask_b32_e32 v4, v14, v4, vcc_lo
	v_lshl_add_u32 v14, v15, 23, 0x37800000
	v_lshlrev_b32_e32 v4, 21, v4
	v_or3_b32 v4, v1, v14, v4
.LBB4_9487:                             ;   in Loop: Header=BB4_9403 Depth=3
	s_or_b32 exec_lo, exec_lo, s22
	v_mul_f32_e32 v1, v5, v4
	v_mov_b32_e32 v80, 0x80
	s_mov_b32 s22, exec_lo
	v_and_b32_e32 v4, 0x7f800000, v1
	v_cmpx_ne_u32_e32 0x7f800000, v4
	s_cbranch_execz .LBB4_9495
; %bb.9488:                             ;   in Loop: Header=BB4_9403 Depth=3
	v_mov_b32_e32 v80, 0
	s_mov_b32 s23, exec_lo
	v_cmpx_ne_u32_e32 0, v1
	s_cbranch_execz .LBB4_9494
; %bb.9489:                             ;   in Loop: Header=BB4_9403 Depth=3
	v_bfe_u32 v4, v1, 23, 8
	v_and_b32_e32 v14, 0x7fffff, v1
	v_sub_nc_u32_e32 v15, 0x70, v4
	v_cmp_gt_u32_e32 vcc_lo, 0x71, v4
	v_or_b32_e32 v17, 0x800000, v14
	v_cndmask_b32_e32 v15, 0, v15, vcc_lo
	v_cmp_eq_u32_e32 vcc_lo, 0, v4
	v_add_nc_u32_e32 v4, 0xffffff91, v4
	v_cndmask_b32_e64 v15, v15, 0x6f, vcc_lo
	v_cndmask_b32_e32 v14, v17, v14, vcc_lo
	v_cndmask_b32_e64 v4, v4, 0xffffff92, vcc_lo
	v_lshl_add_u32 v17, 0x200000, v15, -1
	v_lshrrev_b32_e32 v18, v15, v14
	v_lshlrev_b32_e64 v20, v15, 0x100000
	v_add_nc_u32_e32 v15, v15, v4
	v_and_b32_e32 v14, v17, v14
	v_bfe_u32 v19, v18, 21, 1
	v_cmp_eq_u32_e64 s16, v14, v20
	v_add_nc_u32_e32 v17, -1, v19
	v_cndmask_b32_e64 v14, 0, v17, s16
	v_lshrrev_b32_e32 v17, 23, v18
	s_mov_b32 s16, exec_lo
	v_add_nc_u32_e32 v14, v14, v18
	v_xor_b32_e32 v17, 1, v17
	v_and_b32_e32 v4, 0x1fffff, v14
	v_add_nc_u32_e32 v14, v4, v18
                                        ; implicit-def: $vgpr4
	v_cmpx_ne_u32_e64 v15, v17
	s_xor_b32 s16, exec_lo, s16
; %bb.9490:                             ;   in Loop: Header=BB4_9403 Depth=3
	v_cmp_lt_u32_e32 vcc_lo, 0xffffff, v14
	v_sub_nc_u32_e32 v4, v15, v17
	v_cndmask_b32_e64 v15, 0, 1, vcc_lo
	v_add_co_ci_u32_e64 v4, null, 0, v4, vcc_lo
	v_lshrrev_b32_e32 v14, v15, v14
; %bb.9491:                             ;   in Loop: Header=BB4_9403 Depth=3
	s_andn2_saveexec_b32 s16, s16
; %bb.9492:                             ;   in Loop: Header=BB4_9403 Depth=3
	v_bfe_u32 v4, v14, 23, 1
; %bb.9493:                             ;   in Loop: Header=BB4_9403 Depth=3
	s_or_b32 exec_lo, exec_lo, s16
	v_lshrrev_b32_e32 v14, 21, v14
	v_cmp_gt_i32_e32 vcc_lo, 32, v4
	v_min_i32_e32 v15, 31, v4
	v_and_b32_sdwa v1, v1, v101 dst_sel:DWORD dst_unused:UNUSED_PAD src0_sel:BYTE_3 src1_sel:DWORD
	v_cndmask_b32_e32 v14, 3, v14, vcc_lo
	v_lshlrev_b32_e32 v15, 2, v15
	v_and_b32_e32 v17, 3, v14
	v_or_b32_e32 v4, v4, v14
	v_or3_b32 v1, v15, v1, v17
	v_cmp_ne_u32_e32 vcc_lo, 0, v4
	v_cndmask_b32_e32 v80, 0, v1, vcc_lo
.LBB4_9494:                             ;   in Loop: Header=BB4_9403 Depth=3
	s_or_b32 exec_lo, exec_lo, s23
.LBB4_9495:                             ;   in Loop: Header=BB4_9403 Depth=3
	s_or_b32 exec_lo, exec_lo, s22
	flat_load_ubyte v1, v[8:9] offset:192 slc
	s_mov_b32 s16, 0
	s_mov_b32 s22, exec_lo
	s_waitcnt vmcnt(0) lgkmcnt(0)
	v_cmpx_lt_i16_e32 0x7f, v1
	s_xor_b32 s22, exec_lo, s22
	s_cbranch_execz .LBB4_9965
; %bb.9496:                             ;   in Loop: Header=BB4_9403 Depth=3
	s_mov_b32 s16, -1
	s_mov_b32 s23, exec_lo
	v_cmpx_eq_u16_e32 0x80, v1
; %bb.9497:                             ;   in Loop: Header=BB4_9403 Depth=3
	s_xor_b32 s16, exec_lo, -1
; %bb.9498:                             ;   in Loop: Header=BB4_9403 Depth=3
	s_or_b32 exec_lo, exec_lo, s23
	s_and_b32 s16, s16, exec_lo
	s_or_saveexec_b32 s22, s22
	v_mov_b32_e32 v4, 0x7f800001
	s_xor_b32 exec_lo, exec_lo, s22
	s_cbranch_execnz .LBB4_9966
.LBB4_9499:                             ;   in Loop: Header=BB4_9403 Depth=3
	s_or_b32 exec_lo, exec_lo, s22
	s_and_saveexec_b32 s22, s16
	s_cbranch_execz .LBB4_9501
.LBB4_9500:                             ;   in Loop: Header=BB4_9403 Depth=3
	v_and_b32_e32 v4, 0xffff, v1
	v_lshlrev_b32_e32 v1, 24, v1
	v_and_b32_e32 v14, 3, v4
	v_bfe_u32 v18, v4, 2, 5
	v_and_b32_e32 v1, 0x80000000, v1
	v_ffbh_u32_e32 v15, v14
	v_cmp_eq_u32_e32 vcc_lo, 0, v18
	v_min_u32_e32 v15, 32, v15
	v_subrev_nc_u32_e32 v17, 29, v15
	v_sub_nc_u32_e32 v15, 30, v15
	v_lshlrev_b32_e32 v4, v17, v4
	v_cndmask_b32_e32 v15, v18, v15, vcc_lo
	v_and_b32_e32 v4, 3, v4
	v_cndmask_b32_e32 v4, v14, v4, vcc_lo
	v_lshl_add_u32 v14, v15, 23, 0x37800000
	v_lshlrev_b32_e32 v4, 21, v4
	v_or3_b32 v4, v1, v14, v4
.LBB4_9501:                             ;   in Loop: Header=BB4_9403 Depth=3
	s_or_b32 exec_lo, exec_lo, s22
	v_mul_f32_e32 v1, v5, v4
	v_mov_b32_e32 v64, 0x80
	s_mov_b32 s22, exec_lo
	v_and_b32_e32 v4, 0x7f800000, v1
	v_cmpx_ne_u32_e32 0x7f800000, v4
	s_cbranch_execz .LBB4_9509
; %bb.9502:                             ;   in Loop: Header=BB4_9403 Depth=3
	v_mov_b32_e32 v64, 0
	s_mov_b32 s23, exec_lo
	v_cmpx_ne_u32_e32 0, v1
	s_cbranch_execz .LBB4_9508
; %bb.9503:                             ;   in Loop: Header=BB4_9403 Depth=3
	v_bfe_u32 v4, v1, 23, 8
	v_and_b32_e32 v14, 0x7fffff, v1
	v_sub_nc_u32_e32 v15, 0x70, v4
	v_cmp_gt_u32_e32 vcc_lo, 0x71, v4
	v_or_b32_e32 v17, 0x800000, v14
	v_cndmask_b32_e32 v15, 0, v15, vcc_lo
	v_cmp_eq_u32_e32 vcc_lo, 0, v4
	v_add_nc_u32_e32 v4, 0xffffff91, v4
	v_cndmask_b32_e64 v15, v15, 0x6f, vcc_lo
	v_cndmask_b32_e32 v14, v17, v14, vcc_lo
	v_cndmask_b32_e64 v4, v4, 0xffffff92, vcc_lo
	v_lshl_add_u32 v17, 0x200000, v15, -1
	v_lshrrev_b32_e32 v18, v15, v14
	v_lshlrev_b32_e64 v20, v15, 0x100000
	v_add_nc_u32_e32 v15, v15, v4
	v_and_b32_e32 v14, v17, v14
	v_bfe_u32 v19, v18, 21, 1
	v_cmp_eq_u32_e64 s16, v14, v20
	v_add_nc_u32_e32 v17, -1, v19
	v_cndmask_b32_e64 v14, 0, v17, s16
	v_lshrrev_b32_e32 v17, 23, v18
	s_mov_b32 s16, exec_lo
	v_add_nc_u32_e32 v14, v14, v18
	v_xor_b32_e32 v17, 1, v17
	v_and_b32_e32 v4, 0x1fffff, v14
	v_add_nc_u32_e32 v14, v4, v18
                                        ; implicit-def: $vgpr4
	v_cmpx_ne_u32_e64 v15, v17
	s_xor_b32 s16, exec_lo, s16
; %bb.9504:                             ;   in Loop: Header=BB4_9403 Depth=3
	v_cmp_lt_u32_e32 vcc_lo, 0xffffff, v14
	v_sub_nc_u32_e32 v4, v15, v17
	v_cndmask_b32_e64 v15, 0, 1, vcc_lo
	v_add_co_ci_u32_e64 v4, null, 0, v4, vcc_lo
	v_lshrrev_b32_e32 v14, v15, v14
; %bb.9505:                             ;   in Loop: Header=BB4_9403 Depth=3
	s_andn2_saveexec_b32 s16, s16
; %bb.9506:                             ;   in Loop: Header=BB4_9403 Depth=3
	v_bfe_u32 v4, v14, 23, 1
; %bb.9507:                             ;   in Loop: Header=BB4_9403 Depth=3
	s_or_b32 exec_lo, exec_lo, s16
	v_lshrrev_b32_e32 v14, 21, v14
	v_cmp_gt_i32_e32 vcc_lo, 32, v4
	v_min_i32_e32 v15, 31, v4
	v_and_b32_sdwa v1, v1, v101 dst_sel:DWORD dst_unused:UNUSED_PAD src0_sel:BYTE_3 src1_sel:DWORD
	v_cndmask_b32_e32 v14, 3, v14, vcc_lo
	v_lshlrev_b32_e32 v15, 2, v15
	v_and_b32_e32 v17, 3, v14
	v_or_b32_e32 v4, v4, v14
	v_or3_b32 v1, v15, v1, v17
	v_cmp_ne_u32_e32 vcc_lo, 0, v4
	v_cndmask_b32_e32 v64, 0, v1, vcc_lo
.LBB4_9508:                             ;   in Loop: Header=BB4_9403 Depth=3
	s_or_b32 exec_lo, exec_lo, s23
.LBB4_9509:                             ;   in Loop: Header=BB4_9403 Depth=3
	s_or_b32 exec_lo, exec_lo, s22
	flat_load_ubyte v1, v[8:9] offset:224 slc
	s_mov_b32 s16, 0
	s_mov_b32 s22, exec_lo
	s_waitcnt vmcnt(0) lgkmcnt(0)
	v_cmpx_lt_i16_e32 0x7f, v1
	s_xor_b32 s22, exec_lo, s22
	s_cbranch_execz .LBB4_9967
; %bb.9510:                             ;   in Loop: Header=BB4_9403 Depth=3
	s_mov_b32 s16, -1
	s_mov_b32 s23, exec_lo
	v_cmpx_eq_u16_e32 0x80, v1
; %bb.9511:                             ;   in Loop: Header=BB4_9403 Depth=3
	s_xor_b32 s16, exec_lo, -1
; %bb.9512:                             ;   in Loop: Header=BB4_9403 Depth=3
	s_or_b32 exec_lo, exec_lo, s23
	s_and_b32 s16, s16, exec_lo
	s_or_saveexec_b32 s22, s22
	v_mov_b32_e32 v4, 0x7f800001
	s_xor_b32 exec_lo, exec_lo, s22
	s_cbranch_execnz .LBB4_9968
.LBB4_9513:                             ;   in Loop: Header=BB4_9403 Depth=3
	s_or_b32 exec_lo, exec_lo, s22
	s_and_saveexec_b32 s22, s16
	s_cbranch_execz .LBB4_9515
.LBB4_9514:                             ;   in Loop: Header=BB4_9403 Depth=3
	v_and_b32_e32 v4, 0xffff, v1
	v_lshlrev_b32_e32 v1, 24, v1
	v_and_b32_e32 v14, 3, v4
	v_bfe_u32 v18, v4, 2, 5
	v_and_b32_e32 v1, 0x80000000, v1
	v_ffbh_u32_e32 v15, v14
	v_cmp_eq_u32_e32 vcc_lo, 0, v18
	v_min_u32_e32 v15, 32, v15
	v_subrev_nc_u32_e32 v17, 29, v15
	v_sub_nc_u32_e32 v15, 30, v15
	v_lshlrev_b32_e32 v4, v17, v4
	v_cndmask_b32_e32 v15, v18, v15, vcc_lo
	v_and_b32_e32 v4, 3, v4
	v_cndmask_b32_e32 v4, v14, v4, vcc_lo
	v_lshl_add_u32 v14, v15, 23, 0x37800000
	v_lshlrev_b32_e32 v4, 21, v4
	v_or3_b32 v4, v1, v14, v4
.LBB4_9515:                             ;   in Loop: Header=BB4_9403 Depth=3
	s_or_b32 exec_lo, exec_lo, s22
	v_mul_f32_e32 v1, v5, v4
	v_mov_b32_e32 v54, 0x80
	s_mov_b32 s22, exec_lo
	v_and_b32_e32 v4, 0x7f800000, v1
	v_cmpx_ne_u32_e32 0x7f800000, v4
	s_cbranch_execz .LBB4_9523
; %bb.9516:                             ;   in Loop: Header=BB4_9403 Depth=3
	v_mov_b32_e32 v54, 0
	s_mov_b32 s23, exec_lo
	v_cmpx_ne_u32_e32 0, v1
	s_cbranch_execz .LBB4_9522
; %bb.9517:                             ;   in Loop: Header=BB4_9403 Depth=3
	v_bfe_u32 v4, v1, 23, 8
	v_and_b32_e32 v14, 0x7fffff, v1
	v_sub_nc_u32_e32 v15, 0x70, v4
	v_cmp_gt_u32_e32 vcc_lo, 0x71, v4
	v_or_b32_e32 v17, 0x800000, v14
	v_cndmask_b32_e32 v15, 0, v15, vcc_lo
	v_cmp_eq_u32_e32 vcc_lo, 0, v4
	v_add_nc_u32_e32 v4, 0xffffff91, v4
	v_cndmask_b32_e64 v15, v15, 0x6f, vcc_lo
	v_cndmask_b32_e32 v14, v17, v14, vcc_lo
	v_cndmask_b32_e64 v4, v4, 0xffffff92, vcc_lo
	v_lshl_add_u32 v17, 0x200000, v15, -1
	v_lshrrev_b32_e32 v18, v15, v14
	v_lshlrev_b32_e64 v20, v15, 0x100000
	v_add_nc_u32_e32 v15, v15, v4
	v_and_b32_e32 v14, v17, v14
	v_bfe_u32 v19, v18, 21, 1
	v_cmp_eq_u32_e64 s16, v14, v20
	v_add_nc_u32_e32 v17, -1, v19
	v_cndmask_b32_e64 v14, 0, v17, s16
	v_lshrrev_b32_e32 v17, 23, v18
	s_mov_b32 s16, exec_lo
	v_add_nc_u32_e32 v14, v14, v18
	v_xor_b32_e32 v17, 1, v17
	v_and_b32_e32 v4, 0x1fffff, v14
	v_add_nc_u32_e32 v14, v4, v18
                                        ; implicit-def: $vgpr4
	v_cmpx_ne_u32_e64 v15, v17
	s_xor_b32 s16, exec_lo, s16
; %bb.9518:                             ;   in Loop: Header=BB4_9403 Depth=3
	v_cmp_lt_u32_e32 vcc_lo, 0xffffff, v14
	v_sub_nc_u32_e32 v4, v15, v17
	v_cndmask_b32_e64 v15, 0, 1, vcc_lo
	v_add_co_ci_u32_e64 v4, null, 0, v4, vcc_lo
	v_lshrrev_b32_e32 v14, v15, v14
; %bb.9519:                             ;   in Loop: Header=BB4_9403 Depth=3
	s_andn2_saveexec_b32 s16, s16
; %bb.9520:                             ;   in Loop: Header=BB4_9403 Depth=3
	v_bfe_u32 v4, v14, 23, 1
; %bb.9521:                             ;   in Loop: Header=BB4_9403 Depth=3
	s_or_b32 exec_lo, exec_lo, s16
	v_lshrrev_b32_e32 v14, 21, v14
	v_cmp_gt_i32_e32 vcc_lo, 32, v4
	v_min_i32_e32 v15, 31, v4
	v_and_b32_sdwa v1, v1, v101 dst_sel:DWORD dst_unused:UNUSED_PAD src0_sel:BYTE_3 src1_sel:DWORD
	v_cndmask_b32_e32 v14, 3, v14, vcc_lo
	v_lshlrev_b32_e32 v15, 2, v15
	v_and_b32_e32 v17, 3, v14
	v_or_b32_e32 v4, v4, v14
	v_or3_b32 v1, v15, v1, v17
	v_cmp_ne_u32_e32 vcc_lo, 0, v4
	v_cndmask_b32_e32 v54, 0, v1, vcc_lo
.LBB4_9522:                             ;   in Loop: Header=BB4_9403 Depth=3
	s_or_b32 exec_lo, exec_lo, s23
.LBB4_9523:                             ;   in Loop: Header=BB4_9403 Depth=3
	s_or_b32 exec_lo, exec_lo, s22
	flat_load_ubyte v1, v[8:9] offset:256 slc
	s_mov_b32 s16, 0
	s_mov_b32 s22, exec_lo
	s_waitcnt vmcnt(0) lgkmcnt(0)
	v_cmpx_lt_i16_e32 0x7f, v1
	s_xor_b32 s22, exec_lo, s22
	s_cbranch_execz .LBB4_9969
; %bb.9524:                             ;   in Loop: Header=BB4_9403 Depth=3
	s_mov_b32 s16, -1
	s_mov_b32 s23, exec_lo
	v_cmpx_eq_u16_e32 0x80, v1
; %bb.9525:                             ;   in Loop: Header=BB4_9403 Depth=3
	s_xor_b32 s16, exec_lo, -1
; %bb.9526:                             ;   in Loop: Header=BB4_9403 Depth=3
	s_or_b32 exec_lo, exec_lo, s23
	s_and_b32 s16, s16, exec_lo
	s_or_saveexec_b32 s22, s22
	v_mov_b32_e32 v4, 0x7f800001
	s_xor_b32 exec_lo, exec_lo, s22
	s_cbranch_execnz .LBB4_9970
.LBB4_9527:                             ;   in Loop: Header=BB4_9403 Depth=3
	s_or_b32 exec_lo, exec_lo, s22
	s_and_saveexec_b32 s22, s16
	s_cbranch_execz .LBB4_9529
.LBB4_9528:                             ;   in Loop: Header=BB4_9403 Depth=3
	v_and_b32_e32 v4, 0xffff, v1
	v_lshlrev_b32_e32 v1, 24, v1
	v_and_b32_e32 v14, 3, v4
	v_bfe_u32 v18, v4, 2, 5
	v_and_b32_e32 v1, 0x80000000, v1
	v_ffbh_u32_e32 v15, v14
	v_cmp_eq_u32_e32 vcc_lo, 0, v18
	v_min_u32_e32 v15, 32, v15
	v_subrev_nc_u32_e32 v17, 29, v15
	v_sub_nc_u32_e32 v15, 30, v15
	v_lshlrev_b32_e32 v4, v17, v4
	v_cndmask_b32_e32 v15, v18, v15, vcc_lo
	v_and_b32_e32 v4, 3, v4
	v_cndmask_b32_e32 v4, v14, v4, vcc_lo
	v_lshl_add_u32 v14, v15, 23, 0x37800000
	v_lshlrev_b32_e32 v4, 21, v4
	v_or3_b32 v4, v1, v14, v4
.LBB4_9529:                             ;   in Loop: Header=BB4_9403 Depth=3
	s_or_b32 exec_lo, exec_lo, s22
	v_mul_f32_e32 v1, v5, v4
	v_mov_b32_e32 v37, 0x80
	s_mov_b32 s22, exec_lo
	v_and_b32_e32 v4, 0x7f800000, v1
	v_cmpx_ne_u32_e32 0x7f800000, v4
	s_cbranch_execz .LBB4_9537
; %bb.9530:                             ;   in Loop: Header=BB4_9403 Depth=3
	v_mov_b32_e32 v37, 0
	s_mov_b32 s23, exec_lo
	v_cmpx_ne_u32_e32 0, v1
	s_cbranch_execz .LBB4_9536
; %bb.9531:                             ;   in Loop: Header=BB4_9403 Depth=3
	v_bfe_u32 v4, v1, 23, 8
	v_and_b32_e32 v14, 0x7fffff, v1
	v_sub_nc_u32_e32 v15, 0x70, v4
	v_cmp_gt_u32_e32 vcc_lo, 0x71, v4
	v_or_b32_e32 v17, 0x800000, v14
	v_cndmask_b32_e32 v15, 0, v15, vcc_lo
	v_cmp_eq_u32_e32 vcc_lo, 0, v4
	v_add_nc_u32_e32 v4, 0xffffff91, v4
	v_cndmask_b32_e64 v15, v15, 0x6f, vcc_lo
	v_cndmask_b32_e32 v14, v17, v14, vcc_lo
	v_cndmask_b32_e64 v4, v4, 0xffffff92, vcc_lo
	v_lshl_add_u32 v17, 0x200000, v15, -1
	v_lshrrev_b32_e32 v18, v15, v14
	v_lshlrev_b32_e64 v20, v15, 0x100000
	v_add_nc_u32_e32 v15, v15, v4
	v_and_b32_e32 v14, v17, v14
	v_bfe_u32 v19, v18, 21, 1
	v_cmp_eq_u32_e64 s16, v14, v20
	v_add_nc_u32_e32 v17, -1, v19
	v_cndmask_b32_e64 v14, 0, v17, s16
	v_lshrrev_b32_e32 v17, 23, v18
	s_mov_b32 s16, exec_lo
	v_add_nc_u32_e32 v14, v14, v18
	v_xor_b32_e32 v17, 1, v17
	v_and_b32_e32 v4, 0x1fffff, v14
	v_add_nc_u32_e32 v14, v4, v18
                                        ; implicit-def: $vgpr4
	v_cmpx_ne_u32_e64 v15, v17
	s_xor_b32 s16, exec_lo, s16
; %bb.9532:                             ;   in Loop: Header=BB4_9403 Depth=3
	v_cmp_lt_u32_e32 vcc_lo, 0xffffff, v14
	v_sub_nc_u32_e32 v4, v15, v17
	v_cndmask_b32_e64 v15, 0, 1, vcc_lo
	v_add_co_ci_u32_e64 v4, null, 0, v4, vcc_lo
	v_lshrrev_b32_e32 v14, v15, v14
; %bb.9533:                             ;   in Loop: Header=BB4_9403 Depth=3
	s_andn2_saveexec_b32 s16, s16
; %bb.9534:                             ;   in Loop: Header=BB4_9403 Depth=3
	v_bfe_u32 v4, v14, 23, 1
; %bb.9535:                             ;   in Loop: Header=BB4_9403 Depth=3
	s_or_b32 exec_lo, exec_lo, s16
	v_lshrrev_b32_e32 v14, 21, v14
	v_cmp_gt_i32_e32 vcc_lo, 32, v4
	v_min_i32_e32 v15, 31, v4
	v_and_b32_sdwa v1, v1, v101 dst_sel:DWORD dst_unused:UNUSED_PAD src0_sel:BYTE_3 src1_sel:DWORD
	v_cndmask_b32_e32 v14, 3, v14, vcc_lo
	v_lshlrev_b32_e32 v15, 2, v15
	v_and_b32_e32 v17, 3, v14
	v_or_b32_e32 v4, v4, v14
	v_or3_b32 v1, v15, v1, v17
	v_cmp_ne_u32_e32 vcc_lo, 0, v4
	v_cndmask_b32_e32 v37, 0, v1, vcc_lo
.LBB4_9536:                             ;   in Loop: Header=BB4_9403 Depth=3
	s_or_b32 exec_lo, exec_lo, s23
.LBB4_9537:                             ;   in Loop: Header=BB4_9403 Depth=3
	s_or_b32 exec_lo, exec_lo, s22
	flat_load_ubyte v1, v[8:9] offset:288 slc
	s_mov_b32 s16, 0
	s_mov_b32 s22, exec_lo
	s_waitcnt vmcnt(0) lgkmcnt(0)
	v_cmpx_lt_i16_e32 0x7f, v1
	s_xor_b32 s22, exec_lo, s22
	s_cbranch_execz .LBB4_9971
; %bb.9538:                             ;   in Loop: Header=BB4_9403 Depth=3
	s_mov_b32 s16, -1
	s_mov_b32 s23, exec_lo
	v_cmpx_eq_u16_e32 0x80, v1
; %bb.9539:                             ;   in Loop: Header=BB4_9403 Depth=3
	s_xor_b32 s16, exec_lo, -1
; %bb.9540:                             ;   in Loop: Header=BB4_9403 Depth=3
	s_or_b32 exec_lo, exec_lo, s23
	s_and_b32 s16, s16, exec_lo
	s_or_saveexec_b32 s22, s22
	v_mov_b32_e32 v4, 0x7f800001
	s_xor_b32 exec_lo, exec_lo, s22
	s_cbranch_execnz .LBB4_9972
.LBB4_9541:                             ;   in Loop: Header=BB4_9403 Depth=3
	s_or_b32 exec_lo, exec_lo, s22
	s_and_saveexec_b32 s22, s16
	s_cbranch_execz .LBB4_9543
.LBB4_9542:                             ;   in Loop: Header=BB4_9403 Depth=3
	v_and_b32_e32 v4, 0xffff, v1
	v_lshlrev_b32_e32 v1, 24, v1
	v_and_b32_e32 v14, 3, v4
	v_bfe_u32 v18, v4, 2, 5
	v_and_b32_e32 v1, 0x80000000, v1
	v_ffbh_u32_e32 v15, v14
	v_cmp_eq_u32_e32 vcc_lo, 0, v18
	v_min_u32_e32 v15, 32, v15
	v_subrev_nc_u32_e32 v17, 29, v15
	v_sub_nc_u32_e32 v15, 30, v15
	v_lshlrev_b32_e32 v4, v17, v4
	v_cndmask_b32_e32 v15, v18, v15, vcc_lo
	v_and_b32_e32 v4, 3, v4
	v_cndmask_b32_e32 v4, v14, v4, vcc_lo
	v_lshl_add_u32 v14, v15, 23, 0x37800000
	v_lshlrev_b32_e32 v4, 21, v4
	v_or3_b32 v4, v1, v14, v4
.LBB4_9543:                             ;   in Loop: Header=BB4_9403 Depth=3
	s_or_b32 exec_lo, exec_lo, s22
	v_mul_f32_e32 v1, v5, v4
	v_and_b32_e32 v4, 0x7f800000, v1
	v_cmp_ne_u32_e32 vcc_lo, 0x7f800000, v4
	v_mov_b32_e32 v4, 0x80
	s_and_saveexec_b32 s22, vcc_lo
	s_cbranch_execz .LBB4_9551
; %bb.9544:                             ;   in Loop: Header=BB4_9403 Depth=3
	v_mov_b32_e32 v4, 0
	s_mov_b32 s23, exec_lo
	v_cmpx_ne_u32_e32 0, v1
	s_cbranch_execz .LBB4_9550
; %bb.9545:                             ;   in Loop: Header=BB4_9403 Depth=3
	v_bfe_u32 v4, v1, 23, 8
	v_and_b32_e32 v14, 0x7fffff, v1
	v_sub_nc_u32_e32 v15, 0x70, v4
	v_cmp_gt_u32_e32 vcc_lo, 0x71, v4
	v_or_b32_e32 v17, 0x800000, v14
	v_cndmask_b32_e32 v15, 0, v15, vcc_lo
	v_cmp_eq_u32_e32 vcc_lo, 0, v4
	v_add_nc_u32_e32 v4, 0xffffff91, v4
	v_cndmask_b32_e64 v15, v15, 0x6f, vcc_lo
	v_cndmask_b32_e32 v14, v17, v14, vcc_lo
	v_cndmask_b32_e64 v4, v4, 0xffffff92, vcc_lo
	v_lshl_add_u32 v17, 0x200000, v15, -1
	v_lshrrev_b32_e32 v18, v15, v14
	v_lshlrev_b32_e64 v20, v15, 0x100000
	v_add_nc_u32_e32 v15, v15, v4
	v_and_b32_e32 v14, v17, v14
	v_bfe_u32 v19, v18, 21, 1
	v_cmp_eq_u32_e64 s16, v14, v20
	v_add_nc_u32_e32 v17, -1, v19
	v_cndmask_b32_e64 v14, 0, v17, s16
	v_lshrrev_b32_e32 v17, 23, v18
	s_mov_b32 s16, exec_lo
	v_add_nc_u32_e32 v14, v14, v18
	v_xor_b32_e32 v17, 1, v17
	v_and_b32_e32 v4, 0x1fffff, v14
	v_add_nc_u32_e32 v14, v4, v18
                                        ; implicit-def: $vgpr4
	v_cmpx_ne_u32_e64 v15, v17
	s_xor_b32 s16, exec_lo, s16
; %bb.9546:                             ;   in Loop: Header=BB4_9403 Depth=3
	v_cmp_lt_u32_e32 vcc_lo, 0xffffff, v14
	v_sub_nc_u32_e32 v4, v15, v17
	v_cndmask_b32_e64 v15, 0, 1, vcc_lo
	v_add_co_ci_u32_e64 v4, null, 0, v4, vcc_lo
	v_lshrrev_b32_e32 v14, v15, v14
; %bb.9547:                             ;   in Loop: Header=BB4_9403 Depth=3
	s_andn2_saveexec_b32 s16, s16
; %bb.9548:                             ;   in Loop: Header=BB4_9403 Depth=3
	v_bfe_u32 v4, v14, 23, 1
; %bb.9549:                             ;   in Loop: Header=BB4_9403 Depth=3
	s_or_b32 exec_lo, exec_lo, s16
	v_lshrrev_b32_e32 v14, 21, v14
	v_cmp_gt_i32_e32 vcc_lo, 32, v4
	v_min_i32_e32 v15, 31, v4
	v_and_b32_sdwa v1, v1, v101 dst_sel:DWORD dst_unused:UNUSED_PAD src0_sel:BYTE_3 src1_sel:DWORD
	v_cndmask_b32_e32 v14, 3, v14, vcc_lo
	v_lshlrev_b32_e32 v15, 2, v15
	v_and_b32_e32 v17, 3, v14
	v_or_b32_e32 v4, v4, v14
	v_or3_b32 v1, v15, v1, v17
	v_cmp_ne_u32_e32 vcc_lo, 0, v4
	v_cndmask_b32_e32 v4, 0, v1, vcc_lo
.LBB4_9550:                             ;   in Loop: Header=BB4_9403 Depth=3
	s_or_b32 exec_lo, exec_lo, s23
.LBB4_9551:                             ;   in Loop: Header=BB4_9403 Depth=3
	s_or_b32 exec_lo, exec_lo, s22
	flat_load_ubyte v1, v[8:9] offset:320 slc
	s_mov_b32 s16, 0
	s_mov_b32 s22, exec_lo
	s_waitcnt vmcnt(0) lgkmcnt(0)
	v_cmpx_lt_i16_e32 0x7f, v1
	s_xor_b32 s22, exec_lo, s22
	s_cbranch_execz .LBB4_9973
; %bb.9552:                             ;   in Loop: Header=BB4_9403 Depth=3
	s_mov_b32 s16, -1
	s_mov_b32 s23, exec_lo
	v_cmpx_eq_u16_e32 0x80, v1
; %bb.9553:                             ;   in Loop: Header=BB4_9403 Depth=3
	s_xor_b32 s16, exec_lo, -1
; %bb.9554:                             ;   in Loop: Header=BB4_9403 Depth=3
	s_or_b32 exec_lo, exec_lo, s23
	s_and_b32 s16, s16, exec_lo
	s_or_saveexec_b32 s22, s22
	v_mov_b32_e32 v14, 0x7f800001
	s_xor_b32 exec_lo, exec_lo, s22
	s_cbranch_execnz .LBB4_9974
.LBB4_9555:                             ;   in Loop: Header=BB4_9403 Depth=3
	s_or_b32 exec_lo, exec_lo, s22
	s_and_saveexec_b32 s22, s16
	s_cbranch_execz .LBB4_9557
.LBB4_9556:                             ;   in Loop: Header=BB4_9403 Depth=3
	v_and_b32_e32 v14, 0xffff, v1
	v_lshlrev_b32_e32 v1, 24, v1
	v_and_b32_e32 v15, 3, v14
	v_bfe_u32 v19, v14, 2, 5
	v_and_b32_e32 v1, 0x80000000, v1
	v_ffbh_u32_e32 v17, v15
	v_cmp_eq_u32_e32 vcc_lo, 0, v19
	v_min_u32_e32 v17, 32, v17
	v_subrev_nc_u32_e32 v18, 29, v17
	v_sub_nc_u32_e32 v17, 30, v17
	v_lshlrev_b32_e32 v14, v18, v14
	v_cndmask_b32_e32 v17, v19, v17, vcc_lo
	v_and_b32_e32 v14, 3, v14
	v_cndmask_b32_e32 v14, v15, v14, vcc_lo
	v_lshl_add_u32 v15, v17, 23, 0x37800000
	v_lshlrev_b32_e32 v14, 21, v14
	v_or3_b32 v14, v1, v15, v14
.LBB4_9557:                             ;   in Loop: Header=BB4_9403 Depth=3
	s_or_b32 exec_lo, exec_lo, s22
	v_mul_f32_e32 v1, v5, v14
	v_mov_b32_e32 v36, 0x80
	s_mov_b32 s22, exec_lo
	v_and_b32_e32 v14, 0x7f800000, v1
	v_cmpx_ne_u32_e32 0x7f800000, v14
	s_cbranch_execz .LBB4_9565
; %bb.9558:                             ;   in Loop: Header=BB4_9403 Depth=3
	v_mov_b32_e32 v36, 0
	s_mov_b32 s23, exec_lo
	v_cmpx_ne_u32_e32 0, v1
	s_cbranch_execz .LBB4_9564
; %bb.9559:                             ;   in Loop: Header=BB4_9403 Depth=3
	v_bfe_u32 v14, v1, 23, 8
	v_and_b32_e32 v15, 0x7fffff, v1
	v_sub_nc_u32_e32 v17, 0x70, v14
	v_cmp_gt_u32_e32 vcc_lo, 0x71, v14
	v_or_b32_e32 v18, 0x800000, v15
	v_cndmask_b32_e32 v17, 0, v17, vcc_lo
	v_cmp_eq_u32_e32 vcc_lo, 0, v14
	v_add_nc_u32_e32 v14, 0xffffff91, v14
	v_cndmask_b32_e64 v17, v17, 0x6f, vcc_lo
	v_cndmask_b32_e32 v15, v18, v15, vcc_lo
	v_cndmask_b32_e64 v14, v14, 0xffffff92, vcc_lo
	v_lshl_add_u32 v18, 0x200000, v17, -1
	v_lshrrev_b32_e32 v19, v17, v15
	v_lshlrev_b32_e64 v21, v17, 0x100000
	v_add_nc_u32_e32 v17, v17, v14
	v_and_b32_e32 v15, v18, v15
	v_bfe_u32 v20, v19, 21, 1
	v_cmp_eq_u32_e64 s16, v15, v21
	v_add_nc_u32_e32 v18, -1, v20
	v_cndmask_b32_e64 v15, 0, v18, s16
	v_lshrrev_b32_e32 v18, 23, v19
	s_mov_b32 s16, exec_lo
	v_add_nc_u32_e32 v15, v15, v19
	v_xor_b32_e32 v18, 1, v18
	v_and_b32_e32 v14, 0x1fffff, v15
	v_add_nc_u32_e32 v15, v14, v19
                                        ; implicit-def: $vgpr14
	v_cmpx_ne_u32_e64 v17, v18
	s_xor_b32 s16, exec_lo, s16
; %bb.9560:                             ;   in Loop: Header=BB4_9403 Depth=3
	v_cmp_lt_u32_e32 vcc_lo, 0xffffff, v15
	v_sub_nc_u32_e32 v14, v17, v18
	v_cndmask_b32_e64 v17, 0, 1, vcc_lo
	v_add_co_ci_u32_e64 v14, null, 0, v14, vcc_lo
	v_lshrrev_b32_e32 v15, v17, v15
; %bb.9561:                             ;   in Loop: Header=BB4_9403 Depth=3
	s_andn2_saveexec_b32 s16, s16
; %bb.9562:                             ;   in Loop: Header=BB4_9403 Depth=3
	v_bfe_u32 v14, v15, 23, 1
; %bb.9563:                             ;   in Loop: Header=BB4_9403 Depth=3
	s_or_b32 exec_lo, exec_lo, s16
	v_lshrrev_b32_e32 v15, 21, v15
	v_cmp_gt_i32_e32 vcc_lo, 32, v14
	v_min_i32_e32 v17, 31, v14
	v_and_b32_sdwa v1, v1, v101 dst_sel:DWORD dst_unused:UNUSED_PAD src0_sel:BYTE_3 src1_sel:DWORD
	v_cndmask_b32_e32 v15, 3, v15, vcc_lo
	v_lshlrev_b32_e32 v17, 2, v17
	v_and_b32_e32 v18, 3, v15
	v_or_b32_e32 v14, v14, v15
	v_or3_b32 v1, v17, v1, v18
	v_cmp_ne_u32_e32 vcc_lo, 0, v14
	v_cndmask_b32_e32 v36, 0, v1, vcc_lo
.LBB4_9564:                             ;   in Loop: Header=BB4_9403 Depth=3
	s_or_b32 exec_lo, exec_lo, s23
.LBB4_9565:                             ;   in Loop: Header=BB4_9403 Depth=3
	s_or_b32 exec_lo, exec_lo, s22
	flat_load_ubyte v1, v[8:9] offset:352 slc
	s_mov_b32 s16, 0
	s_mov_b32 s22, exec_lo
	s_waitcnt vmcnt(0) lgkmcnt(0)
	v_cmpx_lt_i16_e32 0x7f, v1
	s_xor_b32 s22, exec_lo, s22
	s_cbranch_execz .LBB4_9975
; %bb.9566:                             ;   in Loop: Header=BB4_9403 Depth=3
	s_mov_b32 s16, -1
	s_mov_b32 s23, exec_lo
	v_cmpx_eq_u16_e32 0x80, v1
; %bb.9567:                             ;   in Loop: Header=BB4_9403 Depth=3
	s_xor_b32 s16, exec_lo, -1
; %bb.9568:                             ;   in Loop: Header=BB4_9403 Depth=3
	s_or_b32 exec_lo, exec_lo, s23
	s_and_b32 s16, s16, exec_lo
	s_or_saveexec_b32 s22, s22
	v_mov_b32_e32 v14, 0x7f800001
	s_xor_b32 exec_lo, exec_lo, s22
	s_cbranch_execnz .LBB4_9976
.LBB4_9569:                             ;   in Loop: Header=BB4_9403 Depth=3
	s_or_b32 exec_lo, exec_lo, s22
	s_and_saveexec_b32 s22, s16
	s_cbranch_execz .LBB4_9571
.LBB4_9570:                             ;   in Loop: Header=BB4_9403 Depth=3
	v_and_b32_e32 v14, 0xffff, v1
	v_lshlrev_b32_e32 v1, 24, v1
	v_and_b32_e32 v15, 3, v14
	v_bfe_u32 v19, v14, 2, 5
	v_and_b32_e32 v1, 0x80000000, v1
	v_ffbh_u32_e32 v17, v15
	v_cmp_eq_u32_e32 vcc_lo, 0, v19
	v_min_u32_e32 v17, 32, v17
	v_subrev_nc_u32_e32 v18, 29, v17
	v_sub_nc_u32_e32 v17, 30, v17
	v_lshlrev_b32_e32 v14, v18, v14
	v_cndmask_b32_e32 v17, v19, v17, vcc_lo
	v_and_b32_e32 v14, 3, v14
	v_cndmask_b32_e32 v14, v15, v14, vcc_lo
	v_lshl_add_u32 v15, v17, 23, 0x37800000
	v_lshlrev_b32_e32 v14, 21, v14
	v_or3_b32 v14, v1, v15, v14
.LBB4_9571:                             ;   in Loop: Header=BB4_9403 Depth=3
	s_or_b32 exec_lo, exec_lo, s22
	v_mul_f32_e32 v1, v5, v14
	v_mov_b32_e32 v21, 0x80
	s_mov_b32 s22, exec_lo
	v_and_b32_e32 v14, 0x7f800000, v1
	v_cmpx_ne_u32_e32 0x7f800000, v14
	s_cbranch_execz .LBB4_9579
; %bb.9572:                             ;   in Loop: Header=BB4_9403 Depth=3
	v_mov_b32_e32 v21, 0
	s_mov_b32 s23, exec_lo
	v_cmpx_ne_u32_e32 0, v1
	s_cbranch_execz .LBB4_9578
; %bb.9573:                             ;   in Loop: Header=BB4_9403 Depth=3
	v_bfe_u32 v14, v1, 23, 8
	v_and_b32_e32 v15, 0x7fffff, v1
	v_sub_nc_u32_e32 v17, 0x70, v14
	v_cmp_gt_u32_e32 vcc_lo, 0x71, v14
	v_or_b32_e32 v18, 0x800000, v15
	v_cndmask_b32_e32 v17, 0, v17, vcc_lo
	v_cmp_eq_u32_e32 vcc_lo, 0, v14
	v_add_nc_u32_e32 v14, 0xffffff91, v14
	v_cndmask_b32_e64 v17, v17, 0x6f, vcc_lo
	v_cndmask_b32_e32 v15, v18, v15, vcc_lo
	v_cndmask_b32_e64 v14, v14, 0xffffff92, vcc_lo
	v_lshl_add_u32 v18, 0x200000, v17, -1
	v_lshrrev_b32_e32 v19, v17, v15
	v_lshlrev_b32_e64 v21, v17, 0x100000
	v_add_nc_u32_e32 v17, v17, v14
	v_and_b32_e32 v15, v18, v15
	v_bfe_u32 v20, v19, 21, 1
	v_cmp_eq_u32_e64 s16, v15, v21
	v_add_nc_u32_e32 v18, -1, v20
	v_cndmask_b32_e64 v15, 0, v18, s16
	v_lshrrev_b32_e32 v18, 23, v19
	s_mov_b32 s16, exec_lo
	v_add_nc_u32_e32 v15, v15, v19
	v_xor_b32_e32 v18, 1, v18
	v_and_b32_e32 v14, 0x1fffff, v15
	v_add_nc_u32_e32 v15, v14, v19
                                        ; implicit-def: $vgpr14
	v_cmpx_ne_u32_e64 v17, v18
	s_xor_b32 s16, exec_lo, s16
; %bb.9574:                             ;   in Loop: Header=BB4_9403 Depth=3
	v_cmp_lt_u32_e32 vcc_lo, 0xffffff, v15
	v_sub_nc_u32_e32 v14, v17, v18
	v_cndmask_b32_e64 v17, 0, 1, vcc_lo
	v_add_co_ci_u32_e64 v14, null, 0, v14, vcc_lo
	v_lshrrev_b32_e32 v15, v17, v15
; %bb.9575:                             ;   in Loop: Header=BB4_9403 Depth=3
	s_andn2_saveexec_b32 s16, s16
; %bb.9576:                             ;   in Loop: Header=BB4_9403 Depth=3
	v_bfe_u32 v14, v15, 23, 1
; %bb.9577:                             ;   in Loop: Header=BB4_9403 Depth=3
	s_or_b32 exec_lo, exec_lo, s16
	v_lshrrev_b32_e32 v15, 21, v15
	v_cmp_gt_i32_e32 vcc_lo, 32, v14
	v_min_i32_e32 v17, 31, v14
	v_and_b32_sdwa v1, v1, v101 dst_sel:DWORD dst_unused:UNUSED_PAD src0_sel:BYTE_3 src1_sel:DWORD
	v_cndmask_b32_e32 v15, 3, v15, vcc_lo
	v_lshlrev_b32_e32 v17, 2, v17
	v_and_b32_e32 v18, 3, v15
	v_or_b32_e32 v14, v14, v15
	v_or3_b32 v1, v17, v1, v18
	v_cmp_ne_u32_e32 vcc_lo, 0, v14
	v_cndmask_b32_e32 v21, 0, v1, vcc_lo
.LBB4_9578:                             ;   in Loop: Header=BB4_9403 Depth=3
	s_or_b32 exec_lo, exec_lo, s23
.LBB4_9579:                             ;   in Loop: Header=BB4_9403 Depth=3
	s_or_b32 exec_lo, exec_lo, s22
	flat_load_ubyte v1, v[8:9] offset:384 slc
	s_mov_b32 s16, 0
	s_mov_b32 s22, exec_lo
	s_waitcnt vmcnt(0) lgkmcnt(0)
	v_cmpx_lt_i16_e32 0x7f, v1
	s_xor_b32 s22, exec_lo, s22
	s_cbranch_execz .LBB4_9977
; %bb.9580:                             ;   in Loop: Header=BB4_9403 Depth=3
	s_mov_b32 s16, -1
	s_mov_b32 s23, exec_lo
	v_cmpx_eq_u16_e32 0x80, v1
; %bb.9581:                             ;   in Loop: Header=BB4_9403 Depth=3
	s_xor_b32 s16, exec_lo, -1
; %bb.9582:                             ;   in Loop: Header=BB4_9403 Depth=3
	s_or_b32 exec_lo, exec_lo, s23
	s_and_b32 s16, s16, exec_lo
	s_or_saveexec_b32 s22, s22
	v_mov_b32_e32 v14, 0x7f800001
	s_xor_b32 exec_lo, exec_lo, s22
	s_cbranch_execnz .LBB4_9978
.LBB4_9583:                             ;   in Loop: Header=BB4_9403 Depth=3
	s_or_b32 exec_lo, exec_lo, s22
	s_and_saveexec_b32 s22, s16
	s_cbranch_execz .LBB4_9585
.LBB4_9584:                             ;   in Loop: Header=BB4_9403 Depth=3
	v_and_b32_e32 v14, 0xffff, v1
	v_lshlrev_b32_e32 v1, 24, v1
	v_and_b32_e32 v15, 3, v14
	v_bfe_u32 v19, v14, 2, 5
	v_and_b32_e32 v1, 0x80000000, v1
	v_ffbh_u32_e32 v17, v15
	v_cmp_eq_u32_e32 vcc_lo, 0, v19
	v_min_u32_e32 v17, 32, v17
	v_subrev_nc_u32_e32 v18, 29, v17
	v_sub_nc_u32_e32 v17, 30, v17
	v_lshlrev_b32_e32 v14, v18, v14
	v_cndmask_b32_e32 v17, v19, v17, vcc_lo
	v_and_b32_e32 v14, 3, v14
	v_cndmask_b32_e32 v14, v15, v14, vcc_lo
	v_lshl_add_u32 v15, v17, 23, 0x37800000
	v_lshlrev_b32_e32 v14, 21, v14
	v_or3_b32 v14, v1, v15, v14
.LBB4_9585:                             ;   in Loop: Header=BB4_9403 Depth=3
	s_or_b32 exec_lo, exec_lo, s22
	v_mul_f32_e32 v1, v5, v14
	v_mov_b32_e32 v20, 0x80
	s_mov_b32 s22, exec_lo
	v_and_b32_e32 v14, 0x7f800000, v1
	v_cmpx_ne_u32_e32 0x7f800000, v14
	s_cbranch_execz .LBB4_9593
; %bb.9586:                             ;   in Loop: Header=BB4_9403 Depth=3
	v_mov_b32_e32 v20, 0
	s_mov_b32 s23, exec_lo
	v_cmpx_ne_u32_e32 0, v1
	s_cbranch_execz .LBB4_9592
; %bb.9587:                             ;   in Loop: Header=BB4_9403 Depth=3
	v_bfe_u32 v14, v1, 23, 8
	v_and_b32_e32 v15, 0x7fffff, v1
	v_sub_nc_u32_e32 v17, 0x70, v14
	v_cmp_gt_u32_e32 vcc_lo, 0x71, v14
	v_or_b32_e32 v18, 0x800000, v15
	v_cndmask_b32_e32 v17, 0, v17, vcc_lo
	v_cmp_eq_u32_e32 vcc_lo, 0, v14
	v_add_nc_u32_e32 v14, 0xffffff91, v14
	v_cndmask_b32_e64 v17, v17, 0x6f, vcc_lo
	v_cndmask_b32_e32 v15, v18, v15, vcc_lo
	v_cndmask_b32_e64 v14, v14, 0xffffff92, vcc_lo
	v_lshl_add_u32 v18, 0x200000, v17, -1
	v_lshrrev_b32_e32 v19, v17, v15
	v_lshlrev_b32_e64 v31, v17, 0x100000
	v_add_nc_u32_e32 v17, v17, v14
	v_and_b32_e32 v15, v18, v15
	v_bfe_u32 v20, v19, 21, 1
	v_cmp_eq_u32_e64 s16, v15, v31
	v_add_nc_u32_e32 v18, -1, v20
	v_cndmask_b32_e64 v15, 0, v18, s16
	v_lshrrev_b32_e32 v18, 23, v19
	s_mov_b32 s16, exec_lo
	v_add_nc_u32_e32 v15, v15, v19
	v_xor_b32_e32 v18, 1, v18
	v_and_b32_e32 v14, 0x1fffff, v15
	v_add_nc_u32_e32 v15, v14, v19
                                        ; implicit-def: $vgpr14
	v_cmpx_ne_u32_e64 v17, v18
	s_xor_b32 s16, exec_lo, s16
; %bb.9588:                             ;   in Loop: Header=BB4_9403 Depth=3
	v_cmp_lt_u32_e32 vcc_lo, 0xffffff, v15
	v_sub_nc_u32_e32 v14, v17, v18
	v_cndmask_b32_e64 v17, 0, 1, vcc_lo
	v_add_co_ci_u32_e64 v14, null, 0, v14, vcc_lo
	v_lshrrev_b32_e32 v15, v17, v15
; %bb.9589:                             ;   in Loop: Header=BB4_9403 Depth=3
	s_andn2_saveexec_b32 s16, s16
; %bb.9590:                             ;   in Loop: Header=BB4_9403 Depth=3
	v_bfe_u32 v14, v15, 23, 1
; %bb.9591:                             ;   in Loop: Header=BB4_9403 Depth=3
	s_or_b32 exec_lo, exec_lo, s16
	v_lshrrev_b32_e32 v15, 21, v15
	v_cmp_gt_i32_e32 vcc_lo, 32, v14
	v_min_i32_e32 v17, 31, v14
	v_and_b32_sdwa v1, v1, v101 dst_sel:DWORD dst_unused:UNUSED_PAD src0_sel:BYTE_3 src1_sel:DWORD
	v_cndmask_b32_e32 v15, 3, v15, vcc_lo
	v_lshlrev_b32_e32 v17, 2, v17
	v_and_b32_e32 v18, 3, v15
	v_or_b32_e32 v14, v14, v15
	v_or3_b32 v1, v17, v1, v18
	v_cmp_ne_u32_e32 vcc_lo, 0, v14
	v_cndmask_b32_e32 v20, 0, v1, vcc_lo
.LBB4_9592:                             ;   in Loop: Header=BB4_9403 Depth=3
	s_or_b32 exec_lo, exec_lo, s23
.LBB4_9593:                             ;   in Loop: Header=BB4_9403 Depth=3
	s_or_b32 exec_lo, exec_lo, s22
	flat_load_ubyte v1, v[8:9] offset:416 slc
	s_mov_b32 s16, 0
	s_mov_b32 s22, exec_lo
	s_waitcnt vmcnt(0) lgkmcnt(0)
	v_cmpx_lt_i16_e32 0x7f, v1
	s_xor_b32 s22, exec_lo, s22
	s_cbranch_execz .LBB4_9979
; %bb.9594:                             ;   in Loop: Header=BB4_9403 Depth=3
	s_mov_b32 s16, -1
	s_mov_b32 s23, exec_lo
	v_cmpx_eq_u16_e32 0x80, v1
; %bb.9595:                             ;   in Loop: Header=BB4_9403 Depth=3
	s_xor_b32 s16, exec_lo, -1
; %bb.9596:                             ;   in Loop: Header=BB4_9403 Depth=3
	s_or_b32 exec_lo, exec_lo, s23
	s_and_b32 s16, s16, exec_lo
	s_or_saveexec_b32 s22, s22
	v_mov_b32_e32 v14, 0x7f800001
	s_xor_b32 exec_lo, exec_lo, s22
	s_cbranch_execnz .LBB4_9980
.LBB4_9597:                             ;   in Loop: Header=BB4_9403 Depth=3
	s_or_b32 exec_lo, exec_lo, s22
	s_and_saveexec_b32 s22, s16
	s_cbranch_execz .LBB4_9599
.LBB4_9598:                             ;   in Loop: Header=BB4_9403 Depth=3
	v_and_b32_e32 v14, 0xffff, v1
	v_lshlrev_b32_e32 v1, 24, v1
	v_and_b32_e32 v15, 3, v14
	v_bfe_u32 v19, v14, 2, 5
	v_and_b32_e32 v1, 0x80000000, v1
	v_ffbh_u32_e32 v17, v15
	v_cmp_eq_u32_e32 vcc_lo, 0, v19
	v_min_u32_e32 v17, 32, v17
	v_subrev_nc_u32_e32 v18, 29, v17
	v_sub_nc_u32_e32 v17, 30, v17
	v_lshlrev_b32_e32 v14, v18, v14
	v_cndmask_b32_e32 v17, v19, v17, vcc_lo
	v_and_b32_e32 v14, 3, v14
	v_cndmask_b32_e32 v14, v15, v14, vcc_lo
	v_lshl_add_u32 v15, v17, 23, 0x37800000
	v_lshlrev_b32_e32 v14, 21, v14
	v_or3_b32 v14, v1, v15, v14
.LBB4_9599:                             ;   in Loop: Header=BB4_9403 Depth=3
	s_or_b32 exec_lo, exec_lo, s22
	v_mul_f32_e32 v1, v5, v14
	v_mov_b32_e32 v18, 0x80
	s_mov_b32 s22, exec_lo
	v_and_b32_e32 v14, 0x7f800000, v1
	v_cmpx_ne_u32_e32 0x7f800000, v14
	s_cbranch_execz .LBB4_9607
; %bb.9600:                             ;   in Loop: Header=BB4_9403 Depth=3
	v_mov_b32_e32 v18, 0
	s_mov_b32 s23, exec_lo
	v_cmpx_ne_u32_e32 0, v1
	s_cbranch_execz .LBB4_9606
; %bb.9601:                             ;   in Loop: Header=BB4_9403 Depth=3
	v_bfe_u32 v14, v1, 23, 8
	v_and_b32_e32 v15, 0x7fffff, v1
	v_sub_nc_u32_e32 v17, 0x70, v14
	v_cmp_gt_u32_e32 vcc_lo, 0x71, v14
	v_or_b32_e32 v18, 0x800000, v15
	v_cndmask_b32_e32 v17, 0, v17, vcc_lo
	v_cmp_eq_u32_e32 vcc_lo, 0, v14
	v_add_nc_u32_e32 v14, 0xffffff91, v14
	v_cndmask_b32_e64 v17, v17, 0x6f, vcc_lo
	v_cndmask_b32_e32 v15, v18, v15, vcc_lo
	v_cndmask_b32_e64 v14, v14, 0xffffff92, vcc_lo
	v_lshl_add_u32 v18, 0x200000, v17, -1
	v_lshrrev_b32_e32 v19, v17, v15
	v_lshlrev_b32_e64 v34, v17, 0x100000
	v_add_nc_u32_e32 v17, v17, v14
	v_and_b32_e32 v15, v18, v15
	v_bfe_u32 v31, v19, 21, 1
	v_cmp_eq_u32_e64 s16, v15, v34
	v_add_nc_u32_e32 v18, -1, v31
	v_cndmask_b32_e64 v15, 0, v18, s16
	v_lshrrev_b32_e32 v18, 23, v19
	s_mov_b32 s16, exec_lo
	v_add_nc_u32_e32 v15, v15, v19
	v_xor_b32_e32 v18, 1, v18
	v_and_b32_e32 v14, 0x1fffff, v15
	v_add_nc_u32_e32 v15, v14, v19
                                        ; implicit-def: $vgpr14
	v_cmpx_ne_u32_e64 v17, v18
	s_xor_b32 s16, exec_lo, s16
; %bb.9602:                             ;   in Loop: Header=BB4_9403 Depth=3
	v_cmp_lt_u32_e32 vcc_lo, 0xffffff, v15
	v_sub_nc_u32_e32 v14, v17, v18
	v_cndmask_b32_e64 v17, 0, 1, vcc_lo
	v_add_co_ci_u32_e64 v14, null, 0, v14, vcc_lo
	v_lshrrev_b32_e32 v15, v17, v15
; %bb.9603:                             ;   in Loop: Header=BB4_9403 Depth=3
	s_andn2_saveexec_b32 s16, s16
; %bb.9604:                             ;   in Loop: Header=BB4_9403 Depth=3
	v_bfe_u32 v14, v15, 23, 1
; %bb.9605:                             ;   in Loop: Header=BB4_9403 Depth=3
	s_or_b32 exec_lo, exec_lo, s16
	v_lshrrev_b32_e32 v15, 21, v15
	v_cmp_gt_i32_e32 vcc_lo, 32, v14
	v_min_i32_e32 v17, 31, v14
	v_and_b32_sdwa v1, v1, v101 dst_sel:DWORD dst_unused:UNUSED_PAD src0_sel:BYTE_3 src1_sel:DWORD
	v_cndmask_b32_e32 v15, 3, v15, vcc_lo
	v_lshlrev_b32_e32 v17, 2, v17
	v_and_b32_e32 v18, 3, v15
	v_or_b32_e32 v14, v14, v15
	v_or3_b32 v1, v17, v1, v18
	v_cmp_ne_u32_e32 vcc_lo, 0, v14
	v_cndmask_b32_e32 v18, 0, v1, vcc_lo
.LBB4_9606:                             ;   in Loop: Header=BB4_9403 Depth=3
	s_or_b32 exec_lo, exec_lo, s23
.LBB4_9607:                             ;   in Loop: Header=BB4_9403 Depth=3
	s_or_b32 exec_lo, exec_lo, s22
	flat_load_ubyte v1, v[8:9] offset:448 slc
	s_mov_b32 s16, 0
	s_mov_b32 s22, exec_lo
	s_waitcnt vmcnt(0) lgkmcnt(0)
	v_cmpx_lt_i16_e32 0x7f, v1
	s_xor_b32 s22, exec_lo, s22
	s_cbranch_execz .LBB4_9981
; %bb.9608:                             ;   in Loop: Header=BB4_9403 Depth=3
	s_mov_b32 s16, -1
	s_mov_b32 s23, exec_lo
	v_cmpx_eq_u16_e32 0x80, v1
; %bb.9609:                             ;   in Loop: Header=BB4_9403 Depth=3
	s_xor_b32 s16, exec_lo, -1
; %bb.9610:                             ;   in Loop: Header=BB4_9403 Depth=3
	s_or_b32 exec_lo, exec_lo, s23
	s_and_b32 s16, s16, exec_lo
	s_or_saveexec_b32 s22, s22
	v_mov_b32_e32 v14, 0x7f800001
	s_xor_b32 exec_lo, exec_lo, s22
	s_cbranch_execnz .LBB4_9982
.LBB4_9611:                             ;   in Loop: Header=BB4_9403 Depth=3
	s_or_b32 exec_lo, exec_lo, s22
	s_and_saveexec_b32 s22, s16
	s_cbranch_execz .LBB4_9613
.LBB4_9612:                             ;   in Loop: Header=BB4_9403 Depth=3
	v_and_b32_e32 v14, 0xffff, v1
	v_lshlrev_b32_e32 v1, 24, v1
	v_and_b32_e32 v15, 3, v14
	v_bfe_u32 v31, v14, 2, 5
	v_and_b32_e32 v1, 0x80000000, v1
	v_ffbh_u32_e32 v17, v15
	v_cmp_eq_u32_e32 vcc_lo, 0, v31
	v_min_u32_e32 v17, 32, v17
	v_subrev_nc_u32_e32 v19, 29, v17
	v_sub_nc_u32_e32 v17, 30, v17
	v_lshlrev_b32_e32 v14, v19, v14
	v_cndmask_b32_e32 v17, v31, v17, vcc_lo
	v_and_b32_e32 v14, 3, v14
	v_cndmask_b32_e32 v14, v15, v14, vcc_lo
	v_lshl_add_u32 v15, v17, 23, 0x37800000
	v_lshlrev_b32_e32 v14, 21, v14
	v_or3_b32 v14, v1, v15, v14
.LBB4_9613:                             ;   in Loop: Header=BB4_9403 Depth=3
	s_or_b32 exec_lo, exec_lo, s22
	v_mul_f32_e32 v1, v5, v14
	v_mov_b32_e32 v17, 0x80
	s_mov_b32 s22, exec_lo
	v_and_b32_e32 v14, 0x7f800000, v1
	v_cmpx_ne_u32_e32 0x7f800000, v14
	s_cbranch_execz .LBB4_9621
; %bb.9614:                             ;   in Loop: Header=BB4_9403 Depth=3
	v_mov_b32_e32 v17, 0
	s_mov_b32 s23, exec_lo
	v_cmpx_ne_u32_e32 0, v1
	s_cbranch_execz .LBB4_9620
; %bb.9615:                             ;   in Loop: Header=BB4_9403 Depth=3
	v_bfe_u32 v14, v1, 23, 8
	v_and_b32_e32 v15, 0x7fffff, v1
	v_sub_nc_u32_e32 v17, 0x70, v14
	v_cmp_gt_u32_e32 vcc_lo, 0x71, v14
	v_or_b32_e32 v19, 0x800000, v15
	v_cndmask_b32_e32 v17, 0, v17, vcc_lo
	v_cmp_eq_u32_e32 vcc_lo, 0, v14
	v_add_nc_u32_e32 v14, 0xffffff91, v14
	v_cndmask_b32_e64 v17, v17, 0x6f, vcc_lo
	v_cndmask_b32_e32 v15, v19, v15, vcc_lo
	v_cndmask_b32_e64 v14, v14, 0xffffff92, vcc_lo
	v_lshl_add_u32 v19, 0x200000, v17, -1
	v_lshrrev_b32_e32 v31, v17, v15
	v_lshlrev_b32_e64 v35, v17, 0x100000
	v_add_nc_u32_e32 v17, v17, v14
	v_and_b32_e32 v15, v19, v15
	v_bfe_u32 v34, v31, 21, 1
	v_cmp_eq_u32_e64 s16, v15, v35
	v_add_nc_u32_e32 v19, -1, v34
	v_cndmask_b32_e64 v15, 0, v19, s16
	v_lshrrev_b32_e32 v19, 23, v31
	s_mov_b32 s16, exec_lo
	v_add_nc_u32_e32 v15, v15, v31
	v_xor_b32_e32 v19, 1, v19
	v_and_b32_e32 v14, 0x1fffff, v15
	v_add_nc_u32_e32 v15, v14, v31
                                        ; implicit-def: $vgpr14
	v_cmpx_ne_u32_e64 v17, v19
	s_xor_b32 s16, exec_lo, s16
; %bb.9616:                             ;   in Loop: Header=BB4_9403 Depth=3
	v_cmp_lt_u32_e32 vcc_lo, 0xffffff, v15
	v_sub_nc_u32_e32 v14, v17, v19
	v_cndmask_b32_e64 v17, 0, 1, vcc_lo
	v_add_co_ci_u32_e64 v14, null, 0, v14, vcc_lo
	v_lshrrev_b32_e32 v15, v17, v15
; %bb.9617:                             ;   in Loop: Header=BB4_9403 Depth=3
	s_andn2_saveexec_b32 s16, s16
; %bb.9618:                             ;   in Loop: Header=BB4_9403 Depth=3
	v_bfe_u32 v14, v15, 23, 1
; %bb.9619:                             ;   in Loop: Header=BB4_9403 Depth=3
	s_or_b32 exec_lo, exec_lo, s16
	v_lshrrev_b32_e32 v15, 21, v15
	v_cmp_gt_i32_e32 vcc_lo, 32, v14
	v_min_i32_e32 v17, 31, v14
	v_and_b32_sdwa v1, v1, v101 dst_sel:DWORD dst_unused:UNUSED_PAD src0_sel:BYTE_3 src1_sel:DWORD
	v_cndmask_b32_e32 v15, 3, v15, vcc_lo
	v_lshlrev_b32_e32 v17, 2, v17
	v_and_b32_e32 v19, 3, v15
	v_or_b32_e32 v14, v14, v15
	v_or3_b32 v1, v17, v1, v19
	v_cmp_ne_u32_e32 vcc_lo, 0, v14
	v_cndmask_b32_e32 v17, 0, v1, vcc_lo
.LBB4_9620:                             ;   in Loop: Header=BB4_9403 Depth=3
	s_or_b32 exec_lo, exec_lo, s23
.LBB4_9621:                             ;   in Loop: Header=BB4_9403 Depth=3
	s_or_b32 exec_lo, exec_lo, s22
	flat_load_ubyte v1, v[8:9] offset:480 slc
	s_mov_b32 s16, 0
	s_mov_b32 s22, exec_lo
	s_waitcnt vmcnt(0) lgkmcnt(0)
	v_cmpx_lt_i16_e32 0x7f, v1
	s_xor_b32 s22, exec_lo, s22
	s_cbranch_execz .LBB4_9983
; %bb.9622:                             ;   in Loop: Header=BB4_9403 Depth=3
	s_mov_b32 s16, -1
	s_mov_b32 s23, exec_lo
	v_cmpx_eq_u16_e32 0x80, v1
; %bb.9623:                             ;   in Loop: Header=BB4_9403 Depth=3
	s_xor_b32 s16, exec_lo, -1
; %bb.9624:                             ;   in Loop: Header=BB4_9403 Depth=3
	s_or_b32 exec_lo, exec_lo, s23
	s_and_b32 s16, s16, exec_lo
	s_or_saveexec_b32 s22, s22
	v_mov_b32_e32 v14, 0x7f800001
	s_xor_b32 exec_lo, exec_lo, s22
	s_cbranch_execnz .LBB4_9984
.LBB4_9625:                             ;   in Loop: Header=BB4_9403 Depth=3
	s_or_b32 exec_lo, exec_lo, s22
	s_and_saveexec_b32 s22, s16
	s_cbranch_execz .LBB4_9627
.LBB4_9626:                             ;   in Loop: Header=BB4_9403 Depth=3
	v_and_b32_e32 v14, 0xffff, v1
	v_lshlrev_b32_e32 v1, 24, v1
	v_and_b32_e32 v15, 3, v14
	v_bfe_u32 v34, v14, 2, 5
	v_and_b32_e32 v1, 0x80000000, v1
	v_ffbh_u32_e32 v19, v15
	v_cmp_eq_u32_e32 vcc_lo, 0, v34
	v_min_u32_e32 v19, 32, v19
	v_subrev_nc_u32_e32 v31, 29, v19
	v_sub_nc_u32_e32 v19, 30, v19
	v_lshlrev_b32_e32 v14, v31, v14
	v_cndmask_b32_e32 v19, v34, v19, vcc_lo
	v_and_b32_e32 v14, 3, v14
	v_cndmask_b32_e32 v14, v15, v14, vcc_lo
	v_lshl_add_u32 v15, v19, 23, 0x37800000
	v_lshlrev_b32_e32 v14, 21, v14
	v_or3_b32 v14, v1, v15, v14
.LBB4_9627:                             ;   in Loop: Header=BB4_9403 Depth=3
	s_or_b32 exec_lo, exec_lo, s22
	v_mul_f32_e32 v1, v5, v14
	v_mov_b32_e32 v15, 0x80
	s_mov_b32 s22, exec_lo
	v_and_b32_e32 v5, 0x7f800000, v1
	v_cmpx_ne_u32_e32 0x7f800000, v5
	s_cbranch_execz .LBB4_9635
; %bb.9628:                             ;   in Loop: Header=BB4_9403 Depth=3
	v_mov_b32_e32 v15, 0
	s_mov_b32 s23, exec_lo
	v_cmpx_ne_u32_e32 0, v1
	s_cbranch_execz .LBB4_9634
; %bb.9629:                             ;   in Loop: Header=BB4_9403 Depth=3
	v_bfe_u32 v5, v1, 23, 8
	v_and_b32_e32 v14, 0x7fffff, v1
	v_sub_nc_u32_e32 v15, 0x70, v5
	v_cmp_gt_u32_e32 vcc_lo, 0x71, v5
	v_or_b32_e32 v19, 0x800000, v14
	v_cndmask_b32_e32 v15, 0, v15, vcc_lo
	v_cmp_eq_u32_e32 vcc_lo, 0, v5
	v_add_nc_u32_e32 v5, 0xffffff91, v5
	v_cndmask_b32_e64 v15, v15, 0x6f, vcc_lo
	v_cndmask_b32_e32 v14, v19, v14, vcc_lo
	v_cndmask_b32_e64 v5, v5, 0xffffff92, vcc_lo
	v_lshl_add_u32 v19, 0x200000, v15, -1
	v_lshrrev_b32_e32 v31, v15, v14
	v_lshlrev_b32_e64 v35, v15, 0x100000
	v_add_nc_u32_e32 v15, v15, v5
	v_and_b32_e32 v14, v19, v14
	v_bfe_u32 v34, v31, 21, 1
	v_cmp_eq_u32_e64 s16, v14, v35
	v_add_nc_u32_e32 v19, -1, v34
	v_cndmask_b32_e64 v14, 0, v19, s16
	v_lshrrev_b32_e32 v19, 23, v31
	s_mov_b32 s16, exec_lo
	v_add_nc_u32_e32 v14, v14, v31
	v_xor_b32_e32 v19, 1, v19
	v_and_b32_e32 v5, 0x1fffff, v14
	v_add_nc_u32_e32 v14, v5, v31
                                        ; implicit-def: $vgpr5
	v_cmpx_ne_u32_e64 v15, v19
	s_xor_b32 s16, exec_lo, s16
; %bb.9630:                             ;   in Loop: Header=BB4_9403 Depth=3
	v_cmp_lt_u32_e32 vcc_lo, 0xffffff, v14
	v_sub_nc_u32_e32 v5, v15, v19
	v_cndmask_b32_e64 v15, 0, 1, vcc_lo
	v_add_co_ci_u32_e64 v5, null, 0, v5, vcc_lo
	v_lshrrev_b32_e32 v14, v15, v14
; %bb.9631:                             ;   in Loop: Header=BB4_9403 Depth=3
	s_andn2_saveexec_b32 s16, s16
; %bb.9632:                             ;   in Loop: Header=BB4_9403 Depth=3
	v_bfe_u32 v5, v14, 23, 1
; %bb.9633:                             ;   in Loop: Header=BB4_9403 Depth=3
	s_or_b32 exec_lo, exec_lo, s16
	v_lshrrev_b32_e32 v14, 21, v14
	v_cmp_gt_i32_e32 vcc_lo, 32, v5
	v_min_i32_e32 v15, 31, v5
	v_and_b32_sdwa v1, v1, v101 dst_sel:DWORD dst_unused:UNUSED_PAD src0_sel:BYTE_3 src1_sel:DWORD
	v_cndmask_b32_e32 v14, 3, v14, vcc_lo
	v_lshlrev_b32_e32 v15, 2, v15
	v_and_b32_e32 v19, 3, v14
	v_or_b32_e32 v5, v5, v14
	v_or3_b32 v1, v15, v1, v19
	v_cmp_ne_u32_e32 vcc_lo, 0, v5
	v_cndmask_b32_e32 v15, 0, v1, vcc_lo
.LBB4_9634:                             ;   in Loop: Header=BB4_9403 Depth=3
	s_or_b32 exec_lo, exec_lo, s23
.LBB4_9635:                             ;   in Loop: Header=BB4_9403 Depth=3
	s_or_b32 exec_lo, exec_lo, s22
	s_clause 0xf
	flat_load_ubyte v50, v[10:11] slc
	flat_load_ubyte v73, v[10:11] offset:32 slc
	flat_load_ubyte v97, v[10:11] offset:64 slc
	flat_load_ubyte v72, v[10:11] offset:96 slc
	flat_load_ubyte v1, v[10:11] offset:128 slc
	flat_load_ubyte v35, v[10:11] offset:160 slc
	flat_load_ubyte v31, v[10:11] offset:192 slc
	flat_load_ubyte v96, v[10:11] offset:224 slc
	flat_load_ubyte v63, v[10:11] offset:256 slc
	flat_load_ubyte v62, v[10:11] offset:288 slc
	flat_load_ubyte v34, v[10:11] offset:320 slc
	flat_load_ubyte v83, v[10:11] offset:352 slc
	flat_load_ubyte v65, v[10:11] offset:384 slc
	flat_load_ubyte v5, v[10:11] offset:416 slc
	flat_load_ubyte v19, v[10:11] offset:448 slc
	flat_load_ubyte v14, v[10:11] offset:480 slc
	v_cmp_gt_i16_sdwa s22, v16, v100 src0_sel:BYTE_0 src1_sel:DWORD
	s_mov_b32 s16, 0
	s_and_saveexec_b32 s23, s22
	s_xor_b32 s22, exec_lo, s23
	s_cbranch_execz .LBB4_9985
; %bb.9636:                             ;   in Loop: Header=BB4_9403 Depth=3
	v_cmp_eq_u16_sdwa s72, v16, v101 src0_sel:BYTE_0 src1_sel:DWORD
	s_mov_b32 s16, -1
	s_and_saveexec_b32 s23, s72
; %bb.9637:                             ;   in Loop: Header=BB4_9403 Depth=3
	s_xor_b32 s16, exec_lo, -1
; %bb.9638:                             ;   in Loop: Header=BB4_9403 Depth=3
	s_or_b32 exec_lo, exec_lo, s23
	s_and_b32 s16, s16, exec_lo
	s_or_saveexec_b32 s22, s22
	v_mov_b32_e32 v51, 0x7f800001
	s_xor_b32 exec_lo, exec_lo, s22
	s_cbranch_execnz .LBB4_9986
.LBB4_9639:                             ;   in Loop: Header=BB4_9403 Depth=3
	s_or_b32 exec_lo, exec_lo, s22
	s_and_saveexec_b32 s22, s16
	s_cbranch_execz .LBB4_9641
.LBB4_9640:                             ;   in Loop: Header=BB4_9403 Depth=3
	v_and_b32_e32 v51, 3, v16
	v_lshrrev_b16 v40, 2, v16
	v_ffbh_u32_e32 v115, v51
	v_and_b32_e32 v40, 31, v40
	v_min_u32_e32 v115, 32, v115
	v_cmp_eq_u32_e32 vcc_lo, 0, v40
	v_subrev_nc_u32_e32 v74, 29, v115
	v_sub_nc_u32_e32 v115, 30, v115
	v_lshlrev_b32_e32 v74, v74, v16
	v_lshlrev_b32_e32 v16, 24, v16
	v_cndmask_b32_e32 v115, v40, v115, vcc_lo
	v_and_b32_e32 v74, 3, v74
	v_and_b32_e32 v16, 0x80000000, v16
	v_lshl_add_u32 v115, v115, 23, 0x37800000
	v_cndmask_b32_e32 v51, v51, v74, vcc_lo
	v_lshlrev_b32_e32 v51, 21, v51
	v_or3_b32 v51, v16, v115, v51
.LBB4_9641:                             ;   in Loop: Header=BB4_9403 Depth=3
	s_or_b32 exec_lo, exec_lo, s22
	s_waitcnt vmcnt(15) lgkmcnt(15)
	v_cmp_gt_i16_sdwa s22, v50, v100 src0_sel:BYTE_0 src1_sel:DWORD
	s_mov_b32 s16, 0
	s_and_saveexec_b32 s23, s22
	s_xor_b32 s22, exec_lo, s23
	s_cbranch_execz .LBB4_9987
; %bb.9642:                             ;   in Loop: Header=BB4_9403 Depth=3
	v_cmp_eq_u16_sdwa s72, v50, v101 src0_sel:BYTE_0 src1_sel:DWORD
	s_mov_b32 s16, -1
	s_and_saveexec_b32 s23, s72
; %bb.9643:                             ;   in Loop: Header=BB4_9403 Depth=3
	s_xor_b32 s16, exec_lo, -1
; %bb.9644:                             ;   in Loop: Header=BB4_9403 Depth=3
	s_or_b32 exec_lo, exec_lo, s23
	s_and_b32 s16, s16, exec_lo
	s_or_saveexec_b32 s22, s22
	v_mov_b32_e32 v16, 0x7f800001
	s_xor_b32 exec_lo, exec_lo, s22
	s_cbranch_execnz .LBB4_9988
.LBB4_9645:                             ;   in Loop: Header=BB4_9403 Depth=3
	s_or_b32 exec_lo, exec_lo, s22
	s_and_saveexec_b32 s22, s16
	s_cbranch_execz .LBB4_9647
.LBB4_9646:                             ;   in Loop: Header=BB4_9403 Depth=3
	v_and_b32_e32 v16, 3, v50
	v_lshrrev_b16 v40, 2, v50
	v_ffbh_u32_e32 v115, v16
	v_and_b32_e32 v40, 31, v40
	v_min_u32_e32 v115, 32, v115
	v_cmp_eq_u32_e32 vcc_lo, 0, v40
	v_subrev_nc_u32_e32 v74, 29, v115
	v_sub_nc_u32_e32 v115, 30, v115
	v_lshlrev_b32_e32 v74, v74, v50
	v_lshlrev_b32_e32 v50, 24, v50
	v_cndmask_b32_e32 v115, v40, v115, vcc_lo
	v_and_b32_e32 v74, 3, v74
	v_and_b32_e32 v50, 0x80000000, v50
	v_lshl_add_u32 v115, v115, 23, 0x37800000
	v_cndmask_b32_e32 v16, v16, v74, vcc_lo
	v_lshlrev_b32_e32 v16, 21, v16
	v_or3_b32 v16, v50, v115, v16
.LBB4_9647:                             ;   in Loop: Header=BB4_9403 Depth=3
	s_or_b32 exec_lo, exec_lo, s22
	v_add_f32_e32 v50, v51, v16
	v_and_b32_e32 v16, 0x7f800000, v50
	v_cmp_ne_u32_e32 vcc_lo, 0x7f800000, v16
	v_mov_b32_e32 v16, 0x80
	s_and_saveexec_b32 s22, vcc_lo
	s_cbranch_execz .LBB4_9655
; %bb.9648:                             ;   in Loop: Header=BB4_9403 Depth=3
	v_mov_b32_e32 v16, 0
	s_mov_b32 s23, exec_lo
	v_cmpx_ne_u32_e32 0, v50
	s_cbranch_execz .LBB4_9654
; %bb.9649:                             ;   in Loop: Header=BB4_9403 Depth=3
	v_bfe_u32 v16, v50, 23, 8
	v_and_b32_e32 v51, 0x7fffff, v50
	v_sub_nc_u32_e32 v115, 0x70, v16
	v_cmp_gt_u32_e32 vcc_lo, 0x71, v16
	v_or_b32_e32 v40, 0x800000, v51
	v_cndmask_b32_e32 v115, 0, v115, vcc_lo
	v_cmp_eq_u32_e32 vcc_lo, 0, v16
	v_add_nc_u32_e32 v16, 0xffffff91, v16
	v_cndmask_b32_e64 v115, v115, 0x6f, vcc_lo
	v_cndmask_b32_e32 v51, v40, v51, vcc_lo
	v_cndmask_b32_e64 v16, v16, 0xffffff92, vcc_lo
	v_lshl_add_u32 v40, 0x200000, v115, -1
	v_lshrrev_b32_e32 v75, v115, v51
	v_lshlrev_b32_e64 v76, v115, 0x100000
	v_and_b32_e32 v51, v40, v51
	v_bfe_u32 v74, v75, 21, 1
	v_cmp_eq_u32_e64 s16, v51, v76
	v_add_nc_u32_e32 v40, -1, v74
	v_lshrrev_b32_e32 v74, 23, v75
	v_cndmask_b32_e64 v51, 0, v40, s16
	v_add_nc_u32_e32 v40, v115, v16
	v_xor_b32_e32 v74, 1, v74
	s_mov_b32 s16, exec_lo
	v_add_nc_u32_e32 v51, v51, v75
	v_and_b32_e32 v16, 0x1fffff, v51
	v_add_nc_u32_e32 v51, v16, v75
                                        ; implicit-def: $vgpr16
	v_cmpx_ne_u32_e64 v40, v74
	s_xor_b32 s16, exec_lo, s16
; %bb.9650:                             ;   in Loop: Header=BB4_9403 Depth=3
	v_cmp_lt_u32_e32 vcc_lo, 0xffffff, v51
	v_sub_nc_u32_e32 v16, v40, v74
	v_cndmask_b32_e64 v115, 0, 1, vcc_lo
	v_add_co_ci_u32_e64 v16, null, 0, v16, vcc_lo
	v_lshrrev_b32_e32 v51, v115, v51
; %bb.9651:                             ;   in Loop: Header=BB4_9403 Depth=3
	s_andn2_saveexec_b32 s16, s16
; %bb.9652:                             ;   in Loop: Header=BB4_9403 Depth=3
	v_bfe_u32 v16, v51, 23, 1
; %bb.9653:                             ;   in Loop: Header=BB4_9403 Depth=3
	s_or_b32 exec_lo, exec_lo, s16
	v_lshrrev_b32_e32 v51, 21, v51
	v_cmp_gt_i32_e32 vcc_lo, 32, v16
	v_min_i32_e32 v115, 31, v16
	v_and_b32_sdwa v50, v50, v101 dst_sel:DWORD dst_unused:UNUSED_PAD src0_sel:BYTE_3 src1_sel:DWORD
	v_cndmask_b32_e32 v51, 3, v51, vcc_lo
	v_lshlrev_b32_e32 v115, 2, v115
	v_and_b32_e32 v40, 3, v51
	v_or_b32_e32 v16, v16, v51
	v_or3_b32 v50, v115, v50, v40
	v_cmp_ne_u32_e32 vcc_lo, 0, v16
	v_cndmask_b32_e32 v16, 0, v50, vcc_lo
.LBB4_9654:                             ;   in Loop: Header=BB4_9403 Depth=3
	s_or_b32 exec_lo, exec_lo, s23
.LBB4_9655:                             ;   in Loop: Header=BB4_9403 Depth=3
	s_or_b32 exec_lo, exec_lo, s22
	v_cmp_gt_i16_sdwa s22, v30, v100 src0_sel:BYTE_0 src1_sel:DWORD
	s_mov_b32 s16, 0
	s_and_saveexec_b32 s23, s22
	s_xor_b32 s22, exec_lo, s23
	s_cbranch_execz .LBB4_9989
; %bb.9656:                             ;   in Loop: Header=BB4_9403 Depth=3
	v_cmp_eq_u16_sdwa s72, v30, v101 src0_sel:BYTE_0 src1_sel:DWORD
	s_mov_b32 s16, -1
	s_and_saveexec_b32 s23, s72
; %bb.9657:                             ;   in Loop: Header=BB4_9403 Depth=3
	s_xor_b32 s16, exec_lo, -1
; %bb.9658:                             ;   in Loop: Header=BB4_9403 Depth=3
	s_or_b32 exec_lo, exec_lo, s23
	s_and_b32 s16, s16, exec_lo
	s_or_saveexec_b32 s22, s22
	v_mov_b32_e32 v50, 0x7f800001
	s_xor_b32 exec_lo, exec_lo, s22
	s_cbranch_execnz .LBB4_9990
.LBB4_9659:                             ;   in Loop: Header=BB4_9403 Depth=3
	s_or_b32 exec_lo, exec_lo, s22
	s_and_saveexec_b32 s22, s16
	s_cbranch_execz .LBB4_9661
.LBB4_9660:                             ;   in Loop: Header=BB4_9403 Depth=3
	v_and_b32_e32 v50, 3, v30
	v_lshrrev_b16 v115, 2, v30
	v_ffbh_u32_e32 v51, v50
	v_and_b32_e32 v115, 31, v115
	v_min_u32_e32 v51, 32, v51
	v_cmp_eq_u32_e32 vcc_lo, 0, v115
	v_subrev_nc_u32_e32 v40, 29, v51
	v_sub_nc_u32_e32 v51, 30, v51
	v_lshlrev_b32_e32 v40, v40, v30
	v_lshlrev_b32_e32 v30, 24, v30
	v_cndmask_b32_e32 v51, v115, v51, vcc_lo
	v_and_b32_e32 v40, 3, v40
	v_and_b32_e32 v30, 0x80000000, v30
	v_lshl_add_u32 v51, v51, 23, 0x37800000
	v_cndmask_b32_e32 v50, v50, v40, vcc_lo
	v_lshlrev_b32_e32 v50, 21, v50
	v_or3_b32 v50, v30, v51, v50
.LBB4_9661:                             ;   in Loop: Header=BB4_9403 Depth=3
	s_or_b32 exec_lo, exec_lo, s22
	s_waitcnt vmcnt(14) lgkmcnt(14)
	v_cmp_gt_i16_sdwa s22, v73, v100 src0_sel:BYTE_0 src1_sel:DWORD
	s_mov_b32 s16, 0
	s_and_saveexec_b32 s23, s22
	s_xor_b32 s22, exec_lo, s23
	s_cbranch_execz .LBB4_9991
; %bb.9662:                             ;   in Loop: Header=BB4_9403 Depth=3
	v_cmp_eq_u16_sdwa s72, v73, v101 src0_sel:BYTE_0 src1_sel:DWORD
	s_mov_b32 s16, -1
	s_and_saveexec_b32 s23, s72
; %bb.9663:                             ;   in Loop: Header=BB4_9403 Depth=3
	s_xor_b32 s16, exec_lo, -1
; %bb.9664:                             ;   in Loop: Header=BB4_9403 Depth=3
	s_or_b32 exec_lo, exec_lo, s23
	s_and_b32 s16, s16, exec_lo
	s_or_saveexec_b32 s22, s22
	v_mov_b32_e32 v30, 0x7f800001
	s_xor_b32 exec_lo, exec_lo, s22
	s_cbranch_execnz .LBB4_9992
.LBB4_9665:                             ;   in Loop: Header=BB4_9403 Depth=3
	s_or_b32 exec_lo, exec_lo, s22
	s_and_saveexec_b32 s22, s16
	s_cbranch_execz .LBB4_9667
.LBB4_9666:                             ;   in Loop: Header=BB4_9403 Depth=3
	v_and_b32_e32 v30, 3, v73
	v_lshrrev_b16 v115, 2, v73
	v_ffbh_u32_e32 v51, v30
	v_and_b32_e32 v115, 31, v115
	v_min_u32_e32 v51, 32, v51
	v_cmp_eq_u32_e32 vcc_lo, 0, v115
	v_subrev_nc_u32_e32 v40, 29, v51
	v_sub_nc_u32_e32 v51, 30, v51
	v_lshlrev_b32_e32 v40, v40, v73
	v_lshlrev_b32_e32 v73, 24, v73
	v_cndmask_b32_e32 v51, v115, v51, vcc_lo
	v_and_b32_e32 v40, 3, v40
	v_and_b32_e32 v115, 0x80000000, v73
	v_lshl_add_u32 v51, v51, 23, 0x37800000
	v_cndmask_b32_e32 v30, v30, v40, vcc_lo
	v_lshlrev_b32_e32 v30, 21, v30
	v_or3_b32 v30, v115, v51, v30
.LBB4_9667:                             ;   in Loop: Header=BB4_9403 Depth=3
	s_or_b32 exec_lo, exec_lo, s22
	v_add_f32_e32 v50, v50, v30
	v_and_b32_e32 v30, 0x7f800000, v50
	v_cmp_ne_u32_e32 vcc_lo, 0x7f800000, v30
	v_mov_b32_e32 v30, 0x80
	s_and_saveexec_b32 s22, vcc_lo
	s_cbranch_execz .LBB4_9675
; %bb.9668:                             ;   in Loop: Header=BB4_9403 Depth=3
	v_mov_b32_e32 v30, 0
	s_mov_b32 s23, exec_lo
	v_cmpx_ne_u32_e32 0, v50
	s_cbranch_execz .LBB4_9674
; %bb.9669:                             ;   in Loop: Header=BB4_9403 Depth=3
	v_bfe_u32 v30, v50, 23, 8
	v_and_b32_e32 v51, 0x7fffff, v50
	v_sub_nc_u32_e32 v115, 0x70, v30
	v_cmp_gt_u32_e32 vcc_lo, 0x71, v30
	v_or_b32_e32 v40, 0x800000, v51
	v_cndmask_b32_e32 v115, 0, v115, vcc_lo
	v_cmp_eq_u32_e32 vcc_lo, 0, v30
	v_add_nc_u32_e32 v30, 0xffffff91, v30
	v_cndmask_b32_e64 v115, v115, 0x6f, vcc_lo
	v_cndmask_b32_e32 v51, v40, v51, vcc_lo
	v_cndmask_b32_e64 v30, v30, 0xffffff92, vcc_lo
	v_lshl_add_u32 v40, 0x200000, v115, -1
	v_lshrrev_b32_e32 v74, v115, v51
	v_lshlrev_b32_e64 v75, v115, 0x100000
	v_and_b32_e32 v51, v40, v51
	v_bfe_u32 v73, v74, 21, 1
	v_cmp_eq_u32_e64 s16, v51, v75
	v_add_nc_u32_e32 v40, -1, v73
	v_lshrrev_b32_e32 v73, 23, v74
	v_cndmask_b32_e64 v51, 0, v40, s16
	v_add_nc_u32_e32 v40, v115, v30
	v_xor_b32_e32 v73, 1, v73
	s_mov_b32 s16, exec_lo
	v_add_nc_u32_e32 v51, v51, v74
	v_and_b32_e32 v30, 0x1fffff, v51
	v_add_nc_u32_e32 v51, v30, v74
                                        ; implicit-def: $vgpr30
	v_cmpx_ne_u32_e64 v40, v73
	s_xor_b32 s16, exec_lo, s16
; %bb.9670:                             ;   in Loop: Header=BB4_9403 Depth=3
	v_cmp_lt_u32_e32 vcc_lo, 0xffffff, v51
	v_sub_nc_u32_e32 v30, v40, v73
	v_cndmask_b32_e64 v115, 0, 1, vcc_lo
	v_add_co_ci_u32_e64 v30, null, 0, v30, vcc_lo
	v_lshrrev_b32_e32 v51, v115, v51
; %bb.9671:                             ;   in Loop: Header=BB4_9403 Depth=3
	s_andn2_saveexec_b32 s16, s16
; %bb.9672:                             ;   in Loop: Header=BB4_9403 Depth=3
	v_bfe_u32 v30, v51, 23, 1
; %bb.9673:                             ;   in Loop: Header=BB4_9403 Depth=3
	s_or_b32 exec_lo, exec_lo, s16
	v_lshrrev_b32_e32 v51, 21, v51
	v_cmp_gt_i32_e32 vcc_lo, 32, v30
	v_min_i32_e32 v115, 31, v30
	v_and_b32_sdwa v50, v50, v101 dst_sel:DWORD dst_unused:UNUSED_PAD src0_sel:BYTE_3 src1_sel:DWORD
	v_cndmask_b32_e32 v51, 3, v51, vcc_lo
	v_lshlrev_b32_e32 v115, 2, v115
	v_and_b32_e32 v40, 3, v51
	v_or_b32_e32 v30, v30, v51
	v_or3_b32 v50, v115, v50, v40
	v_cmp_ne_u32_e32 vcc_lo, 0, v30
	v_cndmask_b32_e32 v30, 0, v50, vcc_lo
.LBB4_9674:                             ;   in Loop: Header=BB4_9403 Depth=3
	s_or_b32 exec_lo, exec_lo, s23
.LBB4_9675:                             ;   in Loop: Header=BB4_9403 Depth=3
	s_or_b32 exec_lo, exec_lo, s22
	v_cmp_gt_i16_sdwa s22, v53, v100 src0_sel:BYTE_0 src1_sel:DWORD
	s_mov_b32 s16, 0
	s_and_saveexec_b32 s23, s22
	s_xor_b32 s22, exec_lo, s23
	s_cbranch_execz .LBB4_9993
; %bb.9676:                             ;   in Loop: Header=BB4_9403 Depth=3
	v_cmp_eq_u16_sdwa s72, v53, v101 src0_sel:BYTE_0 src1_sel:DWORD
	s_mov_b32 s16, -1
	s_and_saveexec_b32 s23, s72
; %bb.9677:                             ;   in Loop: Header=BB4_9403 Depth=3
	s_xor_b32 s16, exec_lo, -1
; %bb.9678:                             ;   in Loop: Header=BB4_9403 Depth=3
	s_or_b32 exec_lo, exec_lo, s23
	s_and_b32 s16, s16, exec_lo
	s_or_saveexec_b32 s22, s22
	v_mov_b32_e32 v50, 0x7f800001
	s_xor_b32 exec_lo, exec_lo, s22
	s_cbranch_execnz .LBB4_9994
.LBB4_9679:                             ;   in Loop: Header=BB4_9403 Depth=3
	s_or_b32 exec_lo, exec_lo, s22
	s_and_saveexec_b32 s22, s16
	s_cbranch_execz .LBB4_9681
.LBB4_9680:                             ;   in Loop: Header=BB4_9403 Depth=3
	v_and_b32_e32 v50, 3, v53
	v_lshrrev_b16 v115, 2, v53
	v_ffbh_u32_e32 v51, v50
	v_and_b32_e32 v115, 31, v115
	v_min_u32_e32 v51, 32, v51
	v_cmp_eq_u32_e32 vcc_lo, 0, v115
	v_subrev_nc_u32_e32 v40, 29, v51
	v_sub_nc_u32_e32 v51, 30, v51
	v_lshlrev_b32_e32 v40, v40, v53
	v_lshlrev_b32_e32 v53, 24, v53
	v_cndmask_b32_e32 v51, v115, v51, vcc_lo
	v_and_b32_e32 v40, 3, v40
	v_and_b32_e32 v53, 0x80000000, v53
	v_lshl_add_u32 v51, v51, 23, 0x37800000
	v_cndmask_b32_e32 v50, v50, v40, vcc_lo
	v_lshlrev_b32_e32 v50, 21, v50
	v_or3_b32 v50, v53, v51, v50
.LBB4_9681:                             ;   in Loop: Header=BB4_9403 Depth=3
	s_or_b32 exec_lo, exec_lo, s22
	s_waitcnt vmcnt(13) lgkmcnt(13)
	v_cmp_gt_i16_sdwa s22, v97, v100 src0_sel:BYTE_0 src1_sel:DWORD
	s_mov_b32 s16, 0
	s_and_saveexec_b32 s23, s22
	s_xor_b32 s22, exec_lo, s23
	s_cbranch_execz .LBB4_9995
; %bb.9682:                             ;   in Loop: Header=BB4_9403 Depth=3
	v_cmp_eq_u16_sdwa s72, v97, v101 src0_sel:BYTE_0 src1_sel:DWORD
	s_mov_b32 s16, -1
	s_and_saveexec_b32 s23, s72
; %bb.9683:                             ;   in Loop: Header=BB4_9403 Depth=3
	s_xor_b32 s16, exec_lo, -1
; %bb.9684:                             ;   in Loop: Header=BB4_9403 Depth=3
	s_or_b32 exec_lo, exec_lo, s23
	s_and_b32 s16, s16, exec_lo
	s_or_saveexec_b32 s22, s22
	v_mov_b32_e32 v51, 0x7f800001
	s_xor_b32 exec_lo, exec_lo, s22
	s_cbranch_execnz .LBB4_9996
.LBB4_9685:                             ;   in Loop: Header=BB4_9403 Depth=3
	s_or_b32 exec_lo, exec_lo, s22
	s_and_saveexec_b32 s22, s16
	s_cbranch_execz .LBB4_9687
.LBB4_9686:                             ;   in Loop: Header=BB4_9403 Depth=3
	v_and_b32_e32 v51, 3, v97
	v_lshrrev_b16 v115, 2, v97
	v_ffbh_u32_e32 v53, v51
	v_and_b32_e32 v115, 31, v115
	v_min_u32_e32 v53, 32, v53
	v_cmp_eq_u32_e32 vcc_lo, 0, v115
	v_subrev_nc_u32_e32 v40, 29, v53
	v_sub_nc_u32_e32 v53, 30, v53
	v_lshlrev_b32_e32 v40, v40, v97
	v_lshlrev_b32_e32 v97, 24, v97
	v_cndmask_b32_e32 v53, v115, v53, vcc_lo
	v_and_b32_e32 v40, 3, v40
	v_and_b32_e32 v97, 0x80000000, v97
	v_lshl_add_u32 v53, v53, 23, 0x37800000
	v_cndmask_b32_e32 v51, v51, v40, vcc_lo
	v_lshlrev_b32_e32 v51, 21, v51
	v_or3_b32 v51, v97, v53, v51
.LBB4_9687:                             ;   in Loop: Header=BB4_9403 Depth=3
	s_or_b32 exec_lo, exec_lo, s22
	v_add_f32_e32 v50, v50, v51
	v_mov_b32_e32 v53, 0x80
	s_mov_b32 s22, exec_lo
	v_and_b32_e32 v51, 0x7f800000, v50
	v_cmpx_ne_u32_e32 0x7f800000, v51
	s_cbranch_execz .LBB4_9695
; %bb.9688:                             ;   in Loop: Header=BB4_9403 Depth=3
	v_mov_b32_e32 v53, 0
	s_mov_b32 s23, exec_lo
	v_cmpx_ne_u32_e32 0, v50
	s_cbranch_execz .LBB4_9694
; %bb.9689:                             ;   in Loop: Header=BB4_9403 Depth=3
	v_bfe_u32 v51, v50, 23, 8
	v_and_b32_e32 v53, 0x7fffff, v50
	v_sub_nc_u32_e32 v97, 0x70, v51
	v_cmp_gt_u32_e32 vcc_lo, 0x71, v51
	v_or_b32_e32 v115, 0x800000, v53
	v_cndmask_b32_e32 v97, 0, v97, vcc_lo
	v_cmp_eq_u32_e32 vcc_lo, 0, v51
	v_add_nc_u32_e32 v51, 0xffffff91, v51
	v_cndmask_b32_e64 v97, v97, 0x6f, vcc_lo
	v_cndmask_b32_e32 v53, v115, v53, vcc_lo
	v_cndmask_b32_e64 v51, v51, 0xffffff92, vcc_lo
	v_lshl_add_u32 v40, 0x200000, v97, -1
	v_lshrrev_b32_e32 v115, v97, v53
	v_lshlrev_b32_e64 v74, v97, 0x100000
	v_add_nc_u32_e32 v97, v97, v51
	v_and_b32_e32 v53, v40, v53
	v_bfe_u32 v73, v115, 21, 1
	v_cmp_eq_u32_e64 s16, v53, v74
	v_add_nc_u32_e32 v40, -1, v73
	v_cndmask_b32_e64 v53, 0, v40, s16
	v_lshrrev_b32_e32 v40, 23, v115
	s_mov_b32 s16, exec_lo
	v_add_nc_u32_e32 v53, v53, v115
	v_xor_b32_e32 v40, 1, v40
	v_and_b32_e32 v51, 0x1fffff, v53
	v_add_nc_u32_e32 v53, v51, v115
                                        ; implicit-def: $vgpr51
	v_cmpx_ne_u32_e64 v97, v40
	s_xor_b32 s16, exec_lo, s16
; %bb.9690:                             ;   in Loop: Header=BB4_9403 Depth=3
	v_cmp_lt_u32_e32 vcc_lo, 0xffffff, v53
	v_sub_nc_u32_e32 v51, v97, v40
	v_cndmask_b32_e64 v97, 0, 1, vcc_lo
	v_add_co_ci_u32_e64 v51, null, 0, v51, vcc_lo
	v_lshrrev_b32_e32 v53, v97, v53
; %bb.9691:                             ;   in Loop: Header=BB4_9403 Depth=3
	s_andn2_saveexec_b32 s16, s16
; %bb.9692:                             ;   in Loop: Header=BB4_9403 Depth=3
	v_bfe_u32 v51, v53, 23, 1
; %bb.9693:                             ;   in Loop: Header=BB4_9403 Depth=3
	s_or_b32 exec_lo, exec_lo, s16
	v_lshrrev_b32_e32 v53, 21, v53
	v_cmp_gt_i32_e32 vcc_lo, 32, v51
	v_min_i32_e32 v97, 31, v51
	v_and_b32_sdwa v50, v50, v101 dst_sel:DWORD dst_unused:UNUSED_PAD src0_sel:BYTE_3 src1_sel:DWORD
	v_cndmask_b32_e32 v53, 3, v53, vcc_lo
	v_lshlrev_b32_e32 v97, 2, v97
	v_and_b32_e32 v115, 3, v53
	v_or_b32_e32 v51, v51, v53
	v_or3_b32 v50, v97, v50, v115
	v_cmp_ne_u32_e32 vcc_lo, 0, v51
	v_cndmask_b32_e32 v53, 0, v50, vcc_lo
.LBB4_9694:                             ;   in Loop: Header=BB4_9403 Depth=3
	s_or_b32 exec_lo, exec_lo, s23
.LBB4_9695:                             ;   in Loop: Header=BB4_9403 Depth=3
	s_or_b32 exec_lo, exec_lo, s22
	v_cmp_gt_i16_sdwa s22, v81, v100 src0_sel:BYTE_0 src1_sel:DWORD
	s_mov_b32 s16, 0
	s_and_saveexec_b32 s23, s22
	s_xor_b32 s22, exec_lo, s23
	s_cbranch_execz .LBB4_9997
; %bb.9696:                             ;   in Loop: Header=BB4_9403 Depth=3
	v_cmp_eq_u16_sdwa s72, v81, v101 src0_sel:BYTE_0 src1_sel:DWORD
	s_mov_b32 s16, -1
	s_and_saveexec_b32 s23, s72
; %bb.9697:                             ;   in Loop: Header=BB4_9403 Depth=3
	s_xor_b32 s16, exec_lo, -1
; %bb.9698:                             ;   in Loop: Header=BB4_9403 Depth=3
	s_or_b32 exec_lo, exec_lo, s23
	s_and_b32 s16, s16, exec_lo
	s_or_saveexec_b32 s22, s22
	v_mov_b32_e32 v50, 0x7f800001
	s_xor_b32 exec_lo, exec_lo, s22
	s_cbranch_execnz .LBB4_9998
.LBB4_9699:                             ;   in Loop: Header=BB4_9403 Depth=3
	s_or_b32 exec_lo, exec_lo, s22
	s_and_saveexec_b32 s22, s16
	s_cbranch_execz .LBB4_9701
.LBB4_9700:                             ;   in Loop: Header=BB4_9403 Depth=3
	v_and_b32_e32 v50, 3, v81
	v_lshrrev_b16 v97, 2, v81
	v_ffbh_u32_e32 v51, v50
	v_and_b32_e32 v97, 31, v97
	v_min_u32_e32 v51, 32, v51
	v_cmp_eq_u32_e32 vcc_lo, 0, v97
	v_subrev_nc_u32_e32 v115, 29, v51
	v_sub_nc_u32_e32 v51, 30, v51
	v_lshlrev_b32_e32 v115, v115, v81
	v_lshlrev_b32_e32 v81, 24, v81
	v_cndmask_b32_e32 v51, v97, v51, vcc_lo
	v_and_b32_e32 v115, 3, v115
	v_and_b32_e32 v81, 0x80000000, v81
	v_lshl_add_u32 v51, v51, 23, 0x37800000
	v_cndmask_b32_e32 v50, v50, v115, vcc_lo
	v_lshlrev_b32_e32 v50, 21, v50
	v_or3_b32 v50, v81, v51, v50
.LBB4_9701:                             ;   in Loop: Header=BB4_9403 Depth=3
	s_or_b32 exec_lo, exec_lo, s22
	s_waitcnt vmcnt(12) lgkmcnt(12)
	v_cmp_gt_i16_sdwa s22, v72, v100 src0_sel:BYTE_0 src1_sel:DWORD
	s_mov_b32 s16, 0
	s_and_saveexec_b32 s23, s22
	s_xor_b32 s22, exec_lo, s23
	s_cbranch_execz .LBB4_9999
; %bb.9702:                             ;   in Loop: Header=BB4_9403 Depth=3
	v_cmp_eq_u16_sdwa s72, v72, v101 src0_sel:BYTE_0 src1_sel:DWORD
	s_mov_b32 s16, -1
	s_and_saveexec_b32 s23, s72
; %bb.9703:                             ;   in Loop: Header=BB4_9403 Depth=3
	s_xor_b32 s16, exec_lo, -1
; %bb.9704:                             ;   in Loop: Header=BB4_9403 Depth=3
	s_or_b32 exec_lo, exec_lo, s23
	s_and_b32 s16, s16, exec_lo
	s_or_saveexec_b32 s22, s22
	v_mov_b32_e32 v51, 0x7f800001
	s_xor_b32 exec_lo, exec_lo, s22
	s_cbranch_execnz .LBB4_10000
.LBB4_9705:                             ;   in Loop: Header=BB4_9403 Depth=3
	s_or_b32 exec_lo, exec_lo, s22
	s_and_saveexec_b32 s22, s16
	s_cbranch_execz .LBB4_9707
.LBB4_9706:                             ;   in Loop: Header=BB4_9403 Depth=3
	v_and_b32_e32 v51, 3, v72
	v_lshrrev_b16 v97, 2, v72
	v_lshlrev_b32_e32 v40, 24, v72
	v_ffbh_u32_e32 v81, v51
	v_and_b32_e32 v97, 31, v97
	v_min_u32_e32 v81, 32, v81
	v_cmp_eq_u32_e32 vcc_lo, 0, v97
	v_subrev_nc_u32_e32 v115, 29, v81
	v_sub_nc_u32_e32 v81, 30, v81
	v_lshlrev_b32_e32 v115, v115, v72
	v_cndmask_b32_e32 v81, v97, v81, vcc_lo
	v_and_b32_e32 v97, 0x80000000, v40
	v_and_b32_e32 v115, 3, v115
	v_lshl_add_u32 v81, v81, 23, 0x37800000
	v_cndmask_b32_e32 v51, v51, v115, vcc_lo
	v_lshlrev_b32_e32 v51, 21, v51
	v_or3_b32 v51, v97, v81, v51
.LBB4_9707:                             ;   in Loop: Header=BB4_9403 Depth=3
	s_or_b32 exec_lo, exec_lo, s22
	v_add_f32_e32 v50, v50, v51
	v_mov_b32_e32 v81, 0x80
	s_mov_b32 s22, exec_lo
	v_and_b32_e32 v51, 0x7f800000, v50
	v_cmpx_ne_u32_e32 0x7f800000, v51
	s_cbranch_execz .LBB4_9715
; %bb.9708:                             ;   in Loop: Header=BB4_9403 Depth=3
	v_mov_b32_e32 v81, 0
	s_mov_b32 s23, exec_lo
	v_cmpx_ne_u32_e32 0, v50
	s_cbranch_execz .LBB4_9714
; %bb.9709:                             ;   in Loop: Header=BB4_9403 Depth=3
	v_bfe_u32 v51, v50, 23, 8
	v_and_b32_e32 v81, 0x7fffff, v50
	v_sub_nc_u32_e32 v97, 0x70, v51
	v_cmp_gt_u32_e32 vcc_lo, 0x71, v51
	v_or_b32_e32 v115, 0x800000, v81
	v_cndmask_b32_e32 v97, 0, v97, vcc_lo
	v_cmp_eq_u32_e32 vcc_lo, 0, v51
	v_add_nc_u32_e32 v51, 0xffffff91, v51
	v_cndmask_b32_e64 v97, v97, 0x6f, vcc_lo
	v_cndmask_b32_e32 v81, v115, v81, vcc_lo
	v_cndmask_b32_e64 v51, v51, 0xffffff92, vcc_lo
	v_lshl_add_u32 v40, 0x200000, v97, -1
	v_lshrrev_b32_e32 v115, v97, v81
	v_lshlrev_b32_e64 v73, v97, 0x100000
	v_add_nc_u32_e32 v97, v97, v51
	v_and_b32_e32 v81, v40, v81
	v_bfe_u32 v72, v115, 21, 1
	v_cmp_eq_u32_e64 s16, v81, v73
	v_add_nc_u32_e32 v40, -1, v72
	v_cndmask_b32_e64 v81, 0, v40, s16
	v_lshrrev_b32_e32 v40, 23, v115
	s_mov_b32 s16, exec_lo
	v_add_nc_u32_e32 v81, v81, v115
	v_xor_b32_e32 v40, 1, v40
	v_and_b32_e32 v51, 0x1fffff, v81
	v_add_nc_u32_e32 v81, v51, v115
                                        ; implicit-def: $vgpr51
	v_cmpx_ne_u32_e64 v97, v40
	s_xor_b32 s16, exec_lo, s16
; %bb.9710:                             ;   in Loop: Header=BB4_9403 Depth=3
	v_cmp_lt_u32_e32 vcc_lo, 0xffffff, v81
	v_sub_nc_u32_e32 v51, v97, v40
	v_cndmask_b32_e64 v97, 0, 1, vcc_lo
	v_add_co_ci_u32_e64 v51, null, 0, v51, vcc_lo
	v_lshrrev_b32_e32 v81, v97, v81
; %bb.9711:                             ;   in Loop: Header=BB4_9403 Depth=3
	s_andn2_saveexec_b32 s16, s16
; %bb.9712:                             ;   in Loop: Header=BB4_9403 Depth=3
	v_bfe_u32 v51, v81, 23, 1
; %bb.9713:                             ;   in Loop: Header=BB4_9403 Depth=3
	s_or_b32 exec_lo, exec_lo, s16
	v_lshrrev_b32_e32 v81, 21, v81
	v_cmp_gt_i32_e32 vcc_lo, 32, v51
	v_min_i32_e32 v97, 31, v51
	v_and_b32_sdwa v50, v50, v101 dst_sel:DWORD dst_unused:UNUSED_PAD src0_sel:BYTE_3 src1_sel:DWORD
	v_cndmask_b32_e32 v81, 3, v81, vcc_lo
	v_lshlrev_b32_e32 v97, 2, v97
	v_and_b32_e32 v115, 3, v81
	v_or_b32_e32 v51, v51, v81
	v_or3_b32 v50, v97, v50, v115
	v_cmp_ne_u32_e32 vcc_lo, 0, v51
	v_cndmask_b32_e32 v81, 0, v50, vcc_lo
.LBB4_9714:                             ;   in Loop: Header=BB4_9403 Depth=3
	s_or_b32 exec_lo, exec_lo, s23
.LBB4_9715:                             ;   in Loop: Header=BB4_9403 Depth=3
	s_or_b32 exec_lo, exec_lo, s22
	v_cmp_gt_i16_sdwa s22, v82, v100 src0_sel:BYTE_0 src1_sel:DWORD
	s_mov_b32 s16, 0
	s_and_saveexec_b32 s23, s22
	s_xor_b32 s22, exec_lo, s23
	s_cbranch_execz .LBB4_10001
; %bb.9716:                             ;   in Loop: Header=BB4_9403 Depth=3
	v_cmp_eq_u16_sdwa s72, v82, v101 src0_sel:BYTE_0 src1_sel:DWORD
	s_mov_b32 s16, -1
	s_and_saveexec_b32 s23, s72
; %bb.9717:                             ;   in Loop: Header=BB4_9403 Depth=3
	s_xor_b32 s16, exec_lo, -1
; %bb.9718:                             ;   in Loop: Header=BB4_9403 Depth=3
	s_or_b32 exec_lo, exec_lo, s23
	s_and_b32 s16, s16, exec_lo
	s_or_saveexec_b32 s22, s22
	v_mov_b32_e32 v50, 0x7f800001
	s_xor_b32 exec_lo, exec_lo, s22
	s_cbranch_execnz .LBB4_10002
.LBB4_9719:                             ;   in Loop: Header=BB4_9403 Depth=3
	s_or_b32 exec_lo, exec_lo, s22
	s_and_saveexec_b32 s22, s16
	s_cbranch_execz .LBB4_9721
.LBB4_9720:                             ;   in Loop: Header=BB4_9403 Depth=3
	v_and_b32_e32 v50, 3, v82
	v_lshrrev_b16 v97, 2, v82
	v_ffbh_u32_e32 v51, v50
	v_and_b32_e32 v97, 31, v97
	v_min_u32_e32 v51, 32, v51
	v_cmp_eq_u32_e32 vcc_lo, 0, v97
	v_subrev_nc_u32_e32 v115, 29, v51
	v_sub_nc_u32_e32 v51, 30, v51
	v_lshlrev_b32_e32 v115, v115, v82
	v_lshlrev_b32_e32 v82, 24, v82
	v_cndmask_b32_e32 v51, v97, v51, vcc_lo
	v_and_b32_e32 v115, 3, v115
	v_and_b32_e32 v82, 0x80000000, v82
	v_lshl_add_u32 v51, v51, 23, 0x37800000
	v_cndmask_b32_e32 v50, v50, v115, vcc_lo
	v_lshlrev_b32_e32 v50, 21, v50
	v_or3_b32 v50, v82, v51, v50
.LBB4_9721:                             ;   in Loop: Header=BB4_9403 Depth=3
	s_or_b32 exec_lo, exec_lo, s22
	s_waitcnt vmcnt(11) lgkmcnt(11)
	v_cmp_gt_i16_sdwa s22, v1, v100 src0_sel:BYTE_0 src1_sel:DWORD
	s_mov_b32 s16, 0
	s_and_saveexec_b32 s23, s22
	s_xor_b32 s22, exec_lo, s23
	s_cbranch_execz .LBB4_10003
; %bb.9722:                             ;   in Loop: Header=BB4_9403 Depth=3
	v_cmp_eq_u16_sdwa s72, v1, v101 src0_sel:BYTE_0 src1_sel:DWORD
	s_mov_b32 s16, -1
	s_and_saveexec_b32 s23, s72
; %bb.9723:                             ;   in Loop: Header=BB4_9403 Depth=3
	s_xor_b32 s16, exec_lo, -1
; %bb.9724:                             ;   in Loop: Header=BB4_9403 Depth=3
	s_or_b32 exec_lo, exec_lo, s23
	s_and_b32 s16, s16, exec_lo
	s_or_saveexec_b32 s22, s22
	v_mov_b32_e32 v51, 0x7f800001
	s_xor_b32 exec_lo, exec_lo, s22
	s_cbranch_execnz .LBB4_10004
.LBB4_9725:                             ;   in Loop: Header=BB4_9403 Depth=3
	s_or_b32 exec_lo, exec_lo, s22
	s_and_saveexec_b32 s22, s16
	s_cbranch_execz .LBB4_9727
.LBB4_9726:                             ;   in Loop: Header=BB4_9403 Depth=3
	v_and_b32_e32 v51, 3, v1
	v_lshrrev_b16 v97, 2, v1
	v_ffbh_u32_e32 v82, v51
	v_and_b32_e32 v97, 31, v97
	v_min_u32_e32 v82, 32, v82
	v_cmp_eq_u32_e32 vcc_lo, 0, v97
	v_subrev_nc_u32_e32 v115, 29, v82
	v_sub_nc_u32_e32 v82, 30, v82
	v_lshlrev_b32_e32 v115, v115, v1
	v_lshlrev_b32_e32 v1, 24, v1
	v_cndmask_b32_e32 v82, v97, v82, vcc_lo
	v_and_b32_e32 v115, 3, v115
	v_and_b32_e32 v1, 0x80000000, v1
	v_lshl_add_u32 v82, v82, 23, 0x37800000
	v_cndmask_b32_e32 v51, v51, v115, vcc_lo
	v_lshlrev_b32_e32 v51, 21, v51
	v_or3_b32 v51, v1, v82, v51
.LBB4_9727:                             ;   in Loop: Header=BB4_9403 Depth=3
	s_or_b32 exec_lo, exec_lo, s22
	v_add_f32_e32 v1, v50, v51
	v_mov_b32_e32 v82, 0x80
	s_mov_b32 s22, exec_lo
	v_and_b32_e32 v50, 0x7f800000, v1
	v_cmpx_ne_u32_e32 0x7f800000, v50
	s_cbranch_execz .LBB4_9735
; %bb.9728:                             ;   in Loop: Header=BB4_9403 Depth=3
	v_mov_b32_e32 v82, 0
	s_mov_b32 s23, exec_lo
	v_cmpx_ne_u32_e32 0, v1
	s_cbranch_execz .LBB4_9734
; %bb.9729:                             ;   in Loop: Header=BB4_9403 Depth=3
	v_bfe_u32 v50, v1, 23, 8
	v_and_b32_e32 v51, 0x7fffff, v1
	v_sub_nc_u32_e32 v82, 0x70, v50
	v_cmp_gt_u32_e32 vcc_lo, 0x71, v50
	v_or_b32_e32 v97, 0x800000, v51
	v_cndmask_b32_e32 v82, 0, v82, vcc_lo
	v_cmp_eq_u32_e32 vcc_lo, 0, v50
	v_add_nc_u32_e32 v50, 0xffffff91, v50
	v_cndmask_b32_e64 v82, v82, 0x6f, vcc_lo
	v_cndmask_b32_e32 v51, v97, v51, vcc_lo
	v_cndmask_b32_e64 v50, v50, 0xffffff92, vcc_lo
	v_lshl_add_u32 v97, 0x200000, v82, -1
	v_lshrrev_b32_e32 v115, v82, v51
	v_lshlrev_b32_e64 v72, v82, 0x100000
	v_add_nc_u32_e32 v82, v82, v50
	v_and_b32_e32 v51, v97, v51
	v_bfe_u32 v40, v115, 21, 1
	v_cmp_eq_u32_e64 s16, v51, v72
	v_add_nc_u32_e32 v97, -1, v40
	v_cndmask_b32_e64 v51, 0, v97, s16
	v_lshrrev_b32_e32 v97, 23, v115
	s_mov_b32 s16, exec_lo
	v_add_nc_u32_e32 v51, v51, v115
	v_xor_b32_e32 v97, 1, v97
	v_and_b32_e32 v50, 0x1fffff, v51
	v_add_nc_u32_e32 v51, v50, v115
                                        ; implicit-def: $vgpr50
	v_cmpx_ne_u32_e64 v82, v97
	s_xor_b32 s16, exec_lo, s16
; %bb.9730:                             ;   in Loop: Header=BB4_9403 Depth=3
	v_cmp_lt_u32_e32 vcc_lo, 0xffffff, v51
	v_sub_nc_u32_e32 v50, v82, v97
	v_cndmask_b32_e64 v82, 0, 1, vcc_lo
	v_add_co_ci_u32_e64 v50, null, 0, v50, vcc_lo
	v_lshrrev_b32_e32 v51, v82, v51
; %bb.9731:                             ;   in Loop: Header=BB4_9403 Depth=3
	s_andn2_saveexec_b32 s16, s16
; %bb.9732:                             ;   in Loop: Header=BB4_9403 Depth=3
	v_bfe_u32 v50, v51, 23, 1
; %bb.9733:                             ;   in Loop: Header=BB4_9403 Depth=3
	s_or_b32 exec_lo, exec_lo, s16
	v_lshrrev_b32_e32 v51, 21, v51
	v_cmp_gt_i32_e32 vcc_lo, 32, v50
	v_min_i32_e32 v82, 31, v50
	v_and_b32_sdwa v1, v1, v101 dst_sel:DWORD dst_unused:UNUSED_PAD src0_sel:BYTE_3 src1_sel:DWORD
	v_cndmask_b32_e32 v51, 3, v51, vcc_lo
	v_lshlrev_b32_e32 v82, 2, v82
	v_and_b32_e32 v97, 3, v51
	v_or_b32_e32 v50, v50, v51
	v_or3_b32 v1, v82, v1, v97
	v_cmp_ne_u32_e32 vcc_lo, 0, v50
	v_cndmask_b32_e32 v82, 0, v1, vcc_lo
.LBB4_9734:                             ;   in Loop: Header=BB4_9403 Depth=3
	s_or_b32 exec_lo, exec_lo, s23
.LBB4_9735:                             ;   in Loop: Header=BB4_9403 Depth=3
	s_or_b32 exec_lo, exec_lo, s22
	v_cmp_gt_i16_sdwa s22, v80, v100 src0_sel:BYTE_0 src1_sel:DWORD
	s_mov_b32 s16, 0
	s_and_saveexec_b32 s23, s22
	s_xor_b32 s22, exec_lo, s23
	s_cbranch_execz .LBB4_10005
; %bb.9736:                             ;   in Loop: Header=BB4_9403 Depth=3
	v_cmp_eq_u16_sdwa s72, v80, v101 src0_sel:BYTE_0 src1_sel:DWORD
	s_mov_b32 s16, -1
	s_and_saveexec_b32 s23, s72
; %bb.9737:                             ;   in Loop: Header=BB4_9403 Depth=3
	s_xor_b32 s16, exec_lo, -1
; %bb.9738:                             ;   in Loop: Header=BB4_9403 Depth=3
	s_or_b32 exec_lo, exec_lo, s23
	s_and_b32 s16, s16, exec_lo
	s_or_saveexec_b32 s22, s22
	v_mov_b32_e32 v1, 0x7f800001
	s_xor_b32 exec_lo, exec_lo, s22
	s_cbranch_execnz .LBB4_10006
.LBB4_9739:                             ;   in Loop: Header=BB4_9403 Depth=3
	s_or_b32 exec_lo, exec_lo, s22
	s_and_saveexec_b32 s22, s16
	s_cbranch_execz .LBB4_9741
.LBB4_9740:                             ;   in Loop: Header=BB4_9403 Depth=3
	v_and_b32_e32 v1, 3, v80
	v_lshrrev_b16 v51, 2, v80
	v_ffbh_u32_e32 v50, v1
	v_and_b32_e32 v51, 31, v51
	v_min_u32_e32 v50, 32, v50
	v_cmp_eq_u32_e32 vcc_lo, 0, v51
	v_subrev_nc_u32_e32 v97, 29, v50
	v_sub_nc_u32_e32 v50, 30, v50
	v_lshlrev_b32_e32 v97, v97, v80
	v_lshlrev_b32_e32 v80, 24, v80
	v_cndmask_b32_e32 v50, v51, v50, vcc_lo
	v_and_b32_e32 v97, 3, v97
	v_and_b32_e32 v51, 0x80000000, v80
	v_lshl_add_u32 v50, v50, 23, 0x37800000
	v_cndmask_b32_e32 v1, v1, v97, vcc_lo
	v_lshlrev_b32_e32 v1, 21, v1
	v_or3_b32 v1, v51, v50, v1
.LBB4_9741:                             ;   in Loop: Header=BB4_9403 Depth=3
	s_or_b32 exec_lo, exec_lo, s22
	s_waitcnt vmcnt(10) lgkmcnt(10)
	v_cmp_gt_i16_sdwa s22, v35, v100 src0_sel:BYTE_0 src1_sel:DWORD
	s_mov_b32 s16, 0
	s_and_saveexec_b32 s23, s22
	s_xor_b32 s22, exec_lo, s23
	s_cbranch_execz .LBB4_10007
; %bb.9742:                             ;   in Loop: Header=BB4_9403 Depth=3
	v_cmp_eq_u16_sdwa s72, v35, v101 src0_sel:BYTE_0 src1_sel:DWORD
	s_mov_b32 s16, -1
	s_and_saveexec_b32 s23, s72
; %bb.9743:                             ;   in Loop: Header=BB4_9403 Depth=3
	s_xor_b32 s16, exec_lo, -1
; %bb.9744:                             ;   in Loop: Header=BB4_9403 Depth=3
	s_or_b32 exec_lo, exec_lo, s23
	s_and_b32 s16, s16, exec_lo
	s_or_saveexec_b32 s22, s22
	v_mov_b32_e32 v50, 0x7f800001
	s_xor_b32 exec_lo, exec_lo, s22
	s_cbranch_execnz .LBB4_10008
.LBB4_9745:                             ;   in Loop: Header=BB4_9403 Depth=3
	s_or_b32 exec_lo, exec_lo, s22
	s_and_saveexec_b32 s22, s16
	s_cbranch_execz .LBB4_9747
.LBB4_9746:                             ;   in Loop: Header=BB4_9403 Depth=3
	v_and_b32_e32 v50, 3, v35
	v_lshrrev_b16 v80, 2, v35
	v_ffbh_u32_e32 v51, v50
	v_and_b32_e32 v80, 31, v80
	v_min_u32_e32 v51, 32, v51
	v_cmp_eq_u32_e32 vcc_lo, 0, v80
	v_subrev_nc_u32_e32 v97, 29, v51
	v_sub_nc_u32_e32 v51, 30, v51
	v_lshlrev_b32_e32 v97, v97, v35
	v_lshlrev_b32_e32 v35, 24, v35
	v_cndmask_b32_e32 v51, v80, v51, vcc_lo
	v_and_b32_e32 v97, 3, v97
	v_and_b32_e32 v35, 0x80000000, v35
	v_lshl_add_u32 v51, v51, 23, 0x37800000
	v_cndmask_b32_e32 v50, v50, v97, vcc_lo
	v_lshlrev_b32_e32 v50, 21, v50
	v_or3_b32 v50, v35, v51, v50
.LBB4_9747:                             ;   in Loop: Header=BB4_9403 Depth=3
	s_or_b32 exec_lo, exec_lo, s22
	v_add_f32_e32 v1, v1, v50
	v_and_b32_e32 v35, 0x7f800000, v1
	v_cmp_ne_u32_e32 vcc_lo, 0x7f800000, v35
	v_mov_b32_e32 v35, 0x80
	s_and_saveexec_b32 s22, vcc_lo
	s_cbranch_execz .LBB4_9755
; %bb.9748:                             ;   in Loop: Header=BB4_9403 Depth=3
	v_mov_b32_e32 v35, 0
	s_mov_b32 s23, exec_lo
	v_cmpx_ne_u32_e32 0, v1
	s_cbranch_execz .LBB4_9754
; %bb.9749:                             ;   in Loop: Header=BB4_9403 Depth=3
	v_bfe_u32 v35, v1, 23, 8
	v_and_b32_e32 v50, 0x7fffff, v1
	v_sub_nc_u32_e32 v51, 0x70, v35
	v_cmp_gt_u32_e32 vcc_lo, 0x71, v35
	v_or_b32_e32 v80, 0x800000, v50
	v_cndmask_b32_e32 v51, 0, v51, vcc_lo
	v_cmp_eq_u32_e32 vcc_lo, 0, v35
	v_add_nc_u32_e32 v35, 0xffffff91, v35
	v_cndmask_b32_e64 v51, v51, 0x6f, vcc_lo
	v_cndmask_b32_e32 v50, v80, v50, vcc_lo
	v_cndmask_b32_e64 v35, v35, 0xffffff92, vcc_lo
	v_lshl_add_u32 v80, 0x200000, v51, -1
	v_lshrrev_b32_e32 v97, v51, v50
	v_lshlrev_b32_e64 v40, v51, 0x100000
	v_add_nc_u32_e32 v51, v51, v35
	v_and_b32_e32 v50, v80, v50
	v_bfe_u32 v115, v97, 21, 1
	v_cmp_eq_u32_e64 s16, v50, v40
	v_add_nc_u32_e32 v80, -1, v115
	v_cndmask_b32_e64 v50, 0, v80, s16
	v_lshrrev_b32_e32 v80, 23, v97
	s_mov_b32 s16, exec_lo
	v_add_nc_u32_e32 v50, v50, v97
	v_xor_b32_e32 v80, 1, v80
	v_and_b32_e32 v35, 0x1fffff, v50
	v_add_nc_u32_e32 v50, v35, v97
                                        ; implicit-def: $vgpr35
	v_cmpx_ne_u32_e64 v51, v80
	s_xor_b32 s16, exec_lo, s16
; %bb.9750:                             ;   in Loop: Header=BB4_9403 Depth=3
	v_cmp_lt_u32_e32 vcc_lo, 0xffffff, v50
	v_sub_nc_u32_e32 v35, v51, v80
	v_cndmask_b32_e64 v51, 0, 1, vcc_lo
	v_add_co_ci_u32_e64 v35, null, 0, v35, vcc_lo
	v_lshrrev_b32_e32 v50, v51, v50
; %bb.9751:                             ;   in Loop: Header=BB4_9403 Depth=3
	s_andn2_saveexec_b32 s16, s16
; %bb.9752:                             ;   in Loop: Header=BB4_9403 Depth=3
	v_bfe_u32 v35, v50, 23, 1
; %bb.9753:                             ;   in Loop: Header=BB4_9403 Depth=3
	s_or_b32 exec_lo, exec_lo, s16
	v_lshrrev_b32_e32 v50, 21, v50
	v_cmp_gt_i32_e32 vcc_lo, 32, v35
	v_min_i32_e32 v51, 31, v35
	v_and_b32_sdwa v1, v1, v101 dst_sel:DWORD dst_unused:UNUSED_PAD src0_sel:BYTE_3 src1_sel:DWORD
	v_cndmask_b32_e32 v50, 3, v50, vcc_lo
	v_lshlrev_b32_e32 v51, 2, v51
	v_and_b32_e32 v80, 3, v50
	v_or_b32_e32 v35, v35, v50
	v_or3_b32 v1, v51, v1, v80
	v_cmp_ne_u32_e32 vcc_lo, 0, v35
	v_cndmask_b32_e32 v35, 0, v1, vcc_lo
.LBB4_9754:                             ;   in Loop: Header=BB4_9403 Depth=3
	s_or_b32 exec_lo, exec_lo, s23
.LBB4_9755:                             ;   in Loop: Header=BB4_9403 Depth=3
	s_or_b32 exec_lo, exec_lo, s22
	v_cmp_gt_i16_sdwa s22, v64, v100 src0_sel:BYTE_0 src1_sel:DWORD
	s_mov_b32 s16, 0
	s_and_saveexec_b32 s23, s22
	s_xor_b32 s22, exec_lo, s23
	s_cbranch_execz .LBB4_10009
; %bb.9756:                             ;   in Loop: Header=BB4_9403 Depth=3
	v_cmp_eq_u16_sdwa s72, v64, v101 src0_sel:BYTE_0 src1_sel:DWORD
	s_mov_b32 s16, -1
	s_and_saveexec_b32 s23, s72
; %bb.9757:                             ;   in Loop: Header=BB4_9403 Depth=3
	s_xor_b32 s16, exec_lo, -1
; %bb.9758:                             ;   in Loop: Header=BB4_9403 Depth=3
	s_or_b32 exec_lo, exec_lo, s23
	s_and_b32 s16, s16, exec_lo
	s_or_saveexec_b32 s22, s22
	v_mov_b32_e32 v1, 0x7f800001
	s_xor_b32 exec_lo, exec_lo, s22
	s_cbranch_execnz .LBB4_10010
.LBB4_9759:                             ;   in Loop: Header=BB4_9403 Depth=3
	s_or_b32 exec_lo, exec_lo, s22
	s_and_saveexec_b32 s22, s16
	s_cbranch_execz .LBB4_9761
.LBB4_9760:                             ;   in Loop: Header=BB4_9403 Depth=3
	v_and_b32_e32 v1, 3, v64
	v_lshrrev_b16 v51, 2, v64
	v_ffbh_u32_e32 v50, v1
	v_and_b32_e32 v51, 31, v51
	v_min_u32_e32 v50, 32, v50
	v_cmp_eq_u32_e32 vcc_lo, 0, v51
	v_subrev_nc_u32_e32 v80, 29, v50
	v_sub_nc_u32_e32 v50, 30, v50
	v_lshlrev_b32_e32 v80, v80, v64
	v_lshlrev_b32_e32 v64, 24, v64
	v_cndmask_b32_e32 v50, v51, v50, vcc_lo
	v_and_b32_e32 v80, 3, v80
	v_and_b32_e32 v51, 0x80000000, v64
	v_lshl_add_u32 v50, v50, 23, 0x37800000
	v_cndmask_b32_e32 v1, v1, v80, vcc_lo
	v_lshlrev_b32_e32 v1, 21, v1
	v_or3_b32 v1, v51, v50, v1
.LBB4_9761:                             ;   in Loop: Header=BB4_9403 Depth=3
	s_or_b32 exec_lo, exec_lo, s22
	s_waitcnt vmcnt(9) lgkmcnt(9)
	v_cmp_gt_i16_sdwa s22, v31, v100 src0_sel:BYTE_0 src1_sel:DWORD
	s_mov_b32 s16, 0
	s_and_saveexec_b32 s23, s22
	s_xor_b32 s22, exec_lo, s23
	s_cbranch_execz .LBB4_10011
; %bb.9762:                             ;   in Loop: Header=BB4_9403 Depth=3
	v_cmp_eq_u16_sdwa s72, v31, v101 src0_sel:BYTE_0 src1_sel:DWORD
	s_mov_b32 s16, -1
	s_and_saveexec_b32 s23, s72
; %bb.9763:                             ;   in Loop: Header=BB4_9403 Depth=3
	s_xor_b32 s16, exec_lo, -1
; %bb.9764:                             ;   in Loop: Header=BB4_9403 Depth=3
	s_or_b32 exec_lo, exec_lo, s23
	s_and_b32 s16, s16, exec_lo
	s_or_saveexec_b32 s22, s22
	v_mov_b32_e32 v50, 0x7f800001
	s_xor_b32 exec_lo, exec_lo, s22
	s_cbranch_execnz .LBB4_10012
.LBB4_9765:                             ;   in Loop: Header=BB4_9403 Depth=3
	s_or_b32 exec_lo, exec_lo, s22
	s_and_saveexec_b32 s22, s16
	s_cbranch_execz .LBB4_9767
.LBB4_9766:                             ;   in Loop: Header=BB4_9403 Depth=3
	v_and_b32_e32 v50, 3, v31
	v_lshrrev_b16 v64, 2, v31
	v_ffbh_u32_e32 v51, v50
	v_and_b32_e32 v64, 31, v64
	v_min_u32_e32 v51, 32, v51
	v_cmp_eq_u32_e32 vcc_lo, 0, v64
	v_subrev_nc_u32_e32 v80, 29, v51
	v_sub_nc_u32_e32 v51, 30, v51
	v_lshlrev_b32_e32 v80, v80, v31
	v_lshlrev_b32_e32 v31, 24, v31
	v_cndmask_b32_e32 v51, v64, v51, vcc_lo
	v_and_b32_e32 v80, 3, v80
	v_and_b32_e32 v31, 0x80000000, v31
	v_lshl_add_u32 v51, v51, 23, 0x37800000
	v_cndmask_b32_e32 v50, v50, v80, vcc_lo
	v_lshlrev_b32_e32 v50, 21, v50
	v_or3_b32 v50, v31, v51, v50
.LBB4_9767:                             ;   in Loop: Header=BB4_9403 Depth=3
	s_or_b32 exec_lo, exec_lo, s22
	v_add_f32_e32 v1, v1, v50
	v_mov_b32_e32 v64, 0x80
	s_mov_b32 s22, exec_lo
	v_and_b32_e32 v31, 0x7f800000, v1
	v_cmpx_ne_u32_e32 0x7f800000, v31
	s_cbranch_execz .LBB4_9775
; %bb.9768:                             ;   in Loop: Header=BB4_9403 Depth=3
	v_mov_b32_e32 v64, 0
	s_mov_b32 s23, exec_lo
	v_cmpx_ne_u32_e32 0, v1
	s_cbranch_execz .LBB4_9774
; %bb.9769:                             ;   in Loop: Header=BB4_9403 Depth=3
	v_bfe_u32 v31, v1, 23, 8
	v_and_b32_e32 v50, 0x7fffff, v1
	v_sub_nc_u32_e32 v51, 0x70, v31
	v_cmp_gt_u32_e32 vcc_lo, 0x71, v31
	v_or_b32_e32 v64, 0x800000, v50
	v_cndmask_b32_e32 v51, 0, v51, vcc_lo
	v_cmp_eq_u32_e32 vcc_lo, 0, v31
	v_add_nc_u32_e32 v31, 0xffffff91, v31
	v_cndmask_b32_e64 v51, v51, 0x6f, vcc_lo
	v_cndmask_b32_e32 v50, v64, v50, vcc_lo
	v_cndmask_b32_e64 v31, v31, 0xffffff92, vcc_lo
	v_lshl_add_u32 v64, 0x200000, v51, -1
	v_lshrrev_b32_e32 v80, v51, v50
	v_lshlrev_b32_e64 v115, v51, 0x100000
	v_add_nc_u32_e32 v51, v51, v31
	v_and_b32_e32 v50, v64, v50
	v_bfe_u32 v97, v80, 21, 1
	v_cmp_eq_u32_e64 s16, v50, v115
	v_add_nc_u32_e32 v64, -1, v97
	v_cndmask_b32_e64 v50, 0, v64, s16
	v_lshrrev_b32_e32 v64, 23, v80
	s_mov_b32 s16, exec_lo
	v_add_nc_u32_e32 v50, v50, v80
	v_xor_b32_e32 v64, 1, v64
	v_and_b32_e32 v31, 0x1fffff, v50
	v_add_nc_u32_e32 v50, v31, v80
                                        ; implicit-def: $vgpr31
	v_cmpx_ne_u32_e64 v51, v64
	s_xor_b32 s16, exec_lo, s16
; %bb.9770:                             ;   in Loop: Header=BB4_9403 Depth=3
	v_cmp_lt_u32_e32 vcc_lo, 0xffffff, v50
	v_sub_nc_u32_e32 v31, v51, v64
	v_cndmask_b32_e64 v51, 0, 1, vcc_lo
	v_add_co_ci_u32_e64 v31, null, 0, v31, vcc_lo
	v_lshrrev_b32_e32 v50, v51, v50
; %bb.9771:                             ;   in Loop: Header=BB4_9403 Depth=3
	s_andn2_saveexec_b32 s16, s16
; %bb.9772:                             ;   in Loop: Header=BB4_9403 Depth=3
	v_bfe_u32 v31, v50, 23, 1
; %bb.9773:                             ;   in Loop: Header=BB4_9403 Depth=3
	s_or_b32 exec_lo, exec_lo, s16
	v_lshrrev_b32_e32 v50, 21, v50
	v_cmp_gt_i32_e32 vcc_lo, 32, v31
	v_min_i32_e32 v51, 31, v31
	v_and_b32_sdwa v1, v1, v101 dst_sel:DWORD dst_unused:UNUSED_PAD src0_sel:BYTE_3 src1_sel:DWORD
	v_cndmask_b32_e32 v50, 3, v50, vcc_lo
	v_lshlrev_b32_e32 v51, 2, v51
	v_and_b32_e32 v64, 3, v50
	v_or_b32_e32 v31, v31, v50
	v_or3_b32 v1, v51, v1, v64
	v_cmp_ne_u32_e32 vcc_lo, 0, v31
	v_cndmask_b32_e32 v64, 0, v1, vcc_lo
.LBB4_9774:                             ;   in Loop: Header=BB4_9403 Depth=3
	s_or_b32 exec_lo, exec_lo, s23
.LBB4_9775:                             ;   in Loop: Header=BB4_9403 Depth=3
	s_or_b32 exec_lo, exec_lo, s22
	v_cmp_gt_i16_sdwa s22, v54, v100 src0_sel:BYTE_0 src1_sel:DWORD
	s_mov_b32 s16, 0
	s_and_saveexec_b32 s23, s22
	s_xor_b32 s22, exec_lo, s23
	s_cbranch_execz .LBB4_10013
; %bb.9776:                             ;   in Loop: Header=BB4_9403 Depth=3
	v_cmp_eq_u16_sdwa s72, v54, v101 src0_sel:BYTE_0 src1_sel:DWORD
	s_mov_b32 s16, -1
	s_and_saveexec_b32 s23, s72
; %bb.9777:                             ;   in Loop: Header=BB4_9403 Depth=3
	s_xor_b32 s16, exec_lo, -1
; %bb.9778:                             ;   in Loop: Header=BB4_9403 Depth=3
	s_or_b32 exec_lo, exec_lo, s23
	s_and_b32 s16, s16, exec_lo
	s_or_saveexec_b32 s22, s22
	v_mov_b32_e32 v1, 0x7f800001
	s_xor_b32 exec_lo, exec_lo, s22
	s_cbranch_execnz .LBB4_10014
.LBB4_9779:                             ;   in Loop: Header=BB4_9403 Depth=3
	s_or_b32 exec_lo, exec_lo, s22
	s_and_saveexec_b32 s22, s16
	s_cbranch_execz .LBB4_9781
.LBB4_9780:                             ;   in Loop: Header=BB4_9403 Depth=3
	v_and_b32_e32 v1, 3, v54
	v_lshrrev_b16 v50, 2, v54
	v_ffbh_u32_e32 v31, v1
	v_and_b32_e32 v50, 31, v50
	v_min_u32_e32 v31, 32, v31
	v_cmp_eq_u32_e32 vcc_lo, 0, v50
	v_subrev_nc_u32_e32 v51, 29, v31
	v_sub_nc_u32_e32 v31, 30, v31
	v_lshlrev_b32_e32 v51, v51, v54
	v_lshlrev_b32_e32 v54, 24, v54
	v_cndmask_b32_e32 v31, v50, v31, vcc_lo
	v_and_b32_e32 v51, 3, v51
	v_and_b32_e32 v50, 0x80000000, v54
	v_lshl_add_u32 v31, v31, 23, 0x37800000
	v_cndmask_b32_e32 v1, v1, v51, vcc_lo
	v_lshlrev_b32_e32 v1, 21, v1
	v_or3_b32 v1, v50, v31, v1
.LBB4_9781:                             ;   in Loop: Header=BB4_9403 Depth=3
	s_or_b32 exec_lo, exec_lo, s22
	s_waitcnt vmcnt(8) lgkmcnt(8)
	v_cmp_gt_i16_sdwa s22, v96, v100 src0_sel:BYTE_0 src1_sel:DWORD
	s_mov_b32 s16, 0
	s_and_saveexec_b32 s23, s22
	s_xor_b32 s22, exec_lo, s23
	s_cbranch_execz .LBB4_10015
; %bb.9782:                             ;   in Loop: Header=BB4_9403 Depth=3
	v_cmp_eq_u16_sdwa s72, v96, v101 src0_sel:BYTE_0 src1_sel:DWORD
	s_mov_b32 s16, -1
	s_and_saveexec_b32 s23, s72
; %bb.9783:                             ;   in Loop: Header=BB4_9403 Depth=3
	s_xor_b32 s16, exec_lo, -1
; %bb.9784:                             ;   in Loop: Header=BB4_9403 Depth=3
	s_or_b32 exec_lo, exec_lo, s23
	s_and_b32 s16, s16, exec_lo
	s_or_saveexec_b32 s22, s22
	v_mov_b32_e32 v31, 0x7f800001
	s_xor_b32 exec_lo, exec_lo, s22
	s_cbranch_execnz .LBB4_10016
.LBB4_9785:                             ;   in Loop: Header=BB4_9403 Depth=3
	s_or_b32 exec_lo, exec_lo, s22
	s_and_saveexec_b32 s22, s16
	s_cbranch_execz .LBB4_9787
.LBB4_9786:                             ;   in Loop: Header=BB4_9403 Depth=3
	v_and_b32_e32 v31, 3, v96
	v_lshrrev_b16 v51, 2, v96
	v_lshlrev_b32_e32 v80, 24, v96
	v_ffbh_u32_e32 v50, v31
	v_and_b32_e32 v51, 31, v51
	v_min_u32_e32 v50, 32, v50
	v_cmp_eq_u32_e32 vcc_lo, 0, v51
	v_subrev_nc_u32_e32 v54, 29, v50
	v_sub_nc_u32_e32 v50, 30, v50
	v_lshlrev_b32_e32 v54, v54, v96
	v_cndmask_b32_e32 v50, v51, v50, vcc_lo
	v_and_b32_e32 v51, 0x80000000, v80
	v_and_b32_e32 v54, 3, v54
	v_lshl_add_u32 v50, v50, 23, 0x37800000
	v_cndmask_b32_e32 v31, v31, v54, vcc_lo
	v_lshlrev_b32_e32 v31, 21, v31
	v_or3_b32 v31, v51, v50, v31
.LBB4_9787:                             ;   in Loop: Header=BB4_9403 Depth=3
	s_or_b32 exec_lo, exec_lo, s22
	v_add_f32_e32 v1, v1, v31
	v_mov_b32_e32 v54, 0x80
	s_mov_b32 s22, exec_lo
	v_and_b32_e32 v31, 0x7f800000, v1
	v_cmpx_ne_u32_e32 0x7f800000, v31
	s_cbranch_execz .LBB4_9795
; %bb.9788:                             ;   in Loop: Header=BB4_9403 Depth=3
	v_mov_b32_e32 v54, 0
	s_mov_b32 s23, exec_lo
	v_cmpx_ne_u32_e32 0, v1
	s_cbranch_execz .LBB4_9794
; %bb.9789:                             ;   in Loop: Header=BB4_9403 Depth=3
	v_bfe_u32 v31, v1, 23, 8
	v_and_b32_e32 v50, 0x7fffff, v1
	v_sub_nc_u32_e32 v51, 0x70, v31
	v_cmp_gt_u32_e32 vcc_lo, 0x71, v31
	v_or_b32_e32 v54, 0x800000, v50
	v_cndmask_b32_e32 v51, 0, v51, vcc_lo
	v_cmp_eq_u32_e32 vcc_lo, 0, v31
	v_add_nc_u32_e32 v31, 0xffffff91, v31
	v_cndmask_b32_e64 v51, v51, 0x6f, vcc_lo
	v_cndmask_b32_e32 v50, v54, v50, vcc_lo
	v_cndmask_b32_e64 v31, v31, 0xffffff92, vcc_lo
	v_lshl_add_u32 v54, 0x200000, v51, -1
	v_lshrrev_b32_e32 v80, v51, v50
	v_lshlrev_b32_e64 v97, v51, 0x100000
	v_add_nc_u32_e32 v51, v51, v31
	v_and_b32_e32 v50, v54, v50
	v_bfe_u32 v96, v80, 21, 1
	v_cmp_eq_u32_e64 s16, v50, v97
	v_add_nc_u32_e32 v54, -1, v96
	v_cndmask_b32_e64 v50, 0, v54, s16
	v_lshrrev_b32_e32 v54, 23, v80
	s_mov_b32 s16, exec_lo
	v_add_nc_u32_e32 v50, v50, v80
	v_xor_b32_e32 v54, 1, v54
	v_and_b32_e32 v31, 0x1fffff, v50
	v_add_nc_u32_e32 v50, v31, v80
                                        ; implicit-def: $vgpr31
	v_cmpx_ne_u32_e64 v51, v54
	s_xor_b32 s16, exec_lo, s16
; %bb.9790:                             ;   in Loop: Header=BB4_9403 Depth=3
	v_cmp_lt_u32_e32 vcc_lo, 0xffffff, v50
	v_sub_nc_u32_e32 v31, v51, v54
	v_cndmask_b32_e64 v51, 0, 1, vcc_lo
	v_add_co_ci_u32_e64 v31, null, 0, v31, vcc_lo
	v_lshrrev_b32_e32 v50, v51, v50
; %bb.9791:                             ;   in Loop: Header=BB4_9403 Depth=3
	s_andn2_saveexec_b32 s16, s16
; %bb.9792:                             ;   in Loop: Header=BB4_9403 Depth=3
	v_bfe_u32 v31, v50, 23, 1
; %bb.9793:                             ;   in Loop: Header=BB4_9403 Depth=3
	s_or_b32 exec_lo, exec_lo, s16
	v_lshrrev_b32_e32 v50, 21, v50
	v_cmp_gt_i32_e32 vcc_lo, 32, v31
	v_min_i32_e32 v51, 31, v31
	v_and_b32_sdwa v1, v1, v101 dst_sel:DWORD dst_unused:UNUSED_PAD src0_sel:BYTE_3 src1_sel:DWORD
	v_cndmask_b32_e32 v50, 3, v50, vcc_lo
	v_lshlrev_b32_e32 v51, 2, v51
	v_and_b32_e32 v54, 3, v50
	v_or_b32_e32 v31, v31, v50
	v_or3_b32 v1, v51, v1, v54
	v_cmp_ne_u32_e32 vcc_lo, 0, v31
	v_cndmask_b32_e32 v54, 0, v1, vcc_lo
.LBB4_9794:                             ;   in Loop: Header=BB4_9403 Depth=3
	s_or_b32 exec_lo, exec_lo, s23
.LBB4_9795:                             ;   in Loop: Header=BB4_9403 Depth=3
	s_or_b32 exec_lo, exec_lo, s22
	v_cmp_gt_i16_sdwa s22, v37, v100 src0_sel:BYTE_0 src1_sel:DWORD
	s_mov_b32 s16, 0
	s_and_saveexec_b32 s23, s22
	s_xor_b32 s22, exec_lo, s23
	s_cbranch_execz .LBB4_10017
; %bb.9796:                             ;   in Loop: Header=BB4_9403 Depth=3
	v_cmp_eq_u16_sdwa s72, v37, v101 src0_sel:BYTE_0 src1_sel:DWORD
	s_mov_b32 s16, -1
	s_and_saveexec_b32 s23, s72
; %bb.9797:                             ;   in Loop: Header=BB4_9403 Depth=3
	s_xor_b32 s16, exec_lo, -1
; %bb.9798:                             ;   in Loop: Header=BB4_9403 Depth=3
	s_or_b32 exec_lo, exec_lo, s23
	s_and_b32 s16, s16, exec_lo
	s_or_saveexec_b32 s22, s22
	v_mov_b32_e32 v1, 0x7f800001
	s_xor_b32 exec_lo, exec_lo, s22
	s_cbranch_execnz .LBB4_10018
.LBB4_9799:                             ;   in Loop: Header=BB4_9403 Depth=3
	s_or_b32 exec_lo, exec_lo, s22
	s_and_saveexec_b32 s22, s16
	s_cbranch_execz .LBB4_9801
.LBB4_9800:                             ;   in Loop: Header=BB4_9403 Depth=3
	v_and_b32_e32 v1, 3, v37
	v_lshrrev_b16 v50, 2, v37
	v_ffbh_u32_e32 v31, v1
	v_and_b32_e32 v50, 31, v50
	v_min_u32_e32 v31, 32, v31
	v_cmp_eq_u32_e32 vcc_lo, 0, v50
	v_subrev_nc_u32_e32 v51, 29, v31
	v_sub_nc_u32_e32 v31, 30, v31
	v_lshlrev_b32_e32 v51, v51, v37
	v_lshlrev_b32_e32 v37, 24, v37
	v_cndmask_b32_e32 v31, v50, v31, vcc_lo
	v_and_b32_e32 v51, 3, v51
	v_and_b32_e32 v37, 0x80000000, v37
	v_lshl_add_u32 v31, v31, 23, 0x37800000
	v_cndmask_b32_e32 v1, v1, v51, vcc_lo
	v_lshlrev_b32_e32 v1, 21, v1
	v_or3_b32 v1, v37, v31, v1
.LBB4_9801:                             ;   in Loop: Header=BB4_9403 Depth=3
	s_or_b32 exec_lo, exec_lo, s22
	s_waitcnt vmcnt(7) lgkmcnt(7)
	v_cmp_gt_i16_sdwa s22, v63, v100 src0_sel:BYTE_0 src1_sel:DWORD
	s_mov_b32 s16, 0
	s_and_saveexec_b32 s23, s22
	s_xor_b32 s22, exec_lo, s23
	s_cbranch_execz .LBB4_10019
; %bb.9802:                             ;   in Loop: Header=BB4_9403 Depth=3
	v_cmp_eq_u16_sdwa s72, v63, v101 src0_sel:BYTE_0 src1_sel:DWORD
	s_mov_b32 s16, -1
	s_and_saveexec_b32 s23, s72
; %bb.9803:                             ;   in Loop: Header=BB4_9403 Depth=3
	s_xor_b32 s16, exec_lo, -1
; %bb.9804:                             ;   in Loop: Header=BB4_9403 Depth=3
	s_or_b32 exec_lo, exec_lo, s23
	s_and_b32 s16, s16, exec_lo
	s_or_saveexec_b32 s22, s22
	v_mov_b32_e32 v31, 0x7f800001
	s_xor_b32 exec_lo, exec_lo, s22
	s_cbranch_execnz .LBB4_10020
.LBB4_9805:                             ;   in Loop: Header=BB4_9403 Depth=3
	s_or_b32 exec_lo, exec_lo, s22
	s_and_saveexec_b32 s22, s16
	s_cbranch_execz .LBB4_9807
.LBB4_9806:                             ;   in Loop: Header=BB4_9403 Depth=3
	v_and_b32_e32 v31, 3, v63
	v_lshrrev_b16 v50, 2, v63
	v_lshlrev_b32_e32 v80, 24, v63
	v_ffbh_u32_e32 v37, v31
	v_and_b32_e32 v50, 31, v50
	v_min_u32_e32 v37, 32, v37
	v_cmp_eq_u32_e32 vcc_lo, 0, v50
	v_subrev_nc_u32_e32 v51, 29, v37
	v_sub_nc_u32_e32 v37, 30, v37
	v_lshlrev_b32_e32 v51, v51, v63
	v_cndmask_b32_e32 v37, v50, v37, vcc_lo
	v_and_b32_e32 v50, 0x80000000, v80
	v_and_b32_e32 v51, 3, v51
	v_lshl_add_u32 v37, v37, 23, 0x37800000
	v_cndmask_b32_e32 v31, v31, v51, vcc_lo
	v_lshlrev_b32_e32 v31, 21, v31
	v_or3_b32 v31, v50, v37, v31
.LBB4_9807:                             ;   in Loop: Header=BB4_9403 Depth=3
	s_or_b32 exec_lo, exec_lo, s22
	v_add_f32_e32 v1, v1, v31
	v_mov_b32_e32 v37, 0x80
	s_mov_b32 s22, exec_lo
	v_and_b32_e32 v31, 0x7f800000, v1
	v_cmpx_ne_u32_e32 0x7f800000, v31
	s_cbranch_execz .LBB4_9815
; %bb.9808:                             ;   in Loop: Header=BB4_9403 Depth=3
	v_mov_b32_e32 v37, 0
	s_mov_b32 s23, exec_lo
	v_cmpx_ne_u32_e32 0, v1
	s_cbranch_execz .LBB4_9814
; %bb.9809:                             ;   in Loop: Header=BB4_9403 Depth=3
	v_bfe_u32 v31, v1, 23, 8
	v_and_b32_e32 v37, 0x7fffff, v1
	v_sub_nc_u32_e32 v50, 0x70, v31
	v_cmp_gt_u32_e32 vcc_lo, 0x71, v31
	v_or_b32_e32 v51, 0x800000, v37
	v_cndmask_b32_e32 v50, 0, v50, vcc_lo
	v_cmp_eq_u32_e32 vcc_lo, 0, v31
	v_add_nc_u32_e32 v31, 0xffffff91, v31
	v_cndmask_b32_e64 v50, v50, 0x6f, vcc_lo
	v_cndmask_b32_e32 v37, v51, v37, vcc_lo
	v_cndmask_b32_e64 v31, v31, 0xffffff92, vcc_lo
	v_lshl_add_u32 v51, 0x200000, v50, -1
	v_lshrrev_b32_e32 v80, v50, v37
	v_lshlrev_b32_e64 v97, v50, 0x100000
	v_add_nc_u32_e32 v50, v50, v31
	v_and_b32_e32 v37, v51, v37
	v_bfe_u32 v96, v80, 21, 1
	v_cmp_eq_u32_e64 s16, v37, v97
	v_add_nc_u32_e32 v51, -1, v96
	v_cndmask_b32_e64 v37, 0, v51, s16
	v_lshrrev_b32_e32 v51, 23, v80
	s_mov_b32 s16, exec_lo
	v_add_nc_u32_e32 v37, v37, v80
	v_xor_b32_e32 v51, 1, v51
	v_and_b32_e32 v31, 0x1fffff, v37
	v_add_nc_u32_e32 v37, v31, v80
                                        ; implicit-def: $vgpr31
	v_cmpx_ne_u32_e64 v50, v51
	s_xor_b32 s16, exec_lo, s16
; %bb.9810:                             ;   in Loop: Header=BB4_9403 Depth=3
	v_cmp_lt_u32_e32 vcc_lo, 0xffffff, v37
	v_sub_nc_u32_e32 v31, v50, v51
	v_cndmask_b32_e64 v50, 0, 1, vcc_lo
	v_add_co_ci_u32_e64 v31, null, 0, v31, vcc_lo
	v_lshrrev_b32_e32 v37, v50, v37
; %bb.9811:                             ;   in Loop: Header=BB4_9403 Depth=3
	s_andn2_saveexec_b32 s16, s16
; %bb.9812:                             ;   in Loop: Header=BB4_9403 Depth=3
	v_bfe_u32 v31, v37, 23, 1
; %bb.9813:                             ;   in Loop: Header=BB4_9403 Depth=3
	s_or_b32 exec_lo, exec_lo, s16
	v_lshrrev_b32_e32 v37, 21, v37
	v_cmp_gt_i32_e32 vcc_lo, 32, v31
	v_min_i32_e32 v50, 31, v31
	v_and_b32_sdwa v1, v1, v101 dst_sel:DWORD dst_unused:UNUSED_PAD src0_sel:BYTE_3 src1_sel:DWORD
	v_cndmask_b32_e32 v37, 3, v37, vcc_lo
	v_lshlrev_b32_e32 v50, 2, v50
	v_and_b32_e32 v51, 3, v37
	v_or_b32_e32 v31, v31, v37
	v_or3_b32 v1, v50, v1, v51
	v_cmp_ne_u32_e32 vcc_lo, 0, v31
	v_cndmask_b32_e32 v37, 0, v1, vcc_lo
.LBB4_9814:                             ;   in Loop: Header=BB4_9403 Depth=3
	s_or_b32 exec_lo, exec_lo, s23
.LBB4_9815:                             ;   in Loop: Header=BB4_9403 Depth=3
	s_or_b32 exec_lo, exec_lo, s22
	v_cmp_gt_i16_sdwa s22, v4, v100 src0_sel:BYTE_0 src1_sel:DWORD
	s_mov_b32 s16, 0
	s_and_saveexec_b32 s23, s22
	s_xor_b32 s22, exec_lo, s23
	s_cbranch_execz .LBB4_10021
; %bb.9816:                             ;   in Loop: Header=BB4_9403 Depth=3
	v_cmp_eq_u16_sdwa s72, v4, v101 src0_sel:BYTE_0 src1_sel:DWORD
	s_mov_b32 s16, -1
	s_and_saveexec_b32 s23, s72
; %bb.9817:                             ;   in Loop: Header=BB4_9403 Depth=3
	s_xor_b32 s16, exec_lo, -1
; %bb.9818:                             ;   in Loop: Header=BB4_9403 Depth=3
	s_or_b32 exec_lo, exec_lo, s23
	s_and_b32 s16, s16, exec_lo
	s_or_saveexec_b32 s22, s22
	v_mov_b32_e32 v1, 0x7f800001
	s_xor_b32 exec_lo, exec_lo, s22
	s_cbranch_execnz .LBB4_10022
.LBB4_9819:                             ;   in Loop: Header=BB4_9403 Depth=3
	s_or_b32 exec_lo, exec_lo, s22
	s_and_saveexec_b32 s22, s16
	s_cbranch_execz .LBB4_9821
.LBB4_9820:                             ;   in Loop: Header=BB4_9403 Depth=3
	v_and_b32_e32 v1, 3, v4
	v_lshrrev_b16 v50, 2, v4
	v_ffbh_u32_e32 v31, v1
	v_and_b32_e32 v50, 31, v50
	v_min_u32_e32 v31, 32, v31
	v_cmp_eq_u32_e32 vcc_lo, 0, v50
	v_subrev_nc_u32_e32 v51, 29, v31
	v_sub_nc_u32_e32 v31, 30, v31
	v_lshlrev_b32_e32 v51, v51, v4
	v_lshlrev_b32_e32 v4, 24, v4
	v_cndmask_b32_e32 v31, v50, v31, vcc_lo
	v_and_b32_e32 v51, 3, v51
	v_and_b32_e32 v4, 0x80000000, v4
	v_lshl_add_u32 v31, v31, 23, 0x37800000
	v_cndmask_b32_e32 v1, v1, v51, vcc_lo
	v_lshlrev_b32_e32 v1, 21, v1
	v_or3_b32 v1, v4, v31, v1
.LBB4_9821:                             ;   in Loop: Header=BB4_9403 Depth=3
	s_or_b32 exec_lo, exec_lo, s22
	s_waitcnt vmcnt(6) lgkmcnt(6)
	v_cmp_gt_i16_sdwa s22, v62, v100 src0_sel:BYTE_0 src1_sel:DWORD
	s_mov_b32 s16, 0
	s_and_saveexec_b32 s23, s22
	s_xor_b32 s22, exec_lo, s23
	s_cbranch_execz .LBB4_10023
; %bb.9822:                             ;   in Loop: Header=BB4_9403 Depth=3
	v_cmp_eq_u16_sdwa s72, v62, v101 src0_sel:BYTE_0 src1_sel:DWORD
	s_mov_b32 s16, -1
	s_and_saveexec_b32 s23, s72
; %bb.9823:                             ;   in Loop: Header=BB4_9403 Depth=3
	s_xor_b32 s16, exec_lo, -1
; %bb.9824:                             ;   in Loop: Header=BB4_9403 Depth=3
	s_or_b32 exec_lo, exec_lo, s23
	s_and_b32 s16, s16, exec_lo
	s_or_saveexec_b32 s22, s22
	v_mov_b32_e32 v4, 0x7f800001
	s_xor_b32 exec_lo, exec_lo, s22
	s_cbranch_execnz .LBB4_10024
.LBB4_9825:                             ;   in Loop: Header=BB4_9403 Depth=3
	s_or_b32 exec_lo, exec_lo, s22
	s_and_saveexec_b32 s22, s16
	s_cbranch_execz .LBB4_9827
.LBB4_9826:                             ;   in Loop: Header=BB4_9403 Depth=3
	v_and_b32_e32 v4, 3, v62
	v_lshrrev_b16 v50, 2, v62
	v_lshlrev_b32_e32 v80, 24, v62
	v_ffbh_u32_e32 v31, v4
	v_and_b32_e32 v50, 31, v50
	v_min_u32_e32 v31, 32, v31
	v_cmp_eq_u32_e32 vcc_lo, 0, v50
	v_subrev_nc_u32_e32 v51, 29, v31
	v_sub_nc_u32_e32 v31, 30, v31
	v_lshlrev_b32_e32 v51, v51, v62
	v_cndmask_b32_e32 v31, v50, v31, vcc_lo
	v_and_b32_e32 v50, 0x80000000, v80
	v_and_b32_e32 v51, 3, v51
	v_lshl_add_u32 v31, v31, 23, 0x37800000
	v_cndmask_b32_e32 v4, v4, v51, vcc_lo
	v_lshlrev_b32_e32 v4, 21, v4
	v_or3_b32 v4, v50, v31, v4
.LBB4_9827:                             ;   in Loop: Header=BB4_9403 Depth=3
	s_or_b32 exec_lo, exec_lo, s22
	v_add_f32_e32 v1, v1, v4
	v_and_b32_e32 v4, 0x7f800000, v1
	v_cmp_ne_u32_e32 vcc_lo, 0x7f800000, v4
	v_mov_b32_e32 v4, 0x80
	s_and_saveexec_b32 s22, vcc_lo
	s_cbranch_execz .LBB4_9835
; %bb.9828:                             ;   in Loop: Header=BB4_9403 Depth=3
	v_mov_b32_e32 v4, 0
	s_mov_b32 s23, exec_lo
	v_cmpx_ne_u32_e32 0, v1
	s_cbranch_execz .LBB4_9834
; %bb.9829:                             ;   in Loop: Header=BB4_9403 Depth=3
	v_bfe_u32 v4, v1, 23, 8
	v_and_b32_e32 v31, 0x7fffff, v1
	v_sub_nc_u32_e32 v50, 0x70, v4
	v_cmp_gt_u32_e32 vcc_lo, 0x71, v4
	v_or_b32_e32 v51, 0x800000, v31
	v_cndmask_b32_e32 v50, 0, v50, vcc_lo
	v_cmp_eq_u32_e32 vcc_lo, 0, v4
	v_add_nc_u32_e32 v4, 0xffffff91, v4
	v_cndmask_b32_e64 v50, v50, 0x6f, vcc_lo
	v_cndmask_b32_e32 v31, v51, v31, vcc_lo
	v_cndmask_b32_e64 v4, v4, 0xffffff92, vcc_lo
	v_lshl_add_u32 v51, 0x200000, v50, -1
	v_lshrrev_b32_e32 v80, v50, v31
	v_lshlrev_b32_e64 v97, v50, 0x100000
	v_add_nc_u32_e32 v50, v50, v4
	v_and_b32_e32 v31, v51, v31
	v_bfe_u32 v96, v80, 21, 1
	v_cmp_eq_u32_e64 s16, v31, v97
	v_add_nc_u32_e32 v51, -1, v96
	v_cndmask_b32_e64 v31, 0, v51, s16
	v_lshrrev_b32_e32 v51, 23, v80
	s_mov_b32 s16, exec_lo
	v_add_nc_u32_e32 v31, v31, v80
	v_xor_b32_e32 v51, 1, v51
	v_and_b32_e32 v4, 0x1fffff, v31
	v_add_nc_u32_e32 v31, v4, v80
                                        ; implicit-def: $vgpr4
	v_cmpx_ne_u32_e64 v50, v51
	s_xor_b32 s16, exec_lo, s16
; %bb.9830:                             ;   in Loop: Header=BB4_9403 Depth=3
	v_cmp_lt_u32_e32 vcc_lo, 0xffffff, v31
	v_sub_nc_u32_e32 v4, v50, v51
	v_cndmask_b32_e64 v50, 0, 1, vcc_lo
	v_add_co_ci_u32_e64 v4, null, 0, v4, vcc_lo
	v_lshrrev_b32_e32 v31, v50, v31
; %bb.9831:                             ;   in Loop: Header=BB4_9403 Depth=3
	s_andn2_saveexec_b32 s16, s16
; %bb.9832:                             ;   in Loop: Header=BB4_9403 Depth=3
	v_bfe_u32 v4, v31, 23, 1
; %bb.9833:                             ;   in Loop: Header=BB4_9403 Depth=3
	s_or_b32 exec_lo, exec_lo, s16
	v_lshrrev_b32_e32 v31, 21, v31
	v_cmp_gt_i32_e32 vcc_lo, 32, v4
	v_min_i32_e32 v50, 31, v4
	v_and_b32_sdwa v1, v1, v101 dst_sel:DWORD dst_unused:UNUSED_PAD src0_sel:BYTE_3 src1_sel:DWORD
	v_cndmask_b32_e32 v31, 3, v31, vcc_lo
	v_lshlrev_b32_e32 v50, 2, v50
	v_and_b32_e32 v51, 3, v31
	v_or_b32_e32 v4, v4, v31
	v_or3_b32 v1, v50, v1, v51
	v_cmp_ne_u32_e32 vcc_lo, 0, v4
	v_cndmask_b32_e32 v4, 0, v1, vcc_lo
.LBB4_9834:                             ;   in Loop: Header=BB4_9403 Depth=3
	s_or_b32 exec_lo, exec_lo, s23
.LBB4_9835:                             ;   in Loop: Header=BB4_9403 Depth=3
	s_or_b32 exec_lo, exec_lo, s22
	v_cmp_gt_i16_sdwa s22, v36, v100 src0_sel:BYTE_0 src1_sel:DWORD
	s_mov_b32 s16, 0
	s_and_saveexec_b32 s23, s22
	s_xor_b32 s22, exec_lo, s23
	s_cbranch_execz .LBB4_10025
; %bb.9836:                             ;   in Loop: Header=BB4_9403 Depth=3
	v_cmp_eq_u16_sdwa s72, v36, v101 src0_sel:BYTE_0 src1_sel:DWORD
	s_mov_b32 s16, -1
	s_and_saveexec_b32 s23, s72
; %bb.9837:                             ;   in Loop: Header=BB4_9403 Depth=3
	s_xor_b32 s16, exec_lo, -1
; %bb.9838:                             ;   in Loop: Header=BB4_9403 Depth=3
	s_or_b32 exec_lo, exec_lo, s23
	s_and_b32 s16, s16, exec_lo
	s_or_saveexec_b32 s22, s22
	v_mov_b32_e32 v1, 0x7f800001
	s_xor_b32 exec_lo, exec_lo, s22
	s_cbranch_execnz .LBB4_10026
.LBB4_9839:                             ;   in Loop: Header=BB4_9403 Depth=3
	s_or_b32 exec_lo, exec_lo, s22
	s_and_saveexec_b32 s22, s16
	s_cbranch_execz .LBB4_9841
.LBB4_9840:                             ;   in Loop: Header=BB4_9403 Depth=3
	v_and_b32_e32 v1, 3, v36
	v_lshrrev_b16 v50, 2, v36
	v_ffbh_u32_e32 v31, v1
	v_and_b32_e32 v50, 31, v50
	v_min_u32_e32 v31, 32, v31
	v_cmp_eq_u32_e32 vcc_lo, 0, v50
	v_subrev_nc_u32_e32 v51, 29, v31
	v_sub_nc_u32_e32 v31, 30, v31
	v_lshlrev_b32_e32 v51, v51, v36
	v_lshlrev_b32_e32 v36, 24, v36
	v_cndmask_b32_e32 v31, v50, v31, vcc_lo
	v_and_b32_e32 v51, 3, v51
	v_and_b32_e32 v36, 0x80000000, v36
	v_lshl_add_u32 v31, v31, 23, 0x37800000
	v_cndmask_b32_e32 v1, v1, v51, vcc_lo
	v_lshlrev_b32_e32 v1, 21, v1
	v_or3_b32 v1, v36, v31, v1
.LBB4_9841:                             ;   in Loop: Header=BB4_9403 Depth=3
	s_or_b32 exec_lo, exec_lo, s22
	s_waitcnt vmcnt(5) lgkmcnt(5)
	v_cmp_gt_i16_sdwa s22, v34, v100 src0_sel:BYTE_0 src1_sel:DWORD
	s_mov_b32 s16, 0
	s_and_saveexec_b32 s23, s22
	s_xor_b32 s22, exec_lo, s23
	s_cbranch_execz .LBB4_10027
; %bb.9842:                             ;   in Loop: Header=BB4_9403 Depth=3
	v_cmp_eq_u16_sdwa s72, v34, v101 src0_sel:BYTE_0 src1_sel:DWORD
	s_mov_b32 s16, -1
	s_and_saveexec_b32 s23, s72
; %bb.9843:                             ;   in Loop: Header=BB4_9403 Depth=3
	s_xor_b32 s16, exec_lo, -1
; %bb.9844:                             ;   in Loop: Header=BB4_9403 Depth=3
	s_or_b32 exec_lo, exec_lo, s23
	s_and_b32 s16, s16, exec_lo
	s_or_saveexec_b32 s22, s22
	v_mov_b32_e32 v31, 0x7f800001
	s_xor_b32 exec_lo, exec_lo, s22
	s_cbranch_execnz .LBB4_10028
.LBB4_9845:                             ;   in Loop: Header=BB4_9403 Depth=3
	s_or_b32 exec_lo, exec_lo, s22
	s_and_saveexec_b32 s22, s16
	s_cbranch_execz .LBB4_9847
.LBB4_9846:                             ;   in Loop: Header=BB4_9403 Depth=3
	v_and_b32_e32 v31, 3, v34
	v_lshrrev_b16 v50, 2, v34
	v_ffbh_u32_e32 v36, v31
	v_and_b32_e32 v50, 31, v50
	v_min_u32_e32 v36, 32, v36
	v_cmp_eq_u32_e32 vcc_lo, 0, v50
	v_subrev_nc_u32_e32 v51, 29, v36
	v_sub_nc_u32_e32 v36, 30, v36
	v_lshlrev_b32_e32 v51, v51, v34
	v_lshlrev_b32_e32 v34, 24, v34
	v_cndmask_b32_e32 v36, v50, v36, vcc_lo
	v_and_b32_e32 v51, 3, v51
	v_and_b32_e32 v34, 0x80000000, v34
	v_lshl_add_u32 v36, v36, 23, 0x37800000
	v_cndmask_b32_e32 v31, v31, v51, vcc_lo
	v_lshlrev_b32_e32 v31, 21, v31
	v_or3_b32 v31, v34, v36, v31
.LBB4_9847:                             ;   in Loop: Header=BB4_9403 Depth=3
	s_or_b32 exec_lo, exec_lo, s22
	v_add_f32_e32 v31, v1, v31
	v_and_b32_e32 v1, 0x7f800000, v31
	v_cmp_ne_u32_e32 vcc_lo, 0x7f800000, v1
	v_mov_b32_e32 v1, 0x80
	s_and_saveexec_b32 s22, vcc_lo
	s_cbranch_execz .LBB4_9855
; %bb.9848:                             ;   in Loop: Header=BB4_9403 Depth=3
	v_mov_b32_e32 v1, 0
	s_mov_b32 s23, exec_lo
	v_cmpx_ne_u32_e32 0, v31
	s_cbranch_execz .LBB4_9854
; %bb.9849:                             ;   in Loop: Header=BB4_9403 Depth=3
	v_bfe_u32 v1, v31, 23, 8
	v_and_b32_e32 v34, 0x7fffff, v31
	v_sub_nc_u32_e32 v36, 0x70, v1
	v_cmp_gt_u32_e32 vcc_lo, 0x71, v1
	v_or_b32_e32 v50, 0x800000, v34
	v_cndmask_b32_e32 v36, 0, v36, vcc_lo
	v_cmp_eq_u32_e32 vcc_lo, 0, v1
	v_add_nc_u32_e32 v1, 0xffffff91, v1
	v_cndmask_b32_e64 v36, v36, 0x6f, vcc_lo
	v_cndmask_b32_e32 v34, v50, v34, vcc_lo
	v_cndmask_b32_e64 v1, v1, 0xffffff92, vcc_lo
	v_lshl_add_u32 v50, 0x200000, v36, -1
	v_lshrrev_b32_e32 v51, v36, v34
	v_lshlrev_b32_e64 v96, v36, 0x100000
	v_add_nc_u32_e32 v36, v36, v1
	v_and_b32_e32 v34, v50, v34
	v_bfe_u32 v80, v51, 21, 1
	v_cmp_eq_u32_e64 s16, v34, v96
	v_add_nc_u32_e32 v50, -1, v80
	v_cndmask_b32_e64 v34, 0, v50, s16
	v_lshrrev_b32_e32 v50, 23, v51
	s_mov_b32 s16, exec_lo
	v_add_nc_u32_e32 v34, v34, v51
	v_xor_b32_e32 v50, 1, v50
	v_and_b32_e32 v1, 0x1fffff, v34
	v_add_nc_u32_e32 v34, v1, v51
                                        ; implicit-def: $vgpr1
	v_cmpx_ne_u32_e64 v36, v50
	s_xor_b32 s16, exec_lo, s16
; %bb.9850:                             ;   in Loop: Header=BB4_9403 Depth=3
	v_cmp_lt_u32_e32 vcc_lo, 0xffffff, v34
	v_sub_nc_u32_e32 v1, v36, v50
	v_cndmask_b32_e64 v36, 0, 1, vcc_lo
	v_add_co_ci_u32_e64 v1, null, 0, v1, vcc_lo
	v_lshrrev_b32_e32 v34, v36, v34
; %bb.9851:                             ;   in Loop: Header=BB4_9403 Depth=3
	s_andn2_saveexec_b32 s16, s16
; %bb.9852:                             ;   in Loop: Header=BB4_9403 Depth=3
	v_bfe_u32 v1, v34, 23, 1
; %bb.9853:                             ;   in Loop: Header=BB4_9403 Depth=3
	s_or_b32 exec_lo, exec_lo, s16
	v_lshrrev_b32_e32 v34, 21, v34
	v_cmp_gt_i32_e32 vcc_lo, 32, v1
	v_min_i32_e32 v36, 31, v1
	v_and_b32_sdwa v31, v31, v101 dst_sel:DWORD dst_unused:UNUSED_PAD src0_sel:BYTE_3 src1_sel:DWORD
	v_cndmask_b32_e32 v34, 3, v34, vcc_lo
	v_lshlrev_b32_e32 v36, 2, v36
	v_and_b32_e32 v50, 3, v34
	v_or_b32_e32 v1, v1, v34
	v_or3_b32 v31, v36, v31, v50
	v_cmp_ne_u32_e32 vcc_lo, 0, v1
	v_cndmask_b32_e32 v1, 0, v31, vcc_lo
.LBB4_9854:                             ;   in Loop: Header=BB4_9403 Depth=3
	s_or_b32 exec_lo, exec_lo, s23
.LBB4_9855:                             ;   in Loop: Header=BB4_9403 Depth=3
	s_or_b32 exec_lo, exec_lo, s22
	v_cmp_gt_i16_sdwa s22, v21, v100 src0_sel:BYTE_0 src1_sel:DWORD
	s_mov_b32 s16, 0
	s_and_saveexec_b32 s23, s22
	s_xor_b32 s22, exec_lo, s23
	s_cbranch_execz .LBB4_10029
; %bb.9856:                             ;   in Loop: Header=BB4_9403 Depth=3
	v_cmp_eq_u16_sdwa s72, v21, v101 src0_sel:BYTE_0 src1_sel:DWORD
	s_mov_b32 s16, -1
	s_and_saveexec_b32 s23, s72
; %bb.9857:                             ;   in Loop: Header=BB4_9403 Depth=3
	s_xor_b32 s16, exec_lo, -1
; %bb.9858:                             ;   in Loop: Header=BB4_9403 Depth=3
	s_or_b32 exec_lo, exec_lo, s23
	s_and_b32 s16, s16, exec_lo
	s_or_saveexec_b32 s22, s22
	v_mov_b32_e32 v31, 0x7f800001
	s_xor_b32 exec_lo, exec_lo, s22
	s_cbranch_execnz .LBB4_10030
.LBB4_9859:                             ;   in Loop: Header=BB4_9403 Depth=3
	s_or_b32 exec_lo, exec_lo, s22
	s_and_saveexec_b32 s22, s16
	s_cbranch_execz .LBB4_9861
.LBB4_9860:                             ;   in Loop: Header=BB4_9403 Depth=3
	v_and_b32_e32 v31, 3, v21
	v_lshrrev_b16 v36, 2, v21
	v_ffbh_u32_e32 v34, v31
	v_and_b32_e32 v36, 31, v36
	v_min_u32_e32 v34, 32, v34
	v_cmp_eq_u32_e32 vcc_lo, 0, v36
	v_subrev_nc_u32_e32 v50, 29, v34
	v_sub_nc_u32_e32 v34, 30, v34
	v_lshlrev_b32_e32 v50, v50, v21
	v_lshlrev_b32_e32 v21, 24, v21
	v_cndmask_b32_e32 v34, v36, v34, vcc_lo
	v_and_b32_e32 v50, 3, v50
	v_and_b32_e32 v21, 0x80000000, v21
	v_lshl_add_u32 v34, v34, 23, 0x37800000
	v_cndmask_b32_e32 v31, v31, v50, vcc_lo
	v_lshlrev_b32_e32 v31, 21, v31
	v_or3_b32 v31, v21, v34, v31
.LBB4_9861:                             ;   in Loop: Header=BB4_9403 Depth=3
	s_or_b32 exec_lo, exec_lo, s22
	s_waitcnt vmcnt(4) lgkmcnt(4)
	v_cmp_gt_i16_sdwa s22, v83, v100 src0_sel:BYTE_0 src1_sel:DWORD
	s_mov_b32 s16, 0
	s_and_saveexec_b32 s23, s22
	s_xor_b32 s22, exec_lo, s23
	s_cbranch_execz .LBB4_10031
; %bb.9862:                             ;   in Loop: Header=BB4_9403 Depth=3
	v_cmp_eq_u16_sdwa s72, v83, v101 src0_sel:BYTE_0 src1_sel:DWORD
	s_mov_b32 s16, -1
	s_and_saveexec_b32 s23, s72
; %bb.9863:                             ;   in Loop: Header=BB4_9403 Depth=3
	s_xor_b32 s16, exec_lo, -1
; %bb.9864:                             ;   in Loop: Header=BB4_9403 Depth=3
	s_or_b32 exec_lo, exec_lo, s23
	s_and_b32 s16, s16, exec_lo
	s_or_saveexec_b32 s22, s22
	v_mov_b32_e32 v21, 0x7f800001
	s_xor_b32 exec_lo, exec_lo, s22
	s_cbranch_execnz .LBB4_10032
.LBB4_9865:                             ;   in Loop: Header=BB4_9403 Depth=3
	s_or_b32 exec_lo, exec_lo, s22
	s_and_saveexec_b32 s22, s16
	s_cbranch_execz .LBB4_9867
.LBB4_9866:                             ;   in Loop: Header=BB4_9403 Depth=3
	v_and_b32_e32 v21, 3, v83
	v_lshrrev_b16 v36, 2, v83
	v_lshlrev_b32_e32 v51, 24, v83
	v_ffbh_u32_e32 v34, v21
	v_and_b32_e32 v36, 31, v36
	v_min_u32_e32 v34, 32, v34
	v_cmp_eq_u32_e32 vcc_lo, 0, v36
	v_subrev_nc_u32_e32 v50, 29, v34
	v_sub_nc_u32_e32 v34, 30, v34
	v_lshlrev_b32_e32 v50, v50, v83
	v_cndmask_b32_e32 v34, v36, v34, vcc_lo
	v_and_b32_e32 v36, 0x80000000, v51
	v_and_b32_e32 v50, 3, v50
	v_lshl_add_u32 v34, v34, 23, 0x37800000
	v_cndmask_b32_e32 v21, v21, v50, vcc_lo
	v_lshlrev_b32_e32 v21, 21, v21
	v_or3_b32 v21, v36, v34, v21
.LBB4_9867:                             ;   in Loop: Header=BB4_9403 Depth=3
	s_or_b32 exec_lo, exec_lo, s22
	v_add_f32_e32 v31, v31, v21
	v_and_b32_e32 v21, 0x7f800000, v31
	v_cmp_ne_u32_e32 vcc_lo, 0x7f800000, v21
	v_mov_b32_e32 v21, 0x80
	s_and_saveexec_b32 s22, vcc_lo
	s_cbranch_execz .LBB4_9875
; %bb.9868:                             ;   in Loop: Header=BB4_9403 Depth=3
	v_mov_b32_e32 v21, 0
	s_mov_b32 s23, exec_lo
	v_cmpx_ne_u32_e32 0, v31
	s_cbranch_execz .LBB4_9874
; %bb.9869:                             ;   in Loop: Header=BB4_9403 Depth=3
	v_bfe_u32 v21, v31, 23, 8
	v_and_b32_e32 v34, 0x7fffff, v31
	v_sub_nc_u32_e32 v36, 0x70, v21
	v_cmp_gt_u32_e32 vcc_lo, 0x71, v21
	v_or_b32_e32 v50, 0x800000, v34
	v_cndmask_b32_e32 v36, 0, v36, vcc_lo
	v_cmp_eq_u32_e32 vcc_lo, 0, v21
	v_add_nc_u32_e32 v21, 0xffffff91, v21
	v_cndmask_b32_e64 v36, v36, 0x6f, vcc_lo
	v_cndmask_b32_e32 v34, v50, v34, vcc_lo
	v_cndmask_b32_e64 v21, v21, 0xffffff92, vcc_lo
	v_lshl_add_u32 v50, 0x200000, v36, -1
	v_lshrrev_b32_e32 v51, v36, v34
	v_lshlrev_b32_e64 v83, v36, 0x100000
	v_add_nc_u32_e32 v36, v36, v21
	v_and_b32_e32 v34, v50, v34
	v_bfe_u32 v80, v51, 21, 1
	v_cmp_eq_u32_e64 s16, v34, v83
	v_add_nc_u32_e32 v50, -1, v80
	v_cndmask_b32_e64 v34, 0, v50, s16
	v_lshrrev_b32_e32 v50, 23, v51
	s_mov_b32 s16, exec_lo
	v_add_nc_u32_e32 v34, v34, v51
	v_xor_b32_e32 v50, 1, v50
	v_and_b32_e32 v21, 0x1fffff, v34
	v_add_nc_u32_e32 v34, v21, v51
                                        ; implicit-def: $vgpr21
	v_cmpx_ne_u32_e64 v36, v50
	s_xor_b32 s16, exec_lo, s16
; %bb.9870:                             ;   in Loop: Header=BB4_9403 Depth=3
	v_cmp_lt_u32_e32 vcc_lo, 0xffffff, v34
	v_sub_nc_u32_e32 v21, v36, v50
	v_cndmask_b32_e64 v36, 0, 1, vcc_lo
	v_add_co_ci_u32_e64 v21, null, 0, v21, vcc_lo
	v_lshrrev_b32_e32 v34, v36, v34
; %bb.9871:                             ;   in Loop: Header=BB4_9403 Depth=3
	s_andn2_saveexec_b32 s16, s16
; %bb.9872:                             ;   in Loop: Header=BB4_9403 Depth=3
	v_bfe_u32 v21, v34, 23, 1
; %bb.9873:                             ;   in Loop: Header=BB4_9403 Depth=3
	s_or_b32 exec_lo, exec_lo, s16
	v_lshrrev_b32_e32 v34, 21, v34
	v_cmp_gt_i32_e32 vcc_lo, 32, v21
	v_min_i32_e32 v36, 31, v21
	v_and_b32_sdwa v31, v31, v101 dst_sel:DWORD dst_unused:UNUSED_PAD src0_sel:BYTE_3 src1_sel:DWORD
	v_cndmask_b32_e32 v34, 3, v34, vcc_lo
	v_lshlrev_b32_e32 v36, 2, v36
	v_and_b32_e32 v50, 3, v34
	v_or_b32_e32 v21, v21, v34
	v_or3_b32 v31, v36, v31, v50
	v_cmp_ne_u32_e32 vcc_lo, 0, v21
	v_cndmask_b32_e32 v21, 0, v31, vcc_lo
.LBB4_9874:                             ;   in Loop: Header=BB4_9403 Depth=3
	s_or_b32 exec_lo, exec_lo, s23
.LBB4_9875:                             ;   in Loop: Header=BB4_9403 Depth=3
	s_or_b32 exec_lo, exec_lo, s22
	v_cmp_gt_i16_sdwa s22, v20, v100 src0_sel:BYTE_0 src1_sel:DWORD
	s_mov_b32 s16, 0
	s_and_saveexec_b32 s23, s22
	s_xor_b32 s22, exec_lo, s23
	s_cbranch_execz .LBB4_10033
; %bb.9876:                             ;   in Loop: Header=BB4_9403 Depth=3
	v_cmp_eq_u16_sdwa s72, v20, v101 src0_sel:BYTE_0 src1_sel:DWORD
	s_mov_b32 s16, -1
	s_and_saveexec_b32 s23, s72
; %bb.9877:                             ;   in Loop: Header=BB4_9403 Depth=3
	s_xor_b32 s16, exec_lo, -1
; %bb.9878:                             ;   in Loop: Header=BB4_9403 Depth=3
	s_or_b32 exec_lo, exec_lo, s23
	s_and_b32 s16, s16, exec_lo
	s_or_saveexec_b32 s22, s22
	v_mov_b32_e32 v31, 0x7f800001
	s_xor_b32 exec_lo, exec_lo, s22
	s_cbranch_execnz .LBB4_10034
.LBB4_9879:                             ;   in Loop: Header=BB4_9403 Depth=3
	s_or_b32 exec_lo, exec_lo, s22
	s_and_saveexec_b32 s22, s16
	s_cbranch_execz .LBB4_9881
.LBB4_9880:                             ;   in Loop: Header=BB4_9403 Depth=3
	v_and_b32_e32 v31, 3, v20
	v_lshrrev_b16 v36, 2, v20
	v_ffbh_u32_e32 v34, v31
	v_and_b32_e32 v36, 31, v36
	v_min_u32_e32 v34, 32, v34
	v_cmp_eq_u32_e32 vcc_lo, 0, v36
	v_subrev_nc_u32_e32 v50, 29, v34
	v_sub_nc_u32_e32 v34, 30, v34
	v_lshlrev_b32_e32 v50, v50, v20
	v_lshlrev_b32_e32 v20, 24, v20
	v_cndmask_b32_e32 v34, v36, v34, vcc_lo
	v_and_b32_e32 v50, 3, v50
	v_and_b32_e32 v20, 0x80000000, v20
	v_lshl_add_u32 v34, v34, 23, 0x37800000
	v_cndmask_b32_e32 v31, v31, v50, vcc_lo
	v_lshlrev_b32_e32 v31, 21, v31
	v_or3_b32 v31, v20, v34, v31
.LBB4_9881:                             ;   in Loop: Header=BB4_9403 Depth=3
	s_or_b32 exec_lo, exec_lo, s22
	s_waitcnt vmcnt(3) lgkmcnt(3)
	v_cmp_gt_i16_sdwa s22, v65, v100 src0_sel:BYTE_0 src1_sel:DWORD
	s_mov_b32 s16, 0
	s_and_saveexec_b32 s23, s22
	s_xor_b32 s22, exec_lo, s23
	s_cbranch_execz .LBB4_10035
; %bb.9882:                             ;   in Loop: Header=BB4_9403 Depth=3
	v_cmp_eq_u16_sdwa s72, v65, v101 src0_sel:BYTE_0 src1_sel:DWORD
	s_mov_b32 s16, -1
	s_and_saveexec_b32 s23, s72
; %bb.9883:                             ;   in Loop: Header=BB4_9403 Depth=3
	s_xor_b32 s16, exec_lo, -1
; %bb.9884:                             ;   in Loop: Header=BB4_9403 Depth=3
	s_or_b32 exec_lo, exec_lo, s23
	s_and_b32 s16, s16, exec_lo
	s_or_saveexec_b32 s22, s22
	v_mov_b32_e32 v20, 0x7f800001
	s_xor_b32 exec_lo, exec_lo, s22
	s_cbranch_execnz .LBB4_10036
.LBB4_9885:                             ;   in Loop: Header=BB4_9403 Depth=3
	s_or_b32 exec_lo, exec_lo, s22
	s_and_saveexec_b32 s22, s16
	s_cbranch_execz .LBB4_9887
.LBB4_9886:                             ;   in Loop: Header=BB4_9403 Depth=3
	v_and_b32_e32 v20, 3, v65
	v_lshrrev_b16 v36, 2, v65
	v_lshlrev_b32_e32 v51, 24, v65
	v_ffbh_u32_e32 v34, v20
	v_and_b32_e32 v36, 31, v36
	v_min_u32_e32 v34, 32, v34
	v_cmp_eq_u32_e32 vcc_lo, 0, v36
	v_subrev_nc_u32_e32 v50, 29, v34
	v_sub_nc_u32_e32 v34, 30, v34
	v_lshlrev_b32_e32 v50, v50, v65
	v_cndmask_b32_e32 v34, v36, v34, vcc_lo
	v_and_b32_e32 v36, 0x80000000, v51
	v_and_b32_e32 v50, 3, v50
	v_lshl_add_u32 v34, v34, 23, 0x37800000
	v_cndmask_b32_e32 v20, v20, v50, vcc_lo
	v_lshlrev_b32_e32 v20, 21, v20
	v_or3_b32 v20, v36, v34, v20
.LBB4_9887:                             ;   in Loop: Header=BB4_9403 Depth=3
	s_or_b32 exec_lo, exec_lo, s22
	v_add_f32_e32 v31, v31, v20
	v_and_b32_e32 v20, 0x7f800000, v31
	v_cmp_ne_u32_e32 vcc_lo, 0x7f800000, v20
	v_mov_b32_e32 v20, 0x80
	s_and_saveexec_b32 s22, vcc_lo
	s_cbranch_execz .LBB4_9895
; %bb.9888:                             ;   in Loop: Header=BB4_9403 Depth=3
	v_mov_b32_e32 v20, 0
	s_mov_b32 s23, exec_lo
	v_cmpx_ne_u32_e32 0, v31
	s_cbranch_execz .LBB4_9894
; %bb.9889:                             ;   in Loop: Header=BB4_9403 Depth=3
	v_bfe_u32 v20, v31, 23, 8
	v_and_b32_e32 v34, 0x7fffff, v31
	v_sub_nc_u32_e32 v36, 0x70, v20
	v_cmp_gt_u32_e32 vcc_lo, 0x71, v20
	v_or_b32_e32 v50, 0x800000, v34
	v_cndmask_b32_e32 v36, 0, v36, vcc_lo
	v_cmp_eq_u32_e32 vcc_lo, 0, v20
	v_add_nc_u32_e32 v20, 0xffffff91, v20
	v_cndmask_b32_e64 v36, v36, 0x6f, vcc_lo
	v_cndmask_b32_e32 v34, v50, v34, vcc_lo
	v_cndmask_b32_e64 v20, v20, 0xffffff92, vcc_lo
	v_lshl_add_u32 v50, 0x200000, v36, -1
	v_lshrrev_b32_e32 v51, v36, v34
	v_lshlrev_b32_e64 v80, v36, 0x100000
	v_add_nc_u32_e32 v36, v36, v20
	v_and_b32_e32 v34, v50, v34
	v_bfe_u32 v65, v51, 21, 1
	v_cmp_eq_u32_e64 s16, v34, v80
	v_add_nc_u32_e32 v50, -1, v65
	v_cndmask_b32_e64 v34, 0, v50, s16
	v_lshrrev_b32_e32 v50, 23, v51
	s_mov_b32 s16, exec_lo
	v_add_nc_u32_e32 v34, v34, v51
	v_xor_b32_e32 v50, 1, v50
	v_and_b32_e32 v20, 0x1fffff, v34
	v_add_nc_u32_e32 v34, v20, v51
                                        ; implicit-def: $vgpr20
	v_cmpx_ne_u32_e64 v36, v50
	s_xor_b32 s16, exec_lo, s16
; %bb.9890:                             ;   in Loop: Header=BB4_9403 Depth=3
	v_cmp_lt_u32_e32 vcc_lo, 0xffffff, v34
	v_sub_nc_u32_e32 v20, v36, v50
	v_cndmask_b32_e64 v36, 0, 1, vcc_lo
	v_add_co_ci_u32_e64 v20, null, 0, v20, vcc_lo
	v_lshrrev_b32_e32 v34, v36, v34
; %bb.9891:                             ;   in Loop: Header=BB4_9403 Depth=3
	s_andn2_saveexec_b32 s16, s16
; %bb.9892:                             ;   in Loop: Header=BB4_9403 Depth=3
	v_bfe_u32 v20, v34, 23, 1
; %bb.9893:                             ;   in Loop: Header=BB4_9403 Depth=3
	s_or_b32 exec_lo, exec_lo, s16
	v_lshrrev_b32_e32 v34, 21, v34
	v_cmp_gt_i32_e32 vcc_lo, 32, v20
	v_min_i32_e32 v36, 31, v20
	v_and_b32_sdwa v31, v31, v101 dst_sel:DWORD dst_unused:UNUSED_PAD src0_sel:BYTE_3 src1_sel:DWORD
	v_cndmask_b32_e32 v34, 3, v34, vcc_lo
	v_lshlrev_b32_e32 v36, 2, v36
	v_and_b32_e32 v50, 3, v34
	v_or_b32_e32 v20, v20, v34
	v_or3_b32 v31, v36, v31, v50
	v_cmp_ne_u32_e32 vcc_lo, 0, v20
	v_cndmask_b32_e32 v20, 0, v31, vcc_lo
.LBB4_9894:                             ;   in Loop: Header=BB4_9403 Depth=3
	s_or_b32 exec_lo, exec_lo, s23
.LBB4_9895:                             ;   in Loop: Header=BB4_9403 Depth=3
	s_or_b32 exec_lo, exec_lo, s22
	v_cmp_gt_i16_sdwa s22, v18, v100 src0_sel:BYTE_0 src1_sel:DWORD
	s_mov_b32 s16, 0
	s_and_saveexec_b32 s23, s22
	s_xor_b32 s22, exec_lo, s23
	s_cbranch_execz .LBB4_10037
; %bb.9896:                             ;   in Loop: Header=BB4_9403 Depth=3
	v_cmp_eq_u16_sdwa s72, v18, v101 src0_sel:BYTE_0 src1_sel:DWORD
	s_mov_b32 s16, -1
	s_and_saveexec_b32 s23, s72
; %bb.9897:                             ;   in Loop: Header=BB4_9403 Depth=3
	s_xor_b32 s16, exec_lo, -1
; %bb.9898:                             ;   in Loop: Header=BB4_9403 Depth=3
	s_or_b32 exec_lo, exec_lo, s23
	s_and_b32 s16, s16, exec_lo
	s_or_saveexec_b32 s22, s22
	v_mov_b32_e32 v31, 0x7f800001
	s_xor_b32 exec_lo, exec_lo, s22
	s_cbranch_execnz .LBB4_10038
.LBB4_9899:                             ;   in Loop: Header=BB4_9403 Depth=3
	s_or_b32 exec_lo, exec_lo, s22
	s_and_saveexec_b32 s22, s16
	s_cbranch_execz .LBB4_9901
.LBB4_9900:                             ;   in Loop: Header=BB4_9403 Depth=3
	v_and_b32_e32 v31, 3, v18
	v_lshrrev_b16 v36, 2, v18
	v_ffbh_u32_e32 v34, v31
	v_and_b32_e32 v36, 31, v36
	v_min_u32_e32 v34, 32, v34
	v_cmp_eq_u32_e32 vcc_lo, 0, v36
	v_subrev_nc_u32_e32 v50, 29, v34
	v_sub_nc_u32_e32 v34, 30, v34
	v_lshlrev_b32_e32 v50, v50, v18
	v_lshlrev_b32_e32 v18, 24, v18
	v_cndmask_b32_e32 v34, v36, v34, vcc_lo
	v_and_b32_e32 v50, 3, v50
	v_and_b32_e32 v18, 0x80000000, v18
	v_lshl_add_u32 v34, v34, 23, 0x37800000
	v_cndmask_b32_e32 v31, v31, v50, vcc_lo
	v_lshlrev_b32_e32 v31, 21, v31
	v_or3_b32 v31, v18, v34, v31
.LBB4_9901:                             ;   in Loop: Header=BB4_9403 Depth=3
	s_or_b32 exec_lo, exec_lo, s22
	s_waitcnt vmcnt(2) lgkmcnt(2)
	v_cmp_gt_i16_sdwa s22, v5, v100 src0_sel:BYTE_0 src1_sel:DWORD
	s_mov_b32 s16, 0
	s_and_saveexec_b32 s23, s22
	s_xor_b32 s22, exec_lo, s23
	s_cbranch_execz .LBB4_10039
; %bb.9902:                             ;   in Loop: Header=BB4_9403 Depth=3
	v_cmp_eq_u16_sdwa s72, v5, v101 src0_sel:BYTE_0 src1_sel:DWORD
	s_mov_b32 s16, -1
	s_and_saveexec_b32 s23, s72
; %bb.9903:                             ;   in Loop: Header=BB4_9403 Depth=3
	s_xor_b32 s16, exec_lo, -1
; %bb.9904:                             ;   in Loop: Header=BB4_9403 Depth=3
	s_or_b32 exec_lo, exec_lo, s23
	s_and_b32 s16, s16, exec_lo
	s_or_saveexec_b32 s22, s22
	v_mov_b32_e32 v18, 0x7f800001
	s_xor_b32 exec_lo, exec_lo, s22
	s_cbranch_execnz .LBB4_10040
.LBB4_9905:                             ;   in Loop: Header=BB4_9403 Depth=3
	s_or_b32 exec_lo, exec_lo, s22
	s_and_saveexec_b32 s22, s16
	s_cbranch_execz .LBB4_9907
.LBB4_9906:                             ;   in Loop: Header=BB4_9403 Depth=3
	v_and_b32_e32 v18, 3, v5
	v_lshrrev_b16 v36, 2, v5
	v_ffbh_u32_e32 v34, v18
	v_and_b32_e32 v36, 31, v36
	v_min_u32_e32 v34, 32, v34
	v_cmp_eq_u32_e32 vcc_lo, 0, v36
	v_subrev_nc_u32_e32 v50, 29, v34
	v_sub_nc_u32_e32 v34, 30, v34
	v_lshlrev_b32_e32 v50, v50, v5
	v_lshlrev_b32_e32 v5, 24, v5
	v_cndmask_b32_e32 v34, v36, v34, vcc_lo
	v_and_b32_e32 v50, 3, v50
	v_and_b32_e32 v5, 0x80000000, v5
	v_lshl_add_u32 v34, v34, 23, 0x37800000
	v_cndmask_b32_e32 v18, v18, v50, vcc_lo
	v_lshlrev_b32_e32 v18, 21, v18
	v_or3_b32 v18, v5, v34, v18
.LBB4_9907:                             ;   in Loop: Header=BB4_9403 Depth=3
	s_or_b32 exec_lo, exec_lo, s22
	v_add_f32_e32 v18, v31, v18
	v_and_b32_e32 v5, 0x7f800000, v18
	v_cmp_ne_u32_e32 vcc_lo, 0x7f800000, v5
	v_mov_b32_e32 v5, 0x80
	s_and_saveexec_b32 s22, vcc_lo
	s_cbranch_execz .LBB4_9915
; %bb.9908:                             ;   in Loop: Header=BB4_9403 Depth=3
	v_mov_b32_e32 v5, 0
	s_mov_b32 s23, exec_lo
	v_cmpx_ne_u32_e32 0, v18
	s_cbranch_execz .LBB4_9914
; %bb.9909:                             ;   in Loop: Header=BB4_9403 Depth=3
	v_bfe_u32 v5, v18, 23, 8
	v_and_b32_e32 v31, 0x7fffff, v18
	v_sub_nc_u32_e32 v34, 0x70, v5
	v_cmp_gt_u32_e32 vcc_lo, 0x71, v5
	v_or_b32_e32 v36, 0x800000, v31
	v_cndmask_b32_e32 v34, 0, v34, vcc_lo
	v_cmp_eq_u32_e32 vcc_lo, 0, v5
	v_add_nc_u32_e32 v5, 0xffffff91, v5
	v_cndmask_b32_e64 v34, v34, 0x6f, vcc_lo
	v_cndmask_b32_e32 v31, v36, v31, vcc_lo
	v_cndmask_b32_e64 v5, v5, 0xffffff92, vcc_lo
	v_lshl_add_u32 v36, 0x200000, v34, -1
	v_lshrrev_b32_e32 v50, v34, v31
	v_lshlrev_b32_e64 v65, v34, 0x100000
	v_add_nc_u32_e32 v34, v34, v5
	v_and_b32_e32 v31, v36, v31
	v_bfe_u32 v51, v50, 21, 1
	v_cmp_eq_u32_e64 s16, v31, v65
	v_add_nc_u32_e32 v36, -1, v51
	v_cndmask_b32_e64 v31, 0, v36, s16
	v_lshrrev_b32_e32 v36, 23, v50
	s_mov_b32 s16, exec_lo
	v_add_nc_u32_e32 v31, v31, v50
	v_xor_b32_e32 v36, 1, v36
	v_and_b32_e32 v5, 0x1fffff, v31
	v_add_nc_u32_e32 v31, v5, v50
                                        ; implicit-def: $vgpr5
	v_cmpx_ne_u32_e64 v34, v36
	s_xor_b32 s16, exec_lo, s16
; %bb.9910:                             ;   in Loop: Header=BB4_9403 Depth=3
	v_cmp_lt_u32_e32 vcc_lo, 0xffffff, v31
	v_sub_nc_u32_e32 v5, v34, v36
	v_cndmask_b32_e64 v34, 0, 1, vcc_lo
	v_add_co_ci_u32_e64 v5, null, 0, v5, vcc_lo
	v_lshrrev_b32_e32 v31, v34, v31
; %bb.9911:                             ;   in Loop: Header=BB4_9403 Depth=3
	s_andn2_saveexec_b32 s16, s16
; %bb.9912:                             ;   in Loop: Header=BB4_9403 Depth=3
	v_bfe_u32 v5, v31, 23, 1
; %bb.9913:                             ;   in Loop: Header=BB4_9403 Depth=3
	s_or_b32 exec_lo, exec_lo, s16
	v_lshrrev_b32_e32 v31, 21, v31
	v_cmp_gt_i32_e32 vcc_lo, 32, v5
	v_min_i32_e32 v34, 31, v5
	v_and_b32_sdwa v18, v18, v101 dst_sel:DWORD dst_unused:UNUSED_PAD src0_sel:BYTE_3 src1_sel:DWORD
	v_cndmask_b32_e32 v31, 3, v31, vcc_lo
	v_lshlrev_b32_e32 v34, 2, v34
	v_and_b32_e32 v36, 3, v31
	v_or_b32_e32 v5, v5, v31
	v_or3_b32 v18, v34, v18, v36
	v_cmp_ne_u32_e32 vcc_lo, 0, v5
	v_cndmask_b32_e32 v5, 0, v18, vcc_lo
.LBB4_9914:                             ;   in Loop: Header=BB4_9403 Depth=3
	s_or_b32 exec_lo, exec_lo, s23
.LBB4_9915:                             ;   in Loop: Header=BB4_9403 Depth=3
	s_or_b32 exec_lo, exec_lo, s22
	v_cmp_gt_i16_sdwa s22, v17, v100 src0_sel:BYTE_0 src1_sel:DWORD
	s_mov_b32 s16, 0
	s_and_saveexec_b32 s23, s22
	s_xor_b32 s22, exec_lo, s23
	s_cbranch_execz .LBB4_10041
; %bb.9916:                             ;   in Loop: Header=BB4_9403 Depth=3
	v_cmp_eq_u16_sdwa s72, v17, v101 src0_sel:BYTE_0 src1_sel:DWORD
	s_mov_b32 s16, -1
	s_and_saveexec_b32 s23, s72
; %bb.9917:                             ;   in Loop: Header=BB4_9403 Depth=3
	s_xor_b32 s16, exec_lo, -1
; %bb.9918:                             ;   in Loop: Header=BB4_9403 Depth=3
	s_or_b32 exec_lo, exec_lo, s23
	s_and_b32 s16, s16, exec_lo
	s_or_saveexec_b32 s22, s22
	v_mov_b32_e32 v18, 0x7f800001
	s_xor_b32 exec_lo, exec_lo, s22
	s_cbranch_execnz .LBB4_10042
.LBB4_9919:                             ;   in Loop: Header=BB4_9403 Depth=3
	s_or_b32 exec_lo, exec_lo, s22
	s_and_saveexec_b32 s22, s16
	s_cbranch_execz .LBB4_9921
.LBB4_9920:                             ;   in Loop: Header=BB4_9403 Depth=3
	v_and_b32_e32 v18, 3, v17
	v_lshrrev_b16 v34, 2, v17
	v_ffbh_u32_e32 v31, v18
	v_and_b32_e32 v34, 31, v34
	v_min_u32_e32 v31, 32, v31
	v_cmp_eq_u32_e32 vcc_lo, 0, v34
	v_subrev_nc_u32_e32 v36, 29, v31
	v_sub_nc_u32_e32 v31, 30, v31
	v_lshlrev_b32_e32 v36, v36, v17
	v_lshlrev_b32_e32 v17, 24, v17
	v_cndmask_b32_e32 v31, v34, v31, vcc_lo
	v_and_b32_e32 v36, 3, v36
	v_and_b32_e32 v17, 0x80000000, v17
	v_lshl_add_u32 v31, v31, 23, 0x37800000
	v_cndmask_b32_e32 v18, v18, v36, vcc_lo
	v_lshlrev_b32_e32 v18, 21, v18
	v_or3_b32 v18, v17, v31, v18
.LBB4_9921:                             ;   in Loop: Header=BB4_9403 Depth=3
	s_or_b32 exec_lo, exec_lo, s22
	s_waitcnt vmcnt(1) lgkmcnt(1)
	v_cmp_gt_i16_sdwa s22, v19, v100 src0_sel:BYTE_0 src1_sel:DWORD
	s_mov_b32 s16, 0
	s_and_saveexec_b32 s23, s22
	s_xor_b32 s22, exec_lo, s23
	s_cbranch_execz .LBB4_10043
; %bb.9922:                             ;   in Loop: Header=BB4_9403 Depth=3
	v_cmp_eq_u16_sdwa s72, v19, v101 src0_sel:BYTE_0 src1_sel:DWORD
	s_mov_b32 s16, -1
	s_and_saveexec_b32 s23, s72
; %bb.9923:                             ;   in Loop: Header=BB4_9403 Depth=3
	s_xor_b32 s16, exec_lo, -1
; %bb.9924:                             ;   in Loop: Header=BB4_9403 Depth=3
	s_or_b32 exec_lo, exec_lo, s23
	s_and_b32 s16, s16, exec_lo
	s_or_saveexec_b32 s22, s22
	v_mov_b32_e32 v17, 0x7f800001
	s_xor_b32 exec_lo, exec_lo, s22
	s_cbranch_execnz .LBB4_10044
.LBB4_9925:                             ;   in Loop: Header=BB4_9403 Depth=3
	s_or_b32 exec_lo, exec_lo, s22
	s_and_saveexec_b32 s22, s16
	s_cbranch_execz .LBB4_9927
.LBB4_9926:                             ;   in Loop: Header=BB4_9403 Depth=3
	v_and_b32_e32 v17, 3, v19
	v_lshrrev_b16 v34, 2, v19
	v_ffbh_u32_e32 v31, v17
	v_and_b32_e32 v34, 31, v34
	v_min_u32_e32 v31, 32, v31
	v_cmp_eq_u32_e32 vcc_lo, 0, v34
	v_subrev_nc_u32_e32 v36, 29, v31
	v_sub_nc_u32_e32 v31, 30, v31
	v_lshlrev_b32_e32 v36, v36, v19
	v_lshlrev_b32_e32 v19, 24, v19
	v_cndmask_b32_e32 v31, v34, v31, vcc_lo
	v_and_b32_e32 v36, 3, v36
	v_and_b32_e32 v19, 0x80000000, v19
	v_lshl_add_u32 v31, v31, 23, 0x37800000
	v_cndmask_b32_e32 v17, v17, v36, vcc_lo
	v_lshlrev_b32_e32 v17, 21, v17
	v_or3_b32 v17, v19, v31, v17
.LBB4_9927:                             ;   in Loop: Header=BB4_9403 Depth=3
	s_or_b32 exec_lo, exec_lo, s22
	v_add_f32_e32 v18, v18, v17
	v_and_b32_e32 v17, 0x7f800000, v18
	v_cmp_ne_u32_e32 vcc_lo, 0x7f800000, v17
	v_mov_b32_e32 v17, 0x80
	s_and_saveexec_b32 s22, vcc_lo
	s_cbranch_execz .LBB4_9935
; %bb.9928:                             ;   in Loop: Header=BB4_9403 Depth=3
	v_mov_b32_e32 v17, 0
	s_mov_b32 s23, exec_lo
	v_cmpx_ne_u32_e32 0, v18
	s_cbranch_execz .LBB4_9934
; %bb.9929:                             ;   in Loop: Header=BB4_9403 Depth=3
	v_bfe_u32 v17, v18, 23, 8
	v_and_b32_e32 v19, 0x7fffff, v18
	v_sub_nc_u32_e32 v31, 0x70, v17
	v_cmp_gt_u32_e32 vcc_lo, 0x71, v17
	v_or_b32_e32 v34, 0x800000, v19
	v_cndmask_b32_e32 v31, 0, v31, vcc_lo
	v_cmp_eq_u32_e32 vcc_lo, 0, v17
	v_add_nc_u32_e32 v17, 0xffffff91, v17
	v_cndmask_b32_e64 v31, v31, 0x6f, vcc_lo
	v_cndmask_b32_e32 v19, v34, v19, vcc_lo
	v_cndmask_b32_e64 v17, v17, 0xffffff92, vcc_lo
	v_lshl_add_u32 v34, 0x200000, v31, -1
	v_lshrrev_b32_e32 v36, v31, v19
	v_lshlrev_b32_e64 v51, v31, 0x100000
	v_add_nc_u32_e32 v31, v31, v17
	v_and_b32_e32 v19, v34, v19
	v_bfe_u32 v50, v36, 21, 1
	v_cmp_eq_u32_e64 s16, v19, v51
	v_add_nc_u32_e32 v34, -1, v50
	v_cndmask_b32_e64 v19, 0, v34, s16
	v_lshrrev_b32_e32 v34, 23, v36
	s_mov_b32 s16, exec_lo
	v_add_nc_u32_e32 v19, v19, v36
	v_xor_b32_e32 v34, 1, v34
	v_and_b32_e32 v17, 0x1fffff, v19
	v_add_nc_u32_e32 v19, v17, v36
                                        ; implicit-def: $vgpr17
	v_cmpx_ne_u32_e64 v31, v34
	s_xor_b32 s16, exec_lo, s16
; %bb.9930:                             ;   in Loop: Header=BB4_9403 Depth=3
	v_cmp_lt_u32_e32 vcc_lo, 0xffffff, v19
	v_sub_nc_u32_e32 v17, v31, v34
	v_cndmask_b32_e64 v31, 0, 1, vcc_lo
	v_add_co_ci_u32_e64 v17, null, 0, v17, vcc_lo
	v_lshrrev_b32_e32 v19, v31, v19
; %bb.9931:                             ;   in Loop: Header=BB4_9403 Depth=3
	s_andn2_saveexec_b32 s16, s16
; %bb.9932:                             ;   in Loop: Header=BB4_9403 Depth=3
	v_bfe_u32 v17, v19, 23, 1
; %bb.9933:                             ;   in Loop: Header=BB4_9403 Depth=3
	s_or_b32 exec_lo, exec_lo, s16
	v_lshrrev_b32_e32 v19, 21, v19
	v_cmp_gt_i32_e32 vcc_lo, 32, v17
	v_min_i32_e32 v31, 31, v17
	v_and_b32_sdwa v18, v18, v101 dst_sel:DWORD dst_unused:UNUSED_PAD src0_sel:BYTE_3 src1_sel:DWORD
	v_cndmask_b32_e32 v19, 3, v19, vcc_lo
	v_lshlrev_b32_e32 v31, 2, v31
	v_and_b32_e32 v34, 3, v19
	v_or_b32_e32 v17, v17, v19
	v_or3_b32 v18, v31, v18, v34
	v_cmp_ne_u32_e32 vcc_lo, 0, v17
	v_cndmask_b32_e32 v17, 0, v18, vcc_lo
.LBB4_9934:                             ;   in Loop: Header=BB4_9403 Depth=3
	s_or_b32 exec_lo, exec_lo, s23
.LBB4_9935:                             ;   in Loop: Header=BB4_9403 Depth=3
	s_or_b32 exec_lo, exec_lo, s22
	v_cmp_gt_i16_sdwa s22, v15, v100 src0_sel:BYTE_0 src1_sel:DWORD
	s_mov_b32 s16, 0
	s_and_saveexec_b32 s23, s22
	s_xor_b32 s22, exec_lo, s23
	s_cbranch_execz .LBB4_10045
; %bb.9936:                             ;   in Loop: Header=BB4_9403 Depth=3
	v_cmp_eq_u16_sdwa s72, v15, v101 src0_sel:BYTE_0 src1_sel:DWORD
	s_mov_b32 s16, -1
	s_and_saveexec_b32 s23, s72
; %bb.9937:                             ;   in Loop: Header=BB4_9403 Depth=3
	s_xor_b32 s16, exec_lo, -1
; %bb.9938:                             ;   in Loop: Header=BB4_9403 Depth=3
	s_or_b32 exec_lo, exec_lo, s23
	s_and_b32 s16, s16, exec_lo
	s_or_saveexec_b32 s22, s22
	v_mov_b32_e32 v18, 0x7f800001
	s_xor_b32 exec_lo, exec_lo, s22
	s_cbranch_execnz .LBB4_10046
.LBB4_9939:                             ;   in Loop: Header=BB4_9403 Depth=3
	s_or_b32 exec_lo, exec_lo, s22
	s_and_saveexec_b32 s22, s16
	s_cbranch_execz .LBB4_9941
.LBB4_9940:                             ;   in Loop: Header=BB4_9403 Depth=3
	v_and_b32_e32 v18, 3, v15
	v_lshrrev_b16 v31, 2, v15
	v_ffbh_u32_e32 v19, v18
	v_and_b32_e32 v31, 31, v31
	v_min_u32_e32 v19, 32, v19
	v_cmp_eq_u32_e32 vcc_lo, 0, v31
	v_subrev_nc_u32_e32 v34, 29, v19
	v_sub_nc_u32_e32 v19, 30, v19
	v_lshlrev_b32_e32 v34, v34, v15
	v_lshlrev_b32_e32 v15, 24, v15
	v_cndmask_b32_e32 v19, v31, v19, vcc_lo
	v_and_b32_e32 v34, 3, v34
	v_and_b32_e32 v15, 0x80000000, v15
	v_lshl_add_u32 v19, v19, 23, 0x37800000
	v_cndmask_b32_e32 v18, v18, v34, vcc_lo
	v_lshlrev_b32_e32 v18, 21, v18
	v_or3_b32 v18, v15, v19, v18
.LBB4_9941:                             ;   in Loop: Header=BB4_9403 Depth=3
	s_or_b32 exec_lo, exec_lo, s22
	s_waitcnt vmcnt(0) lgkmcnt(0)
	v_cmp_gt_i16_sdwa s22, v14, v100 src0_sel:BYTE_0 src1_sel:DWORD
	s_mov_b32 s16, 0
	s_and_saveexec_b32 s23, s22
	s_xor_b32 s22, exec_lo, s23
	s_cbranch_execz .LBB4_10047
; %bb.9942:                             ;   in Loop: Header=BB4_9403 Depth=3
	v_cmp_eq_u16_sdwa s72, v14, v101 src0_sel:BYTE_0 src1_sel:DWORD
	s_mov_b32 s16, -1
	s_and_saveexec_b32 s23, s72
; %bb.9943:                             ;   in Loop: Header=BB4_9403 Depth=3
	s_xor_b32 s16, exec_lo, -1
; %bb.9944:                             ;   in Loop: Header=BB4_9403 Depth=3
	s_or_b32 exec_lo, exec_lo, s23
	s_and_b32 s16, s16, exec_lo
	s_or_saveexec_b32 s22, s22
	v_mov_b32_e32 v15, 0x7f800001
	s_xor_b32 exec_lo, exec_lo, s22
	s_cbranch_execnz .LBB4_10048
.LBB4_9945:                             ;   in Loop: Header=BB4_9403 Depth=3
	s_or_b32 exec_lo, exec_lo, s22
	s_and_saveexec_b32 s22, s16
	s_cbranch_execz .LBB4_9947
.LBB4_9946:                             ;   in Loop: Header=BB4_9403 Depth=3
	v_and_b32_e32 v15, 3, v14
	v_lshrrev_b16 v31, 2, v14
	v_ffbh_u32_e32 v19, v15
	v_and_b32_e32 v31, 31, v31
	v_min_u32_e32 v19, 32, v19
	v_cmp_eq_u32_e32 vcc_lo, 0, v31
	v_subrev_nc_u32_e32 v34, 29, v19
	v_sub_nc_u32_e32 v19, 30, v19
	v_lshlrev_b32_e32 v34, v34, v14
	v_lshlrev_b32_e32 v14, 24, v14
	v_cndmask_b32_e32 v19, v31, v19, vcc_lo
	v_and_b32_e32 v34, 3, v34
	v_and_b32_e32 v14, 0x80000000, v14
	v_lshl_add_u32 v19, v19, 23, 0x37800000
	v_cndmask_b32_e32 v15, v15, v34, vcc_lo
	v_lshlrev_b32_e32 v15, 21, v15
	v_or3_b32 v15, v14, v19, v15
.LBB4_9947:                             ;   in Loop: Header=BB4_9403 Depth=3
	s_or_b32 exec_lo, exec_lo, s22
	v_add_f32_e32 v15, v18, v15
	v_and_b32_e32 v14, 0x7f800000, v15
	v_cmp_ne_u32_e32 vcc_lo, 0x7f800000, v14
	v_mov_b32_e32 v14, 0x80
	s_and_saveexec_b32 s22, vcc_lo
	s_cbranch_execz .LBB4_9402
; %bb.9948:                             ;   in Loop: Header=BB4_9403 Depth=3
	v_mov_b32_e32 v14, 0
	s_mov_b32 s23, exec_lo
	v_cmpx_ne_u32_e32 0, v15
	s_cbranch_execz .LBB4_9401
; %bb.9949:                             ;   in Loop: Header=BB4_9403 Depth=3
	v_bfe_u32 v14, v15, 23, 8
	v_and_b32_e32 v18, 0x7fffff, v15
	v_sub_nc_u32_e32 v19, 0x70, v14
	v_cmp_gt_u32_e32 vcc_lo, 0x71, v14
	v_or_b32_e32 v31, 0x800000, v18
	v_cndmask_b32_e32 v19, 0, v19, vcc_lo
	v_cmp_eq_u32_e32 vcc_lo, 0, v14
	v_add_nc_u32_e32 v14, 0xffffff91, v14
	v_cndmask_b32_e64 v19, v19, 0x6f, vcc_lo
	v_cndmask_b32_e32 v18, v31, v18, vcc_lo
	v_cndmask_b32_e64 v14, v14, 0xffffff92, vcc_lo
	v_lshl_add_u32 v31, 0x200000, v19, -1
	v_lshrrev_b32_e32 v34, v19, v18
	v_lshlrev_b32_e64 v50, v19, 0x100000
	v_add_nc_u32_e32 v19, v19, v14
	v_and_b32_e32 v18, v31, v18
	v_bfe_u32 v36, v34, 21, 1
	v_cmp_eq_u32_e64 s16, v18, v50
	v_add_nc_u32_e32 v31, -1, v36
	v_cndmask_b32_e64 v18, 0, v31, s16
	v_lshrrev_b32_e32 v31, 23, v34
	s_mov_b32 s16, exec_lo
	v_add_nc_u32_e32 v18, v18, v34
	v_xor_b32_e32 v31, 1, v31
	v_and_b32_e32 v14, 0x1fffff, v18
	v_add_nc_u32_e32 v18, v14, v34
                                        ; implicit-def: $vgpr14
	v_cmpx_ne_u32_e64 v19, v31
	s_xor_b32 s16, exec_lo, s16
; %bb.9950:                             ;   in Loop: Header=BB4_9403 Depth=3
	v_cmp_lt_u32_e32 vcc_lo, 0xffffff, v18
	v_sub_nc_u32_e32 v14, v19, v31
	v_cndmask_b32_e64 v19, 0, 1, vcc_lo
	v_add_co_ci_u32_e64 v14, null, 0, v14, vcc_lo
	v_lshrrev_b32_e32 v18, v19, v18
; %bb.9951:                             ;   in Loop: Header=BB4_9403 Depth=3
	s_andn2_saveexec_b32 s16, s16
	s_cbranch_execz .LBB4_9400
; %bb.9952:                             ;   in Loop: Header=BB4_9403 Depth=3
	v_bfe_u32 v14, v18, 23, 1
	s_branch .LBB4_9400
.LBB4_9953:                             ;   in Loop: Header=BB4_9403 Depth=3
	s_or_saveexec_b32 s22, s22
	v_mov_b32_e32 v4, 0x7f800001
	s_xor_b32 exec_lo, exec_lo, s22
	s_cbranch_execz .LBB4_9415
.LBB4_9954:                             ;   in Loop: Header=BB4_9403 Depth=3
	v_cmp_ne_u16_e32 vcc_lo, 0, v1
	v_mov_b32_e32 v4, 0
	s_andn2_b32 s16, s16, exec_lo
	s_and_b32 s23, vcc_lo, exec_lo
	s_or_b32 s16, s16, s23
	s_or_b32 exec_lo, exec_lo, s22
	s_and_saveexec_b32 s22, s16
	s_cbranch_execnz .LBB4_9416
	s_branch .LBB4_9417
.LBB4_9955:                             ;   in Loop: Header=BB4_9403 Depth=3
	s_or_saveexec_b32 s22, s22
	v_mov_b32_e32 v4, 0x7f800001
	s_xor_b32 exec_lo, exec_lo, s22
	s_cbranch_execz .LBB4_9429
.LBB4_9956:                             ;   in Loop: Header=BB4_9403 Depth=3
	v_cmp_ne_u16_e32 vcc_lo, 0, v1
	v_mov_b32_e32 v4, 0
	s_andn2_b32 s16, s16, exec_lo
	s_and_b32 s23, vcc_lo, exec_lo
	s_or_b32 s16, s16, s23
	s_or_b32 exec_lo, exec_lo, s22
	s_and_saveexec_b32 s22, s16
	s_cbranch_execnz .LBB4_9430
	s_branch .LBB4_9431
.LBB4_9957:                             ;   in Loop: Header=BB4_9403 Depth=3
	s_or_saveexec_b32 s22, s22
	v_mov_b32_e32 v4, 0x7f800001
	s_xor_b32 exec_lo, exec_lo, s22
	s_cbranch_execz .LBB4_9443
.LBB4_9958:                             ;   in Loop: Header=BB4_9403 Depth=3
	v_cmp_ne_u16_e32 vcc_lo, 0, v1
	v_mov_b32_e32 v4, 0
	s_andn2_b32 s16, s16, exec_lo
	s_and_b32 s23, vcc_lo, exec_lo
	s_or_b32 s16, s16, s23
	s_or_b32 exec_lo, exec_lo, s22
	s_and_saveexec_b32 s22, s16
	s_cbranch_execnz .LBB4_9444
	s_branch .LBB4_9445
.LBB4_9959:                             ;   in Loop: Header=BB4_9403 Depth=3
	s_or_saveexec_b32 s22, s22
	v_mov_b32_e32 v4, 0x7f800001
	s_xor_b32 exec_lo, exec_lo, s22
	s_cbranch_execz .LBB4_9457
.LBB4_9960:                             ;   in Loop: Header=BB4_9403 Depth=3
	v_cmp_ne_u16_e32 vcc_lo, 0, v1
	v_mov_b32_e32 v4, 0
	s_andn2_b32 s16, s16, exec_lo
	s_and_b32 s23, vcc_lo, exec_lo
	s_or_b32 s16, s16, s23
	s_or_b32 exec_lo, exec_lo, s22
	s_and_saveexec_b32 s22, s16
	s_cbranch_execnz .LBB4_9458
	s_branch .LBB4_9459
.LBB4_9961:                             ;   in Loop: Header=BB4_9403 Depth=3
	s_or_saveexec_b32 s22, s22
	v_mov_b32_e32 v4, 0x7f800001
	s_xor_b32 exec_lo, exec_lo, s22
	s_cbranch_execz .LBB4_9471
.LBB4_9962:                             ;   in Loop: Header=BB4_9403 Depth=3
	v_cmp_ne_u16_e32 vcc_lo, 0, v1
	v_mov_b32_e32 v4, 0
	s_andn2_b32 s16, s16, exec_lo
	s_and_b32 s23, vcc_lo, exec_lo
	s_or_b32 s16, s16, s23
	s_or_b32 exec_lo, exec_lo, s22
	s_and_saveexec_b32 s22, s16
	s_cbranch_execnz .LBB4_9472
	s_branch .LBB4_9473
.LBB4_9963:                             ;   in Loop: Header=BB4_9403 Depth=3
	s_or_saveexec_b32 s22, s22
	v_mov_b32_e32 v4, 0x7f800001
	s_xor_b32 exec_lo, exec_lo, s22
	s_cbranch_execz .LBB4_9485
.LBB4_9964:                             ;   in Loop: Header=BB4_9403 Depth=3
	v_cmp_ne_u16_e32 vcc_lo, 0, v1
	v_mov_b32_e32 v4, 0
	s_andn2_b32 s16, s16, exec_lo
	s_and_b32 s23, vcc_lo, exec_lo
	s_or_b32 s16, s16, s23
	s_or_b32 exec_lo, exec_lo, s22
	s_and_saveexec_b32 s22, s16
	s_cbranch_execnz .LBB4_9486
	s_branch .LBB4_9487
.LBB4_9965:                             ;   in Loop: Header=BB4_9403 Depth=3
	s_or_saveexec_b32 s22, s22
	v_mov_b32_e32 v4, 0x7f800001
	s_xor_b32 exec_lo, exec_lo, s22
	s_cbranch_execz .LBB4_9499
.LBB4_9966:                             ;   in Loop: Header=BB4_9403 Depth=3
	v_cmp_ne_u16_e32 vcc_lo, 0, v1
	v_mov_b32_e32 v4, 0
	s_andn2_b32 s16, s16, exec_lo
	s_and_b32 s23, vcc_lo, exec_lo
	s_or_b32 s16, s16, s23
	s_or_b32 exec_lo, exec_lo, s22
	s_and_saveexec_b32 s22, s16
	s_cbranch_execnz .LBB4_9500
	s_branch .LBB4_9501
.LBB4_9967:                             ;   in Loop: Header=BB4_9403 Depth=3
	s_or_saveexec_b32 s22, s22
	v_mov_b32_e32 v4, 0x7f800001
	s_xor_b32 exec_lo, exec_lo, s22
	s_cbranch_execz .LBB4_9513
.LBB4_9968:                             ;   in Loop: Header=BB4_9403 Depth=3
	v_cmp_ne_u16_e32 vcc_lo, 0, v1
	v_mov_b32_e32 v4, 0
	s_andn2_b32 s16, s16, exec_lo
	s_and_b32 s23, vcc_lo, exec_lo
	s_or_b32 s16, s16, s23
	s_or_b32 exec_lo, exec_lo, s22
	s_and_saveexec_b32 s22, s16
	s_cbranch_execnz .LBB4_9514
	s_branch .LBB4_9515
.LBB4_9969:                             ;   in Loop: Header=BB4_9403 Depth=3
	s_or_saveexec_b32 s22, s22
	v_mov_b32_e32 v4, 0x7f800001
	s_xor_b32 exec_lo, exec_lo, s22
	s_cbranch_execz .LBB4_9527
.LBB4_9970:                             ;   in Loop: Header=BB4_9403 Depth=3
	v_cmp_ne_u16_e32 vcc_lo, 0, v1
	v_mov_b32_e32 v4, 0
	s_andn2_b32 s16, s16, exec_lo
	s_and_b32 s23, vcc_lo, exec_lo
	s_or_b32 s16, s16, s23
	s_or_b32 exec_lo, exec_lo, s22
	s_and_saveexec_b32 s22, s16
	s_cbranch_execnz .LBB4_9528
	s_branch .LBB4_9529
.LBB4_9971:                             ;   in Loop: Header=BB4_9403 Depth=3
	s_or_saveexec_b32 s22, s22
	v_mov_b32_e32 v4, 0x7f800001
	s_xor_b32 exec_lo, exec_lo, s22
	s_cbranch_execz .LBB4_9541
.LBB4_9972:                             ;   in Loop: Header=BB4_9403 Depth=3
	v_cmp_ne_u16_e32 vcc_lo, 0, v1
	v_mov_b32_e32 v4, 0
	s_andn2_b32 s16, s16, exec_lo
	s_and_b32 s23, vcc_lo, exec_lo
	s_or_b32 s16, s16, s23
	s_or_b32 exec_lo, exec_lo, s22
	s_and_saveexec_b32 s22, s16
	s_cbranch_execnz .LBB4_9542
	s_branch .LBB4_9543
.LBB4_9973:                             ;   in Loop: Header=BB4_9403 Depth=3
	s_or_saveexec_b32 s22, s22
	v_mov_b32_e32 v14, 0x7f800001
	s_xor_b32 exec_lo, exec_lo, s22
	s_cbranch_execz .LBB4_9555
.LBB4_9974:                             ;   in Loop: Header=BB4_9403 Depth=3
	v_cmp_ne_u16_e32 vcc_lo, 0, v1
	v_mov_b32_e32 v14, 0
	s_andn2_b32 s16, s16, exec_lo
	s_and_b32 s23, vcc_lo, exec_lo
	s_or_b32 s16, s16, s23
	s_or_b32 exec_lo, exec_lo, s22
	s_and_saveexec_b32 s22, s16
	s_cbranch_execnz .LBB4_9556
	s_branch .LBB4_9557
.LBB4_9975:                             ;   in Loop: Header=BB4_9403 Depth=3
	s_or_saveexec_b32 s22, s22
	v_mov_b32_e32 v14, 0x7f800001
	s_xor_b32 exec_lo, exec_lo, s22
	s_cbranch_execz .LBB4_9569
.LBB4_9976:                             ;   in Loop: Header=BB4_9403 Depth=3
	v_cmp_ne_u16_e32 vcc_lo, 0, v1
	v_mov_b32_e32 v14, 0
	s_andn2_b32 s16, s16, exec_lo
	s_and_b32 s23, vcc_lo, exec_lo
	s_or_b32 s16, s16, s23
	s_or_b32 exec_lo, exec_lo, s22
	s_and_saveexec_b32 s22, s16
	s_cbranch_execnz .LBB4_9570
	s_branch .LBB4_9571
.LBB4_9977:                             ;   in Loop: Header=BB4_9403 Depth=3
	s_or_saveexec_b32 s22, s22
	v_mov_b32_e32 v14, 0x7f800001
	s_xor_b32 exec_lo, exec_lo, s22
	s_cbranch_execz .LBB4_9583
.LBB4_9978:                             ;   in Loop: Header=BB4_9403 Depth=3
	v_cmp_ne_u16_e32 vcc_lo, 0, v1
	v_mov_b32_e32 v14, 0
	s_andn2_b32 s16, s16, exec_lo
	s_and_b32 s23, vcc_lo, exec_lo
	s_or_b32 s16, s16, s23
	s_or_b32 exec_lo, exec_lo, s22
	s_and_saveexec_b32 s22, s16
	s_cbranch_execnz .LBB4_9584
	s_branch .LBB4_9585
.LBB4_9979:                             ;   in Loop: Header=BB4_9403 Depth=3
	s_or_saveexec_b32 s22, s22
	v_mov_b32_e32 v14, 0x7f800001
	s_xor_b32 exec_lo, exec_lo, s22
	s_cbranch_execz .LBB4_9597
.LBB4_9980:                             ;   in Loop: Header=BB4_9403 Depth=3
	v_cmp_ne_u16_e32 vcc_lo, 0, v1
	v_mov_b32_e32 v14, 0
	s_andn2_b32 s16, s16, exec_lo
	s_and_b32 s23, vcc_lo, exec_lo
	s_or_b32 s16, s16, s23
	s_or_b32 exec_lo, exec_lo, s22
	s_and_saveexec_b32 s22, s16
	s_cbranch_execnz .LBB4_9598
	s_branch .LBB4_9599
.LBB4_9981:                             ;   in Loop: Header=BB4_9403 Depth=3
	s_or_saveexec_b32 s22, s22
	v_mov_b32_e32 v14, 0x7f800001
	s_xor_b32 exec_lo, exec_lo, s22
	s_cbranch_execz .LBB4_9611
.LBB4_9982:                             ;   in Loop: Header=BB4_9403 Depth=3
	v_cmp_ne_u16_e32 vcc_lo, 0, v1
	v_mov_b32_e32 v14, 0
	s_andn2_b32 s16, s16, exec_lo
	s_and_b32 s23, vcc_lo, exec_lo
	s_or_b32 s16, s16, s23
	s_or_b32 exec_lo, exec_lo, s22
	s_and_saveexec_b32 s22, s16
	s_cbranch_execnz .LBB4_9612
	s_branch .LBB4_9613
.LBB4_9983:                             ;   in Loop: Header=BB4_9403 Depth=3
	s_or_saveexec_b32 s22, s22
	v_mov_b32_e32 v14, 0x7f800001
	s_xor_b32 exec_lo, exec_lo, s22
	s_cbranch_execz .LBB4_9625
.LBB4_9984:                             ;   in Loop: Header=BB4_9403 Depth=3
	v_cmp_ne_u16_e32 vcc_lo, 0, v1
	v_mov_b32_e32 v14, 0
	s_andn2_b32 s16, s16, exec_lo
	s_and_b32 s23, vcc_lo, exec_lo
	s_or_b32 s16, s16, s23
	s_or_b32 exec_lo, exec_lo, s22
	s_and_saveexec_b32 s22, s16
	s_cbranch_execnz .LBB4_9626
	s_branch .LBB4_9627
.LBB4_9985:                             ;   in Loop: Header=BB4_9403 Depth=3
	s_or_saveexec_b32 s22, s22
	v_mov_b32_e32 v51, 0x7f800001
	s_xor_b32 exec_lo, exec_lo, s22
	s_cbranch_execz .LBB4_9639
.LBB4_9986:                             ;   in Loop: Header=BB4_9403 Depth=3
	v_cmp_ne_u16_sdwa s23, v16, v2 src0_sel:BYTE_0 src1_sel:DWORD
	v_mov_b32_e32 v51, 0
	s_andn2_b32 s16, s16, exec_lo
	s_and_b32 s23, s23, exec_lo
	s_or_b32 s16, s16, s23
	s_or_b32 exec_lo, exec_lo, s22
	s_and_saveexec_b32 s22, s16
	s_cbranch_execnz .LBB4_9640
	s_branch .LBB4_9641
.LBB4_9987:                             ;   in Loop: Header=BB4_9403 Depth=3
	s_or_saveexec_b32 s22, s22
	v_mov_b32_e32 v16, 0x7f800001
	s_xor_b32 exec_lo, exec_lo, s22
	s_cbranch_execz .LBB4_9645
.LBB4_9988:                             ;   in Loop: Header=BB4_9403 Depth=3
	v_cmp_ne_u16_sdwa s23, v50, v2 src0_sel:BYTE_0 src1_sel:DWORD
	v_mov_b32_e32 v16, 0
	s_andn2_b32 s16, s16, exec_lo
	s_and_b32 s23, s23, exec_lo
	s_or_b32 s16, s16, s23
	s_or_b32 exec_lo, exec_lo, s22
	s_and_saveexec_b32 s22, s16
	s_cbranch_execnz .LBB4_9646
	s_branch .LBB4_9647
.LBB4_9989:                             ;   in Loop: Header=BB4_9403 Depth=3
	s_or_saveexec_b32 s22, s22
	v_mov_b32_e32 v50, 0x7f800001
	s_xor_b32 exec_lo, exec_lo, s22
	s_cbranch_execz .LBB4_9659
.LBB4_9990:                             ;   in Loop: Header=BB4_9403 Depth=3
	v_cmp_ne_u16_sdwa s23, v30, v2 src0_sel:BYTE_0 src1_sel:DWORD
	v_mov_b32_e32 v50, 0
	s_andn2_b32 s16, s16, exec_lo
	s_and_b32 s23, s23, exec_lo
	s_or_b32 s16, s16, s23
	s_or_b32 exec_lo, exec_lo, s22
	s_and_saveexec_b32 s22, s16
	s_cbranch_execnz .LBB4_9660
	s_branch .LBB4_9661
.LBB4_9991:                             ;   in Loop: Header=BB4_9403 Depth=3
	s_or_saveexec_b32 s22, s22
	v_mov_b32_e32 v30, 0x7f800001
	s_xor_b32 exec_lo, exec_lo, s22
	s_cbranch_execz .LBB4_9665
.LBB4_9992:                             ;   in Loop: Header=BB4_9403 Depth=3
	v_cmp_ne_u16_sdwa s23, v73, v2 src0_sel:BYTE_0 src1_sel:DWORD
	v_mov_b32_e32 v30, 0
	s_andn2_b32 s16, s16, exec_lo
	s_and_b32 s23, s23, exec_lo
	s_or_b32 s16, s16, s23
	s_or_b32 exec_lo, exec_lo, s22
	s_and_saveexec_b32 s22, s16
	s_cbranch_execnz .LBB4_9666
	s_branch .LBB4_9667
.LBB4_9993:                             ;   in Loop: Header=BB4_9403 Depth=3
	s_or_saveexec_b32 s22, s22
	v_mov_b32_e32 v50, 0x7f800001
	s_xor_b32 exec_lo, exec_lo, s22
	s_cbranch_execz .LBB4_9679
.LBB4_9994:                             ;   in Loop: Header=BB4_9403 Depth=3
	v_cmp_ne_u16_sdwa s23, v53, v2 src0_sel:BYTE_0 src1_sel:DWORD
	v_mov_b32_e32 v50, 0
	s_andn2_b32 s16, s16, exec_lo
	s_and_b32 s23, s23, exec_lo
	s_or_b32 s16, s16, s23
	s_or_b32 exec_lo, exec_lo, s22
	s_and_saveexec_b32 s22, s16
	s_cbranch_execnz .LBB4_9680
	s_branch .LBB4_9681
.LBB4_9995:                             ;   in Loop: Header=BB4_9403 Depth=3
	s_or_saveexec_b32 s22, s22
	v_mov_b32_e32 v51, 0x7f800001
	s_xor_b32 exec_lo, exec_lo, s22
	s_cbranch_execz .LBB4_9685
.LBB4_9996:                             ;   in Loop: Header=BB4_9403 Depth=3
	v_cmp_ne_u16_sdwa s23, v97, v2 src0_sel:BYTE_0 src1_sel:DWORD
	v_mov_b32_e32 v51, 0
	s_andn2_b32 s16, s16, exec_lo
	s_and_b32 s23, s23, exec_lo
	s_or_b32 s16, s16, s23
	s_or_b32 exec_lo, exec_lo, s22
	s_and_saveexec_b32 s22, s16
	s_cbranch_execnz .LBB4_9686
	s_branch .LBB4_9687
.LBB4_9997:                             ;   in Loop: Header=BB4_9403 Depth=3
	s_or_saveexec_b32 s22, s22
	v_mov_b32_e32 v50, 0x7f800001
	s_xor_b32 exec_lo, exec_lo, s22
	s_cbranch_execz .LBB4_9699
.LBB4_9998:                             ;   in Loop: Header=BB4_9403 Depth=3
	v_cmp_ne_u16_sdwa s23, v81, v2 src0_sel:BYTE_0 src1_sel:DWORD
	v_mov_b32_e32 v50, 0
	s_andn2_b32 s16, s16, exec_lo
	s_and_b32 s23, s23, exec_lo
	s_or_b32 s16, s16, s23
	s_or_b32 exec_lo, exec_lo, s22
	s_and_saveexec_b32 s22, s16
	s_cbranch_execnz .LBB4_9700
	s_branch .LBB4_9701
.LBB4_9999:                             ;   in Loop: Header=BB4_9403 Depth=3
	s_or_saveexec_b32 s22, s22
	v_mov_b32_e32 v51, 0x7f800001
	s_xor_b32 exec_lo, exec_lo, s22
	s_cbranch_execz .LBB4_9705
.LBB4_10000:                            ;   in Loop: Header=BB4_9403 Depth=3
	v_cmp_ne_u16_sdwa s23, v72, v2 src0_sel:BYTE_0 src1_sel:DWORD
	v_mov_b32_e32 v51, 0
	s_andn2_b32 s16, s16, exec_lo
	s_and_b32 s23, s23, exec_lo
	s_or_b32 s16, s16, s23
	s_or_b32 exec_lo, exec_lo, s22
	s_and_saveexec_b32 s22, s16
	s_cbranch_execnz .LBB4_9706
	s_branch .LBB4_9707
.LBB4_10001:                            ;   in Loop: Header=BB4_9403 Depth=3
	s_or_saveexec_b32 s22, s22
	v_mov_b32_e32 v50, 0x7f800001
	s_xor_b32 exec_lo, exec_lo, s22
	s_cbranch_execz .LBB4_9719
.LBB4_10002:                            ;   in Loop: Header=BB4_9403 Depth=3
	v_cmp_ne_u16_sdwa s23, v82, v2 src0_sel:BYTE_0 src1_sel:DWORD
	v_mov_b32_e32 v50, 0
	s_andn2_b32 s16, s16, exec_lo
	s_and_b32 s23, s23, exec_lo
	s_or_b32 s16, s16, s23
	s_or_b32 exec_lo, exec_lo, s22
	s_and_saveexec_b32 s22, s16
	s_cbranch_execnz .LBB4_9720
	s_branch .LBB4_9721
.LBB4_10003:                            ;   in Loop: Header=BB4_9403 Depth=3
	s_or_saveexec_b32 s22, s22
	v_mov_b32_e32 v51, 0x7f800001
	s_xor_b32 exec_lo, exec_lo, s22
	s_cbranch_execz .LBB4_9725
.LBB4_10004:                            ;   in Loop: Header=BB4_9403 Depth=3
	v_cmp_ne_u16_sdwa s23, v1, v2 src0_sel:BYTE_0 src1_sel:DWORD
	v_mov_b32_e32 v51, 0
	s_andn2_b32 s16, s16, exec_lo
	s_and_b32 s23, s23, exec_lo
	s_or_b32 s16, s16, s23
	s_or_b32 exec_lo, exec_lo, s22
	s_and_saveexec_b32 s22, s16
	s_cbranch_execnz .LBB4_9726
	s_branch .LBB4_9727
.LBB4_10005:                            ;   in Loop: Header=BB4_9403 Depth=3
	s_or_saveexec_b32 s22, s22
	v_mov_b32_e32 v1, 0x7f800001
	s_xor_b32 exec_lo, exec_lo, s22
	s_cbranch_execz .LBB4_9739
.LBB4_10006:                            ;   in Loop: Header=BB4_9403 Depth=3
	v_cmp_ne_u16_sdwa s23, v80, v2 src0_sel:BYTE_0 src1_sel:DWORD
	v_mov_b32_e32 v1, 0
	s_andn2_b32 s16, s16, exec_lo
	s_and_b32 s23, s23, exec_lo
	s_or_b32 s16, s16, s23
	s_or_b32 exec_lo, exec_lo, s22
	s_and_saveexec_b32 s22, s16
	s_cbranch_execnz .LBB4_9740
	s_branch .LBB4_9741
.LBB4_10007:                            ;   in Loop: Header=BB4_9403 Depth=3
	s_or_saveexec_b32 s22, s22
	v_mov_b32_e32 v50, 0x7f800001
	s_xor_b32 exec_lo, exec_lo, s22
	s_cbranch_execz .LBB4_9745
.LBB4_10008:                            ;   in Loop: Header=BB4_9403 Depth=3
	v_cmp_ne_u16_sdwa s23, v35, v2 src0_sel:BYTE_0 src1_sel:DWORD
	v_mov_b32_e32 v50, 0
	s_andn2_b32 s16, s16, exec_lo
	s_and_b32 s23, s23, exec_lo
	s_or_b32 s16, s16, s23
	s_or_b32 exec_lo, exec_lo, s22
	s_and_saveexec_b32 s22, s16
	s_cbranch_execnz .LBB4_9746
	s_branch .LBB4_9747
.LBB4_10009:                            ;   in Loop: Header=BB4_9403 Depth=3
	s_or_saveexec_b32 s22, s22
	v_mov_b32_e32 v1, 0x7f800001
	s_xor_b32 exec_lo, exec_lo, s22
	s_cbranch_execz .LBB4_9759
.LBB4_10010:                            ;   in Loop: Header=BB4_9403 Depth=3
	v_cmp_ne_u16_sdwa s23, v64, v2 src0_sel:BYTE_0 src1_sel:DWORD
	v_mov_b32_e32 v1, 0
	s_andn2_b32 s16, s16, exec_lo
	s_and_b32 s23, s23, exec_lo
	s_or_b32 s16, s16, s23
	s_or_b32 exec_lo, exec_lo, s22
	s_and_saveexec_b32 s22, s16
	s_cbranch_execnz .LBB4_9760
	s_branch .LBB4_9761
.LBB4_10011:                            ;   in Loop: Header=BB4_9403 Depth=3
	s_or_saveexec_b32 s22, s22
	v_mov_b32_e32 v50, 0x7f800001
	s_xor_b32 exec_lo, exec_lo, s22
	s_cbranch_execz .LBB4_9765
.LBB4_10012:                            ;   in Loop: Header=BB4_9403 Depth=3
	v_cmp_ne_u16_sdwa s23, v31, v2 src0_sel:BYTE_0 src1_sel:DWORD
	v_mov_b32_e32 v50, 0
	s_andn2_b32 s16, s16, exec_lo
	s_and_b32 s23, s23, exec_lo
	s_or_b32 s16, s16, s23
	s_or_b32 exec_lo, exec_lo, s22
	s_and_saveexec_b32 s22, s16
	s_cbranch_execnz .LBB4_9766
	s_branch .LBB4_9767
.LBB4_10013:                            ;   in Loop: Header=BB4_9403 Depth=3
	s_or_saveexec_b32 s22, s22
	v_mov_b32_e32 v1, 0x7f800001
	s_xor_b32 exec_lo, exec_lo, s22
	s_cbranch_execz .LBB4_9779
.LBB4_10014:                            ;   in Loop: Header=BB4_9403 Depth=3
	v_cmp_ne_u16_sdwa s23, v54, v2 src0_sel:BYTE_0 src1_sel:DWORD
	v_mov_b32_e32 v1, 0
	s_andn2_b32 s16, s16, exec_lo
	s_and_b32 s23, s23, exec_lo
	s_or_b32 s16, s16, s23
	s_or_b32 exec_lo, exec_lo, s22
	s_and_saveexec_b32 s22, s16
	s_cbranch_execnz .LBB4_9780
	s_branch .LBB4_9781
.LBB4_10015:                            ;   in Loop: Header=BB4_9403 Depth=3
	s_or_saveexec_b32 s22, s22
	v_mov_b32_e32 v31, 0x7f800001
	s_xor_b32 exec_lo, exec_lo, s22
	s_cbranch_execz .LBB4_9785
.LBB4_10016:                            ;   in Loop: Header=BB4_9403 Depth=3
	v_cmp_ne_u16_sdwa s23, v96, v2 src0_sel:BYTE_0 src1_sel:DWORD
	v_mov_b32_e32 v31, 0
	s_andn2_b32 s16, s16, exec_lo
	s_and_b32 s23, s23, exec_lo
	s_or_b32 s16, s16, s23
	s_or_b32 exec_lo, exec_lo, s22
	s_and_saveexec_b32 s22, s16
	s_cbranch_execnz .LBB4_9786
	s_branch .LBB4_9787
.LBB4_10017:                            ;   in Loop: Header=BB4_9403 Depth=3
	s_or_saveexec_b32 s22, s22
	v_mov_b32_e32 v1, 0x7f800001
	s_xor_b32 exec_lo, exec_lo, s22
	s_cbranch_execz .LBB4_9799
.LBB4_10018:                            ;   in Loop: Header=BB4_9403 Depth=3
	v_cmp_ne_u16_sdwa s23, v37, v2 src0_sel:BYTE_0 src1_sel:DWORD
	v_mov_b32_e32 v1, 0
	s_andn2_b32 s16, s16, exec_lo
	s_and_b32 s23, s23, exec_lo
	s_or_b32 s16, s16, s23
	s_or_b32 exec_lo, exec_lo, s22
	s_and_saveexec_b32 s22, s16
	s_cbranch_execnz .LBB4_9800
	s_branch .LBB4_9801
.LBB4_10019:                            ;   in Loop: Header=BB4_9403 Depth=3
	s_or_saveexec_b32 s22, s22
	v_mov_b32_e32 v31, 0x7f800001
	s_xor_b32 exec_lo, exec_lo, s22
	s_cbranch_execz .LBB4_9805
.LBB4_10020:                            ;   in Loop: Header=BB4_9403 Depth=3
	v_cmp_ne_u16_sdwa s23, v63, v2 src0_sel:BYTE_0 src1_sel:DWORD
	v_mov_b32_e32 v31, 0
	s_andn2_b32 s16, s16, exec_lo
	s_and_b32 s23, s23, exec_lo
	s_or_b32 s16, s16, s23
	s_or_b32 exec_lo, exec_lo, s22
	s_and_saveexec_b32 s22, s16
	s_cbranch_execnz .LBB4_9806
	s_branch .LBB4_9807
.LBB4_10021:                            ;   in Loop: Header=BB4_9403 Depth=3
	s_or_saveexec_b32 s22, s22
	v_mov_b32_e32 v1, 0x7f800001
	s_xor_b32 exec_lo, exec_lo, s22
	s_cbranch_execz .LBB4_9819
.LBB4_10022:                            ;   in Loop: Header=BB4_9403 Depth=3
	v_cmp_ne_u16_sdwa s23, v4, v2 src0_sel:BYTE_0 src1_sel:DWORD
	v_mov_b32_e32 v1, 0
	s_andn2_b32 s16, s16, exec_lo
	s_and_b32 s23, s23, exec_lo
	s_or_b32 s16, s16, s23
	s_or_b32 exec_lo, exec_lo, s22
	s_and_saveexec_b32 s22, s16
	s_cbranch_execnz .LBB4_9820
	s_branch .LBB4_9821
.LBB4_10023:                            ;   in Loop: Header=BB4_9403 Depth=3
	s_or_saveexec_b32 s22, s22
	v_mov_b32_e32 v4, 0x7f800001
	s_xor_b32 exec_lo, exec_lo, s22
	s_cbranch_execz .LBB4_9825
.LBB4_10024:                            ;   in Loop: Header=BB4_9403 Depth=3
	v_cmp_ne_u16_sdwa s23, v62, v2 src0_sel:BYTE_0 src1_sel:DWORD
	v_mov_b32_e32 v4, 0
	s_andn2_b32 s16, s16, exec_lo
	s_and_b32 s23, s23, exec_lo
	s_or_b32 s16, s16, s23
	s_or_b32 exec_lo, exec_lo, s22
	s_and_saveexec_b32 s22, s16
	s_cbranch_execnz .LBB4_9826
	s_branch .LBB4_9827
.LBB4_10025:                            ;   in Loop: Header=BB4_9403 Depth=3
	s_or_saveexec_b32 s22, s22
	v_mov_b32_e32 v1, 0x7f800001
	s_xor_b32 exec_lo, exec_lo, s22
	s_cbranch_execz .LBB4_9839
.LBB4_10026:                            ;   in Loop: Header=BB4_9403 Depth=3
	v_cmp_ne_u16_sdwa s23, v36, v2 src0_sel:BYTE_0 src1_sel:DWORD
	v_mov_b32_e32 v1, 0
	s_andn2_b32 s16, s16, exec_lo
	s_and_b32 s23, s23, exec_lo
	s_or_b32 s16, s16, s23
	s_or_b32 exec_lo, exec_lo, s22
	s_and_saveexec_b32 s22, s16
	s_cbranch_execnz .LBB4_9840
	s_branch .LBB4_9841
.LBB4_10027:                            ;   in Loop: Header=BB4_9403 Depth=3
	s_or_saveexec_b32 s22, s22
	v_mov_b32_e32 v31, 0x7f800001
	s_xor_b32 exec_lo, exec_lo, s22
	s_cbranch_execz .LBB4_9845
.LBB4_10028:                            ;   in Loop: Header=BB4_9403 Depth=3
	v_cmp_ne_u16_sdwa s23, v34, v2 src0_sel:BYTE_0 src1_sel:DWORD
	v_mov_b32_e32 v31, 0
	s_andn2_b32 s16, s16, exec_lo
	s_and_b32 s23, s23, exec_lo
	s_or_b32 s16, s16, s23
	s_or_b32 exec_lo, exec_lo, s22
	s_and_saveexec_b32 s22, s16
	s_cbranch_execnz .LBB4_9846
	s_branch .LBB4_9847
.LBB4_10029:                            ;   in Loop: Header=BB4_9403 Depth=3
	s_or_saveexec_b32 s22, s22
	v_mov_b32_e32 v31, 0x7f800001
	s_xor_b32 exec_lo, exec_lo, s22
	s_cbranch_execz .LBB4_9859
.LBB4_10030:                            ;   in Loop: Header=BB4_9403 Depth=3
	v_cmp_ne_u16_sdwa s23, v21, v2 src0_sel:BYTE_0 src1_sel:DWORD
	v_mov_b32_e32 v31, 0
	s_andn2_b32 s16, s16, exec_lo
	s_and_b32 s23, s23, exec_lo
	s_or_b32 s16, s16, s23
	s_or_b32 exec_lo, exec_lo, s22
	s_and_saveexec_b32 s22, s16
	s_cbranch_execnz .LBB4_9860
	s_branch .LBB4_9861
.LBB4_10031:                            ;   in Loop: Header=BB4_9403 Depth=3
	s_or_saveexec_b32 s22, s22
	v_mov_b32_e32 v21, 0x7f800001
	s_xor_b32 exec_lo, exec_lo, s22
	s_cbranch_execz .LBB4_9865
.LBB4_10032:                            ;   in Loop: Header=BB4_9403 Depth=3
	v_cmp_ne_u16_sdwa s23, v83, v2 src0_sel:BYTE_0 src1_sel:DWORD
	v_mov_b32_e32 v21, 0
	s_andn2_b32 s16, s16, exec_lo
	s_and_b32 s23, s23, exec_lo
	s_or_b32 s16, s16, s23
	s_or_b32 exec_lo, exec_lo, s22
	s_and_saveexec_b32 s22, s16
	s_cbranch_execnz .LBB4_9866
	s_branch .LBB4_9867
.LBB4_10033:                            ;   in Loop: Header=BB4_9403 Depth=3
	s_or_saveexec_b32 s22, s22
	v_mov_b32_e32 v31, 0x7f800001
	s_xor_b32 exec_lo, exec_lo, s22
	s_cbranch_execz .LBB4_9879
.LBB4_10034:                            ;   in Loop: Header=BB4_9403 Depth=3
	v_cmp_ne_u16_sdwa s23, v20, v2 src0_sel:BYTE_0 src1_sel:DWORD
	v_mov_b32_e32 v31, 0
	s_andn2_b32 s16, s16, exec_lo
	s_and_b32 s23, s23, exec_lo
	s_or_b32 s16, s16, s23
	s_or_b32 exec_lo, exec_lo, s22
	s_and_saveexec_b32 s22, s16
	s_cbranch_execnz .LBB4_9880
	s_branch .LBB4_9881
.LBB4_10035:                            ;   in Loop: Header=BB4_9403 Depth=3
	s_or_saveexec_b32 s22, s22
	v_mov_b32_e32 v20, 0x7f800001
	s_xor_b32 exec_lo, exec_lo, s22
	s_cbranch_execz .LBB4_9885
.LBB4_10036:                            ;   in Loop: Header=BB4_9403 Depth=3
	v_cmp_ne_u16_sdwa s23, v65, v2 src0_sel:BYTE_0 src1_sel:DWORD
	v_mov_b32_e32 v20, 0
	s_andn2_b32 s16, s16, exec_lo
	s_and_b32 s23, s23, exec_lo
	s_or_b32 s16, s16, s23
	s_or_b32 exec_lo, exec_lo, s22
	s_and_saveexec_b32 s22, s16
	s_cbranch_execnz .LBB4_9886
	s_branch .LBB4_9887
.LBB4_10037:                            ;   in Loop: Header=BB4_9403 Depth=3
	s_or_saveexec_b32 s22, s22
	v_mov_b32_e32 v31, 0x7f800001
	s_xor_b32 exec_lo, exec_lo, s22
	s_cbranch_execz .LBB4_9899
.LBB4_10038:                            ;   in Loop: Header=BB4_9403 Depth=3
	v_cmp_ne_u16_sdwa s23, v18, v2 src0_sel:BYTE_0 src1_sel:DWORD
	v_mov_b32_e32 v31, 0
	s_andn2_b32 s16, s16, exec_lo
	s_and_b32 s23, s23, exec_lo
	s_or_b32 s16, s16, s23
	s_or_b32 exec_lo, exec_lo, s22
	s_and_saveexec_b32 s22, s16
	s_cbranch_execnz .LBB4_9900
	s_branch .LBB4_9901
.LBB4_10039:                            ;   in Loop: Header=BB4_9403 Depth=3
	s_or_saveexec_b32 s22, s22
	v_mov_b32_e32 v18, 0x7f800001
	s_xor_b32 exec_lo, exec_lo, s22
	s_cbranch_execz .LBB4_9905
.LBB4_10040:                            ;   in Loop: Header=BB4_9403 Depth=3
	v_cmp_ne_u16_sdwa s23, v5, v2 src0_sel:BYTE_0 src1_sel:DWORD
	v_mov_b32_e32 v18, 0
	s_andn2_b32 s16, s16, exec_lo
	s_and_b32 s23, s23, exec_lo
	s_or_b32 s16, s16, s23
	s_or_b32 exec_lo, exec_lo, s22
	s_and_saveexec_b32 s22, s16
	s_cbranch_execnz .LBB4_9906
	s_branch .LBB4_9907
.LBB4_10041:                            ;   in Loop: Header=BB4_9403 Depth=3
	s_or_saveexec_b32 s22, s22
	v_mov_b32_e32 v18, 0x7f800001
	s_xor_b32 exec_lo, exec_lo, s22
	s_cbranch_execz .LBB4_9919
.LBB4_10042:                            ;   in Loop: Header=BB4_9403 Depth=3
	v_cmp_ne_u16_sdwa s23, v17, v2 src0_sel:BYTE_0 src1_sel:DWORD
	v_mov_b32_e32 v18, 0
	s_andn2_b32 s16, s16, exec_lo
	s_and_b32 s23, s23, exec_lo
	s_or_b32 s16, s16, s23
	s_or_b32 exec_lo, exec_lo, s22
	s_and_saveexec_b32 s22, s16
	s_cbranch_execnz .LBB4_9920
	s_branch .LBB4_9921
.LBB4_10043:                            ;   in Loop: Header=BB4_9403 Depth=3
	s_or_saveexec_b32 s22, s22
	v_mov_b32_e32 v17, 0x7f800001
	s_xor_b32 exec_lo, exec_lo, s22
	s_cbranch_execz .LBB4_9925
.LBB4_10044:                            ;   in Loop: Header=BB4_9403 Depth=3
	v_cmp_ne_u16_sdwa s23, v19, v2 src0_sel:BYTE_0 src1_sel:DWORD
	v_mov_b32_e32 v17, 0
	s_andn2_b32 s16, s16, exec_lo
	s_and_b32 s23, s23, exec_lo
	s_or_b32 s16, s16, s23
	s_or_b32 exec_lo, exec_lo, s22
	s_and_saveexec_b32 s22, s16
	s_cbranch_execnz .LBB4_9926
	s_branch .LBB4_9927
.LBB4_10045:                            ;   in Loop: Header=BB4_9403 Depth=3
	s_or_saveexec_b32 s22, s22
	v_mov_b32_e32 v18, 0x7f800001
	s_xor_b32 exec_lo, exec_lo, s22
	s_cbranch_execz .LBB4_9939
.LBB4_10046:                            ;   in Loop: Header=BB4_9403 Depth=3
	v_cmp_ne_u16_sdwa s23, v15, v2 src0_sel:BYTE_0 src1_sel:DWORD
	v_mov_b32_e32 v18, 0
	s_andn2_b32 s16, s16, exec_lo
	s_and_b32 s23, s23, exec_lo
	s_or_b32 s16, s16, s23
	s_or_b32 exec_lo, exec_lo, s22
	s_and_saveexec_b32 s22, s16
	s_cbranch_execnz .LBB4_9940
	s_branch .LBB4_9941
.LBB4_10047:                            ;   in Loop: Header=BB4_9403 Depth=3
	s_or_saveexec_b32 s22, s22
	v_mov_b32_e32 v15, 0x7f800001
	s_xor_b32 exec_lo, exec_lo, s22
	s_cbranch_execz .LBB4_9945
.LBB4_10048:                            ;   in Loop: Header=BB4_9403 Depth=3
	v_cmp_ne_u16_sdwa s23, v14, v2 src0_sel:BYTE_0 src1_sel:DWORD
	v_mov_b32_e32 v15, 0
	s_andn2_b32 s16, s16, exec_lo
	s_and_b32 s23, s23, exec_lo
	s_or_b32 s16, s16, s23
	s_or_b32 exec_lo, exec_lo, s22
	s_and_saveexec_b32 s22, s16
	s_cbranch_execnz .LBB4_9946
	s_branch .LBB4_9947
.LBB4_10049:                            ;   in Loop: Header=BB4_4707 Depth=2
	s_or_b32 exec_lo, exec_lo, s19
.LBB4_10050:                            ;   in Loop: Header=BB4_4707 Depth=2
	s_or_b32 exec_lo, exec_lo, s18
	v_lshlrev_b32_e32 v1, 9, v71
	v_cmp_ne_u32_e32 vcc_lo, v67, v1
	s_and_b32 exec_lo, exec_lo, vcc_lo
	s_cbranch_execz .LBB4_10102
; %bb.10051:                            ;   in Loop: Header=BB4_4707 Depth=2
	v_lshlrev_b32_e32 v4, 5, v69
	v_lshlrev_b32_e32 v5, 5, v70
	v_sub_nc_u32_e32 v4, v68, v4
	v_sub_nc_u32_e32 v4, v4, v5
	v_add_nc_u32_e32 v4, v1, v4
	v_sub_nc_u32_e32 v1, v67, v4
	v_cmp_lt_i32_e32 vcc_lo, 0, v1
	s_and_b32 exec_lo, exec_lo, vcc_lo
	s_cbranch_execz .LBB4_10102
; %bb.10052:                            ;   in Loop: Header=BB4_4707 Depth=2
	s_trap 2
	ds_read_b128 v[8:11], v0
	ds_read_b64 v[12:13], v0
	v_add_nc_u32_e32 v4, v4, v66
	s_mov_b32 s18, 0
	v_ashrrev_i32_e32 v5, 31, v4
	s_waitcnt lgkmcnt(1)
	v_add_co_u32 v8, vcc_lo, v8, v4
	v_add_co_ci_u32_e64 v9, null, v9, v5, vcc_lo
	v_add_co_u32 v10, vcc_lo, v10, v4
	v_add_co_ci_u32_e64 v11, null, v11, v5, vcc_lo
	s_waitcnt lgkmcnt(0)
	v_add_co_u32 v12, vcc_lo, v12, v4
	v_add_co_ci_u32_e64 v13, null, v13, v5, vcc_lo
	s_branch .LBB4_10056
.LBB4_10053:                            ;   in Loop: Header=BB4_10056 Depth=3
	s_or_b32 exec_lo, exec_lo, s16
	v_lshrrev_b32_e32 v14, 21, v14
	v_cmp_gt_i32_e32 vcc_lo, 32, v5
	v_min_i32_e32 v15, 31, v5
	v_and_b32_sdwa v4, v4, v101 dst_sel:DWORD dst_unused:UNUSED_PAD src0_sel:BYTE_3 src1_sel:DWORD
	v_cndmask_b32_e32 v14, 3, v14, vcc_lo
	v_lshlrev_b32_e32 v15, 2, v15
	v_and_b32_e32 v16, 3, v14
	v_or_b32_e32 v5, v5, v14
	v_or3_b32 v4, v15, v4, v16
	v_cmp_ne_u32_e32 vcc_lo, 0, v5
	v_cndmask_b32_e32 v5, 0, v4, vcc_lo
.LBB4_10054:                            ;   in Loop: Header=BB4_10056 Depth=3
	s_or_b32 exec_lo, exec_lo, s22
.LBB4_10055:                            ;   in Loop: Header=BB4_10056 Depth=3
	s_or_b32 exec_lo, exec_lo, s19
	v_sub_nc_u32_e32 v1, v1, v98
	v_add_co_u32 v8, vcc_lo, v8, v98
	v_add_co_ci_u32_e64 v9, null, 0, v9, vcc_lo
	v_add_co_u32 v10, vcc_lo, v10, v98
	flat_store_byte v[12:13], v5 glc slc
	v_add_co_ci_u32_e64 v11, null, 0, v11, vcc_lo
	v_cmp_gt_i32_e32 vcc_lo, 1, v1
	v_add_co_u32 v12, s16, v12, v98
	v_add_co_ci_u32_e64 v13, null, 0, v13, s16
	s_or_b32 s18, vcc_lo, s18
	s_andn2_b32 exec_lo, exec_lo, s18
	s_cbranch_execz .LBB4_10102
.LBB4_10056:                            ;   Parent Loop BB4_47 Depth=1
                                        ;     Parent Loop BB4_4707 Depth=2
                                        ; =>    This Inner Loop Header: Depth=3
	s_trap 2
	ds_read_b64 v[14:15], v0
	s_waitcnt lgkmcnt(0)
	v_readfirstlane_b32 s16, v14
	s_and_b32 s19, s16, 0xff
	s_cmpk_lt_i32 s19, 0x80
	s_cbranch_scc1 .LBB4_10060
; %bb.10057:                            ;   in Loop: Header=BB4_10056 Depth=3
	s_and_b32 s22, 0xffff, s19
	s_cmpk_eq_i32 s22, 0x80
	s_mov_b32 s22, -1
	s_cbranch_scc0 .LBB4_10059
; %bb.10058:                            ;   in Loop: Header=BB4_10056 Depth=3
	s_mov_b32 s22, 0
.LBB4_10059:                            ;   in Loop: Header=BB4_10056 Depth=3
	s_mov_b32 s23, 0x7f800001
	s_branch .LBB4_10062
.LBB4_10060:                            ;   in Loop: Header=BB4_10056 Depth=3
	s_mov_b32 s22, 0
	s_mov_b32 s23, 0x7f800001
	s_cbranch_execz .LBB4_10062
; %bb.10061:                            ;   in Loop: Header=BB4_10056 Depth=3
	s_and_b32 s19, 0xffff, s19
	s_mov_b32 s23, 0
	s_cmp_lg_u32 s19, 0
	s_cselect_b32 s22, -1, 0
.LBB4_10062:                            ;   in Loop: Header=BB4_10056 Depth=3
	v_mov_b32_e32 v4, s23
	s_andn2_b32 vcc_lo, exec_lo, s22
	s_cbranch_vccnz .LBB4_10064
; %bb.10063:                            ;   in Loop: Header=BB4_10056 Depth=3
	s_and_b32 s19, s16, 3
	s_bfe_u32 s23, s16, 0x50002
	s_flbit_i32_b32 s22, s19
	v_lshlrev_b32_e32 v4, 24, v14
	s_min_u32 s22, s22, 32
	s_sub_i32 s72, s22, 29
	s_sub_i32 s22, 30, s22
	s_lshl_b32 s16, s16, s72
	v_and_b32_e32 v4, 0x80000000, v4
	s_and_b32 s16, s16, 3
	s_cmp_eq_u32 s23, 0
	s_cselect_b32 s22, s22, s23
	s_cselect_b32 s16, s16, s19
	s_lshl_b32 s19, s22, 23
	s_lshl_b32 s16, s16, 21
	s_add_i32 s19, s19, 0x37800000
	v_or_b32_e32 v4, s19, v4
	v_or_b32_e32 v4, s16, v4
.LBB4_10064:                            ;   in Loop: Header=BB4_10056 Depth=3
	flat_load_ubyte v5, v[8:9] slc
	s_mov_b32 s16, 0
	s_mov_b32 s19, exec_lo
	s_waitcnt vmcnt(0) lgkmcnt(0)
	v_cmpx_lt_i16_e32 0x7f, v5
	s_xor_b32 s19, exec_lo, s19
	s_cbranch_execz .LBB4_10096
; %bb.10065:                            ;   in Loop: Header=BB4_10056 Depth=3
	s_mov_b32 s16, -1
	s_mov_b32 s22, exec_lo
	v_cmpx_eq_u16_e32 0x80, v5
; %bb.10066:                            ;   in Loop: Header=BB4_10056 Depth=3
	s_xor_b32 s16, exec_lo, -1
; %bb.10067:                            ;   in Loop: Header=BB4_10056 Depth=3
	s_or_b32 exec_lo, exec_lo, s22
	s_and_b32 s16, s16, exec_lo
	s_or_saveexec_b32 s19, s19
	v_mov_b32_e32 v14, 0x7f800001
	s_xor_b32 exec_lo, exec_lo, s19
	s_cbranch_execnz .LBB4_10097
.LBB4_10068:                            ;   in Loop: Header=BB4_10056 Depth=3
	s_or_b32 exec_lo, exec_lo, s19
	s_and_saveexec_b32 s19, s16
	s_cbranch_execz .LBB4_10070
.LBB4_10069:                            ;   in Loop: Header=BB4_10056 Depth=3
	v_and_b32_e32 v14, 0xffff, v5
	v_lshlrev_b32_e32 v5, 24, v5
	v_and_b32_e32 v15, 3, v14
	v_bfe_u32 v18, v14, 2, 5
	v_and_b32_e32 v5, 0x80000000, v5
	v_ffbh_u32_e32 v16, v15
	v_cmp_eq_u32_e32 vcc_lo, 0, v18
	v_min_u32_e32 v16, 32, v16
	v_subrev_nc_u32_e32 v17, 29, v16
	v_sub_nc_u32_e32 v16, 30, v16
	v_lshlrev_b32_e32 v14, v17, v14
	v_cndmask_b32_e32 v16, v18, v16, vcc_lo
	v_and_b32_e32 v14, 3, v14
	v_cndmask_b32_e32 v14, v15, v14, vcc_lo
	v_lshl_add_u32 v15, v16, 23, 0x37800000
	v_lshlrev_b32_e32 v14, 21, v14
	v_or3_b32 v14, v5, v15, v14
.LBB4_10070:                            ;   in Loop: Header=BB4_10056 Depth=3
	s_or_b32 exec_lo, exec_lo, s19
	v_mul_f32_e32 v4, v4, v14
	v_mov_b32_e32 v14, 0x80
	s_mov_b32 s19, exec_lo
	v_and_b32_e32 v5, 0x7f800000, v4
	v_cmpx_ne_u32_e32 0x7f800000, v5
	s_cbranch_execz .LBB4_10078
; %bb.10071:                            ;   in Loop: Header=BB4_10056 Depth=3
	v_mov_b32_e32 v14, 0
	s_mov_b32 s22, exec_lo
	v_cmpx_ne_u32_e32 0, v4
	s_cbranch_execz .LBB4_10077
; %bb.10072:                            ;   in Loop: Header=BB4_10056 Depth=3
	v_bfe_u32 v5, v4, 23, 8
	v_and_b32_e32 v14, 0x7fffff, v4
	v_sub_nc_u32_e32 v15, 0x70, v5
	v_cmp_gt_u32_e32 vcc_lo, 0x71, v5
	v_or_b32_e32 v16, 0x800000, v14
	v_cndmask_b32_e32 v15, 0, v15, vcc_lo
	v_cmp_eq_u32_e32 vcc_lo, 0, v5
	v_add_nc_u32_e32 v5, 0xffffff91, v5
	v_cndmask_b32_e64 v15, v15, 0x6f, vcc_lo
	v_cndmask_b32_e32 v14, v16, v14, vcc_lo
	v_cndmask_b32_e64 v5, v5, 0xffffff92, vcc_lo
	v_lshl_add_u32 v16, 0x200000, v15, -1
	v_lshrrev_b32_e32 v17, v15, v14
	v_lshlrev_b32_e64 v19, v15, 0x100000
	v_add_nc_u32_e32 v15, v15, v5
	v_and_b32_e32 v14, v16, v14
	v_bfe_u32 v18, v17, 21, 1
	v_cmp_eq_u32_e64 s16, v14, v19
	v_add_nc_u32_e32 v16, -1, v18
	v_cndmask_b32_e64 v14, 0, v16, s16
	v_lshrrev_b32_e32 v16, 23, v17
	s_mov_b32 s16, exec_lo
	v_add_nc_u32_e32 v14, v14, v17
	v_xor_b32_e32 v16, 1, v16
	v_and_b32_e32 v5, 0x1fffff, v14
	v_add_nc_u32_e32 v14, v5, v17
                                        ; implicit-def: $vgpr5
	v_cmpx_ne_u32_e64 v15, v16
	s_xor_b32 s16, exec_lo, s16
; %bb.10073:                            ;   in Loop: Header=BB4_10056 Depth=3
	v_cmp_lt_u32_e32 vcc_lo, 0xffffff, v14
	v_sub_nc_u32_e32 v5, v15, v16
	v_cndmask_b32_e64 v15, 0, 1, vcc_lo
	v_add_co_ci_u32_e64 v5, null, 0, v5, vcc_lo
	v_lshrrev_b32_e32 v14, v15, v14
; %bb.10074:                            ;   in Loop: Header=BB4_10056 Depth=3
	s_andn2_saveexec_b32 s16, s16
; %bb.10075:                            ;   in Loop: Header=BB4_10056 Depth=3
	v_bfe_u32 v5, v14, 23, 1
; %bb.10076:                            ;   in Loop: Header=BB4_10056 Depth=3
	s_or_b32 exec_lo, exec_lo, s16
	v_lshrrev_b32_e32 v14, 21, v14
	v_cmp_gt_i32_e32 vcc_lo, 32, v5
	v_min_i32_e32 v15, 31, v5
	v_and_b32_sdwa v4, v4, v101 dst_sel:DWORD dst_unused:UNUSED_PAD src0_sel:BYTE_3 src1_sel:DWORD
	v_cndmask_b32_e32 v14, 3, v14, vcc_lo
	v_lshlrev_b32_e32 v15, 2, v15
	v_and_b32_e32 v16, 3, v14
	v_or_b32_e32 v5, v5, v14
	v_or3_b32 v4, v15, v4, v16
	v_cmp_ne_u32_e32 vcc_lo, 0, v5
	v_cndmask_b32_e32 v14, 0, v4, vcc_lo
.LBB4_10077:                            ;   in Loop: Header=BB4_10056 Depth=3
	s_or_b32 exec_lo, exec_lo, s22
.LBB4_10078:                            ;   in Loop: Header=BB4_10056 Depth=3
	s_or_b32 exec_lo, exec_lo, s19
	flat_load_ubyte v4, v[10:11] slc
	v_cmp_gt_i16_sdwa s19, v14, v100 src0_sel:BYTE_0 src1_sel:DWORD
	s_mov_b32 s16, 0
	s_and_saveexec_b32 s22, s19
	s_xor_b32 s19, exec_lo, s22
	s_cbranch_execz .LBB4_10098
; %bb.10079:                            ;   in Loop: Header=BB4_10056 Depth=3
	v_cmp_eq_u16_sdwa s23, v14, v101 src0_sel:BYTE_0 src1_sel:DWORD
	s_mov_b32 s16, -1
	s_and_saveexec_b32 s22, s23
; %bb.10080:                            ;   in Loop: Header=BB4_10056 Depth=3
	s_xor_b32 s16, exec_lo, -1
; %bb.10081:                            ;   in Loop: Header=BB4_10056 Depth=3
	s_or_b32 exec_lo, exec_lo, s22
	s_and_b32 s16, s16, exec_lo
	s_or_saveexec_b32 s19, s19
	v_mov_b32_e32 v5, 0x7f800001
	s_xor_b32 exec_lo, exec_lo, s19
	s_cbranch_execnz .LBB4_10099
.LBB4_10082:                            ;   in Loop: Header=BB4_10056 Depth=3
	s_or_b32 exec_lo, exec_lo, s19
	s_and_saveexec_b32 s19, s16
	s_cbranch_execz .LBB4_10084
.LBB4_10083:                            ;   in Loop: Header=BB4_10056 Depth=3
	v_and_b32_e32 v5, 3, v14
	v_lshrrev_b16 v16, 2, v14
	v_ffbh_u32_e32 v15, v5
	v_and_b32_e32 v16, 31, v16
	v_min_u32_e32 v15, 32, v15
	v_cmp_eq_u32_e32 vcc_lo, 0, v16
	v_subrev_nc_u32_e32 v17, 29, v15
	v_sub_nc_u32_e32 v15, 30, v15
	v_lshlrev_b32_e32 v17, v17, v14
	v_lshlrev_b32_e32 v14, 24, v14
	v_cndmask_b32_e32 v15, v16, v15, vcc_lo
	v_and_b32_e32 v17, 3, v17
	v_and_b32_e32 v14, 0x80000000, v14
	v_lshl_add_u32 v15, v15, 23, 0x37800000
	v_cndmask_b32_e32 v5, v5, v17, vcc_lo
	v_lshlrev_b32_e32 v5, 21, v5
	v_or3_b32 v5, v14, v15, v5
.LBB4_10084:                            ;   in Loop: Header=BB4_10056 Depth=3
	s_or_b32 exec_lo, exec_lo, s19
	s_waitcnt vmcnt(0) lgkmcnt(0)
	v_cmp_gt_i16_sdwa s19, v4, v100 src0_sel:BYTE_0 src1_sel:DWORD
	s_mov_b32 s16, 0
	s_and_saveexec_b32 s22, s19
	s_xor_b32 s19, exec_lo, s22
	s_cbranch_execz .LBB4_10100
; %bb.10085:                            ;   in Loop: Header=BB4_10056 Depth=3
	v_cmp_eq_u16_sdwa s23, v4, v101 src0_sel:BYTE_0 src1_sel:DWORD
	s_mov_b32 s16, -1
	s_and_saveexec_b32 s22, s23
; %bb.10086:                            ;   in Loop: Header=BB4_10056 Depth=3
	s_xor_b32 s16, exec_lo, -1
; %bb.10087:                            ;   in Loop: Header=BB4_10056 Depth=3
	s_or_b32 exec_lo, exec_lo, s22
	s_and_b32 s16, s16, exec_lo
	s_or_saveexec_b32 s19, s19
	v_mov_b32_e32 v14, 0x7f800001
	s_xor_b32 exec_lo, exec_lo, s19
	s_cbranch_execnz .LBB4_10101
.LBB4_10088:                            ;   in Loop: Header=BB4_10056 Depth=3
	s_or_b32 exec_lo, exec_lo, s19
	s_and_saveexec_b32 s19, s16
	s_cbranch_execz .LBB4_10090
.LBB4_10089:                            ;   in Loop: Header=BB4_10056 Depth=3
	v_and_b32_e32 v14, 3, v4
	v_lshrrev_b16 v16, 2, v4
	v_ffbh_u32_e32 v15, v14
	v_and_b32_e32 v16, 31, v16
	v_min_u32_e32 v15, 32, v15
	v_cmp_eq_u32_e32 vcc_lo, 0, v16
	v_subrev_nc_u32_e32 v17, 29, v15
	v_sub_nc_u32_e32 v15, 30, v15
	v_lshlrev_b32_e32 v17, v17, v4
	v_lshlrev_b32_e32 v4, 24, v4
	v_cndmask_b32_e32 v15, v16, v15, vcc_lo
	v_and_b32_e32 v17, 3, v17
	v_and_b32_e32 v4, 0x80000000, v4
	v_lshl_add_u32 v15, v15, 23, 0x37800000
	v_cndmask_b32_e32 v14, v14, v17, vcc_lo
	v_lshlrev_b32_e32 v14, 21, v14
	v_or3_b32 v14, v4, v15, v14
.LBB4_10090:                            ;   in Loop: Header=BB4_10056 Depth=3
	s_or_b32 exec_lo, exec_lo, s19
	v_add_f32_e32 v4, v5, v14
	v_and_b32_e32 v5, 0x7f800000, v4
	v_cmp_ne_u32_e32 vcc_lo, 0x7f800000, v5
	v_mov_b32_e32 v5, 0x80
	s_and_saveexec_b32 s19, vcc_lo
	s_cbranch_execz .LBB4_10055
; %bb.10091:                            ;   in Loop: Header=BB4_10056 Depth=3
	v_mov_b32_e32 v5, 0
	s_mov_b32 s22, exec_lo
	v_cmpx_ne_u32_e32 0, v4
	s_cbranch_execz .LBB4_10054
; %bb.10092:                            ;   in Loop: Header=BB4_10056 Depth=3
	v_bfe_u32 v5, v4, 23, 8
	v_and_b32_e32 v14, 0x7fffff, v4
	v_sub_nc_u32_e32 v15, 0x70, v5
	v_cmp_gt_u32_e32 vcc_lo, 0x71, v5
	v_or_b32_e32 v16, 0x800000, v14
	v_cndmask_b32_e32 v15, 0, v15, vcc_lo
	v_cmp_eq_u32_e32 vcc_lo, 0, v5
	v_add_nc_u32_e32 v5, 0xffffff91, v5
	v_cndmask_b32_e64 v15, v15, 0x6f, vcc_lo
	v_cndmask_b32_e32 v14, v16, v14, vcc_lo
	v_cndmask_b32_e64 v5, v5, 0xffffff92, vcc_lo
	v_lshl_add_u32 v16, 0x200000, v15, -1
	v_lshrrev_b32_e32 v17, v15, v14
	v_lshlrev_b32_e64 v19, v15, 0x100000
	v_add_nc_u32_e32 v15, v15, v5
	v_and_b32_e32 v14, v16, v14
	v_bfe_u32 v18, v17, 21, 1
	v_cmp_eq_u32_e64 s16, v14, v19
	v_add_nc_u32_e32 v16, -1, v18
	v_cndmask_b32_e64 v14, 0, v16, s16
	v_lshrrev_b32_e32 v16, 23, v17
	s_mov_b32 s16, exec_lo
	v_add_nc_u32_e32 v14, v14, v17
	v_xor_b32_e32 v16, 1, v16
	v_and_b32_e32 v5, 0x1fffff, v14
	v_add_nc_u32_e32 v14, v5, v17
                                        ; implicit-def: $vgpr5
	v_cmpx_ne_u32_e64 v15, v16
	s_xor_b32 s16, exec_lo, s16
; %bb.10093:                            ;   in Loop: Header=BB4_10056 Depth=3
	v_cmp_lt_u32_e32 vcc_lo, 0xffffff, v14
	v_sub_nc_u32_e32 v5, v15, v16
	v_cndmask_b32_e64 v15, 0, 1, vcc_lo
	v_add_co_ci_u32_e64 v5, null, 0, v5, vcc_lo
	v_lshrrev_b32_e32 v14, v15, v14
; %bb.10094:                            ;   in Loop: Header=BB4_10056 Depth=3
	s_andn2_saveexec_b32 s16, s16
	s_cbranch_execz .LBB4_10053
; %bb.10095:                            ;   in Loop: Header=BB4_10056 Depth=3
	v_bfe_u32 v5, v14, 23, 1
	s_branch .LBB4_10053
.LBB4_10096:                            ;   in Loop: Header=BB4_10056 Depth=3
	s_or_saveexec_b32 s19, s19
	v_mov_b32_e32 v14, 0x7f800001
	s_xor_b32 exec_lo, exec_lo, s19
	s_cbranch_execz .LBB4_10068
.LBB4_10097:                            ;   in Loop: Header=BB4_10056 Depth=3
	v_cmp_ne_u16_e32 vcc_lo, 0, v5
	v_mov_b32_e32 v14, 0
	s_andn2_b32 s16, s16, exec_lo
	s_and_b32 s22, vcc_lo, exec_lo
	s_or_b32 s16, s16, s22
	s_or_b32 exec_lo, exec_lo, s19
	s_and_saveexec_b32 s19, s16
	s_cbranch_execnz .LBB4_10069
	s_branch .LBB4_10070
.LBB4_10098:                            ;   in Loop: Header=BB4_10056 Depth=3
	s_or_saveexec_b32 s19, s19
	v_mov_b32_e32 v5, 0x7f800001
	s_xor_b32 exec_lo, exec_lo, s19
	s_cbranch_execz .LBB4_10082
.LBB4_10099:                            ;   in Loop: Header=BB4_10056 Depth=3
	v_cmp_ne_u16_sdwa s22, v14, v2 src0_sel:BYTE_0 src1_sel:DWORD
	v_mov_b32_e32 v5, 0
	s_andn2_b32 s16, s16, exec_lo
	s_and_b32 s22, s22, exec_lo
	s_or_b32 s16, s16, s22
	s_or_b32 exec_lo, exec_lo, s19
	s_and_saveexec_b32 s19, s16
	s_cbranch_execnz .LBB4_10083
	s_branch .LBB4_10084
.LBB4_10100:                            ;   in Loop: Header=BB4_10056 Depth=3
	s_or_saveexec_b32 s19, s19
	v_mov_b32_e32 v14, 0x7f800001
	s_xor_b32 exec_lo, exec_lo, s19
	s_cbranch_execz .LBB4_10088
.LBB4_10101:                            ;   in Loop: Header=BB4_10056 Depth=3
	v_cmp_ne_u16_sdwa s22, v4, v2 src0_sel:BYTE_0 src1_sel:DWORD
	v_mov_b32_e32 v14, 0
	s_andn2_b32 s16, s16, exec_lo
	s_and_b32 s22, s22, exec_lo
	s_or_b32 s16, s16, s22
	s_or_b32 exec_lo, exec_lo, s19
	s_and_saveexec_b32 s19, s16
	s_cbranch_execnz .LBB4_10089
	s_branch .LBB4_10090
.LBB4_10102:                            ;   in Loop: Header=BB4_4707 Depth=2
	s_or_b32 exec_lo, exec_lo, s17
	v_cmp_lt_i32_e64 s16, 0, v61
	s_and_saveexec_b32 s17, s6
	s_cbranch_execnz .LBB4_10103
; %bb.10743:                            ;   in Loop: Header=BB4_4707 Depth=2
	s_getpc_b64 s[34:35]
.Lpost_getpc15:
	s_add_u32 s34, s34, (.LBB4_4783-.Lpost_getpc15)&4294967295
	s_addc_u32 s35, s35, (.LBB4_4783-.Lpost_getpc15)>>32
	s_setpc_b64 s[34:35]
.LBB4_10103:                            ;   in Loop: Header=BB4_4707 Depth=2
	s_and_saveexec_b32 s18, s29
	s_xor_b32 s18, exec_lo, s18
	s_cbranch_execz .LBB4_10118
; %bb.10104:                            ;   in Loop: Header=BB4_4707 Depth=2
	s_and_saveexec_b32 s19, s11
	s_cbranch_execz .LBB4_10117
; %bb.10105:                            ;   in Loop: Header=BB4_4707 Depth=2
	s_mov_b32 s23, exec_lo
	s_mov_b32 s22, exec_lo
	v_mbcnt_lo_u32_b32 v1, s23, 0
	s_waitcnt vmcnt(0) lgkmcnt(0)
	s_waitcnt_vscnt null, 0x0
	buffer_gl1_inv
	buffer_gl0_inv
	v_cmpx_eq_u32_e32 0, v1
	s_cbranch_execz .LBB4_10107
; %bb.10106:                            ;   in Loop: Header=BB4_4707 Depth=2
	s_bcnt1_i32_b32 s23, s23
	v_mov_b32_e32 v5, v2
	v_mov_b32_e32 v4, s23
	ds_add_u64 v0, v[4:5]
	s_trap 2
.LBB4_10107:                            ;   in Loop: Header=BB4_4707 Depth=2
	s_or_b32 exec_lo, exec_lo, s22
	s_trap 2
	ds_read_b64 v[4:5], v0
	s_waitcnt lgkmcnt(0)
	buffer_gl0_inv
	v_add_co_u32 v28, vcc_lo, v28, v87
	v_add_co_ci_u32_e64 v29, null, 0, v29, vcc_lo
	s_mov_b32 s22, exec_lo
	v_cmpx_lt_u64_e64 v[4:5], v[28:29]
	s_cbranch_execz .LBB4_10116
; %bb.10108:                            ;   in Loop: Header=BB4_4707 Depth=2
	s_mov_b32 s23, 0
	s_mov_b32 s74, 0
                                        ; implicit-def: $sgpr72
                                        ; implicit-def: $sgpr73
	s_inst_prefetch 0x1
	s_branch .LBB4_10110
	.p2align	6
.LBB4_10109:                            ;   in Loop: Header=BB4_10110 Depth=3
	s_or_b32 exec_lo, exec_lo, s76
	s_and_b32 s75, exec_lo, s77
	s_or_b32 s23, s75, s23
	s_andn2_b32 s72, s72, exec_lo
	s_and_b32 s75, s73, exec_lo
	s_or_b32 s72, s72, s75
	s_andn2_b32 exec_lo, exec_lo, s23
	s_cbranch_execz .LBB4_10114
.LBB4_10110:                            ;   Parent Loop BB4_47 Depth=1
                                        ;     Parent Loop BB4_4707 Depth=2
                                        ; =>    This Inner Loop Header: Depth=3
	s_add_i32 s74, s74, 1
	s_cmpk_lg_i32 s74, 0x2710
	s_cselect_b32 s75, -1, 0
	s_and_b32 vcc_lo, exec_lo, s75
	s_cbranch_vccz .LBB4_10112
; %bb.10111:                            ;   in Loop: Header=BB4_10110 Depth=3
	s_mov_b32 s77, -1
	s_or_b32 s73, s73, exec_lo
	s_and_saveexec_b32 s76, s75
	s_cbranch_execz .LBB4_10109
	s_branch .LBB4_10113
	.p2align	6
.LBB4_10112:                            ;   in Loop: Header=BB4_10110 Depth=3
	s_trap 2
	ds_read_b64 v[4:5], v0
	s_andn2_b32 s75, s75, exec_lo
	s_mov_b32 s74, 0
	s_waitcnt lgkmcnt(0)
	flat_load_dword v1, v[4:5] glc dlc
	s_waitcnt vmcnt(0) lgkmcnt(0)
	buffer_gl1_inv
	buffer_gl0_inv
	v_cmp_eq_u32_e32 vcc_lo, 0, v1
	s_and_b32 s76, vcc_lo, exec_lo
	s_or_b32 s75, s75, s76
	s_mov_b32 s77, -1
	s_or_b32 s73, s73, exec_lo
	s_and_saveexec_b32 s76, s75
	s_cbranch_execz .LBB4_10109
.LBB4_10113:                            ;   in Loop: Header=BB4_10110 Depth=3
	s_sleep 1
	s_trap 2
	ds_read_b64 v[4:5], v0
	s_waitcnt lgkmcnt(0)
	buffer_gl0_inv
	s_andn2_b32 s73, s73, exec_lo
	v_cmp_ge_u64_e32 vcc_lo, v[4:5], v[28:29]
	s_orn2_b32 s77, vcc_lo, exec_lo
	s_branch .LBB4_10109
.LBB4_10114:                            ;   in Loop: Header=BB4_4707 Depth=2
	s_inst_prefetch 0x2
	s_or_b32 exec_lo, exec_lo, s23
	s_and_saveexec_b32 s23, s72
	s_xor_b32 s23, exec_lo, s23
	s_cbranch_execz .LBB4_10116
; %bb.10115:                            ;   in Loop: Header=BB4_4707 Depth=2
	ds_write_b32 v0, v99
	s_trap 2
.LBB4_10116:                            ;   in Loop: Header=BB4_4707 Depth=2
	s_or_b32 exec_lo, exec_lo, s22
	;;#ASMSTART
	s_wakeup
	;;#ASMEND
.LBB4_10117:                            ;   in Loop: Header=BB4_4707 Depth=2
	s_or_b32 exec_lo, exec_lo, s19
.LBB4_10118:                            ;   in Loop: Header=BB4_4707 Depth=2
	s_andn2_saveexec_b32 s18, s18
	s_cbranch_execz .LBB4_10120
; %bb.10119:                            ;   in Loop: Header=BB4_4707 Depth=2
	s_waitcnt vmcnt(0) lgkmcnt(0)
	s_waitcnt_vscnt null, 0x0
	buffer_gl1_inv
	buffer_gl0_inv
	s_barrier
.LBB4_10120:                            ;   in Loop: Header=BB4_4707 Depth=2
	s_or_b32 exec_lo, exec_lo, s18
	s_or_b32 exec_lo, exec_lo, s17
                                        ; implicit-def: $vgpr1
	s_and_saveexec_b32 s17, s15
	s_xor_b32 s17, exec_lo, s17
	s_cbranch_execz .LBB4_10121
; %bb.10745:                            ;   in Loop: Header=BB4_4707 Depth=2
	s_getpc_b64 s[34:35]
.Lpost_getpc16:
	s_add_u32 s34, s34, (.LBB4_4784-.Lpost_getpc16)&4294967295
	s_addc_u32 s35, s35, (.LBB4_4784-.Lpost_getpc16)>>32
	s_setpc_b64 s[34:35]
.LBB4_10121:                            ;   in Loop: Header=BB4_4707 Depth=2
	s_andn2_saveexec_b32 s16, s17
	s_cbranch_execz .LBB4_10140
.LBB4_10122:                            ;   in Loop: Header=BB4_4707 Depth=2
	s_and_saveexec_b32 s17, s29
	s_xor_b32 s17, exec_lo, s17
	s_cbranch_execz .LBB4_10137
; %bb.10123:                            ;   in Loop: Header=BB4_4707 Depth=2
	s_and_saveexec_b32 s18, s11
	s_cbranch_execz .LBB4_10136
; %bb.10124:                            ;   in Loop: Header=BB4_4707 Depth=2
	s_mov_b32 s22, exec_lo
	s_mov_b32 s19, exec_lo
	v_mbcnt_lo_u32_b32 v1, s22, 0
	;;#ASMSTART
	s_waitcnt lgkmcnt(0) vmcnt(0)
	;;#ASMEND
	v_cmpx_eq_u32_e32 0, v1
	s_cbranch_execz .LBB4_10126
; %bb.10125:                            ;   in Loop: Header=BB4_4707 Depth=2
	s_bcnt1_i32_b32 s22, s22
	v_mov_b32_e32 v5, v2
	v_mov_b32_e32 v4, s22
	s_waitcnt vmcnt(0) lgkmcnt(0)
	s_waitcnt_vscnt null, 0x0
	ds_add_u64 v0, v[4:5]
	s_trap 2
.LBB4_10126:                            ;   in Loop: Header=BB4_4707 Depth=2
	s_or_b32 exec_lo, exec_lo, s19
	s_trap 2
	ds_read_b64 v[4:5], v0
	s_waitcnt vmcnt(0) lgkmcnt(0)
	buffer_gl0_inv
	v_add_co_u32 v28, vcc_lo, v28, v87
	v_add_co_ci_u32_e64 v29, null, 0, v29, vcc_lo
	s_mov_b32 s19, exec_lo
	v_cmpx_lt_u64_e64 v[4:5], v[28:29]
	s_cbranch_execz .LBB4_10135
; %bb.10127:                            ;   in Loop: Header=BB4_4707 Depth=2
	s_mov_b32 s22, 0
	s_mov_b32 s73, 0
                                        ; implicit-def: $sgpr23
                                        ; implicit-def: $sgpr72
	s_inst_prefetch 0x1
	s_branch .LBB4_10129
	.p2align	6
.LBB4_10128:                            ;   in Loop: Header=BB4_10129 Depth=3
	s_or_b32 exec_lo, exec_lo, s75
	s_and_b32 s74, exec_lo, s76
	s_or_b32 s22, s74, s22
	s_andn2_b32 s23, s23, exec_lo
	s_and_b32 s74, s72, exec_lo
	s_or_b32 s23, s23, s74
	s_andn2_b32 exec_lo, exec_lo, s22
	s_cbranch_execz .LBB4_10133
.LBB4_10129:                            ;   Parent Loop BB4_47 Depth=1
                                        ;     Parent Loop BB4_4707 Depth=2
                                        ; =>    This Inner Loop Header: Depth=3
	s_add_i32 s73, s73, 1
	s_cmpk_lg_i32 s73, 0x2710
	s_cselect_b32 s74, -1, 0
	s_and_b32 vcc_lo, exec_lo, s74
	s_cbranch_vccz .LBB4_10131
; %bb.10130:                            ;   in Loop: Header=BB4_10129 Depth=3
	s_mov_b32 s76, -1
	s_or_b32 s72, s72, exec_lo
	s_and_saveexec_b32 s75, s74
	s_cbranch_execz .LBB4_10128
	s_branch .LBB4_10132
	.p2align	6
.LBB4_10131:                            ;   in Loop: Header=BB4_10129 Depth=3
	s_trap 2
	ds_read_b64 v[4:5], v0
	s_andn2_b32 s74, s74, exec_lo
	s_mov_b32 s73, 0
	s_waitcnt lgkmcnt(0)
	s_waitcnt_vscnt null, 0x0
	flat_load_dword v1, v[4:5] glc dlc
	s_waitcnt vmcnt(0) lgkmcnt(0)
	buffer_gl1_inv
	buffer_gl0_inv
	v_cmp_eq_u32_e32 vcc_lo, 0, v1
	s_and_b32 s75, vcc_lo, exec_lo
	s_or_b32 s74, s74, s75
	s_mov_b32 s76, -1
	s_or_b32 s72, s72, exec_lo
	s_and_saveexec_b32 s75, s74
	s_cbranch_execz .LBB4_10128
.LBB4_10132:                            ;   in Loop: Header=BB4_10129 Depth=3
	s_sleep 1
	s_trap 2
	ds_read_b64 v[4:5], v0
	s_waitcnt lgkmcnt(0)
	buffer_gl0_inv
	s_andn2_b32 s72, s72, exec_lo
	v_cmp_ge_u64_e32 vcc_lo, v[4:5], v[28:29]
	s_orn2_b32 s76, vcc_lo, exec_lo
	s_branch .LBB4_10128
.LBB4_10133:                            ;   in Loop: Header=BB4_4707 Depth=2
	s_inst_prefetch 0x2
	s_or_b32 exec_lo, exec_lo, s22
	s_and_saveexec_b32 s22, s23
	s_xor_b32 s22, exec_lo, s22
	s_cbranch_execz .LBB4_10135
; %bb.10134:                            ;   in Loop: Header=BB4_4707 Depth=2
	ds_write_b32 v0, v99
	s_trap 2
.LBB4_10135:                            ;   in Loop: Header=BB4_4707 Depth=2
	s_or_b32 exec_lo, exec_lo, s19
	;;#ASMSTART
	s_wakeup
	;;#ASMEND
.LBB4_10136:                            ;   in Loop: Header=BB4_4707 Depth=2
	s_or_b32 exec_lo, exec_lo, s18
.LBB4_10137:                            ;   in Loop: Header=BB4_4707 Depth=2
	s_andn2_saveexec_b32 s17, s17
	s_cbranch_execz .LBB4_10139
; %bb.10138:                            ;   in Loop: Header=BB4_4707 Depth=2
	;;#ASMSTART
	s_waitcnt lgkmcnt(0) vmcnt(0)
	;;#ASMEND
	s_barrier
.LBB4_10139:                            ;   in Loop: Header=BB4_4707 Depth=2
	s_or_b32 exec_lo, exec_lo, s17
	v_and_b32_e32 v1, 16, v84
.LBB4_10140:                            ;   in Loop: Header=BB4_4707 Depth=2
	s_or_b32 exec_lo, exec_lo, s16
	v_cmp_ne_u32_e32 vcc_lo, 0, v1
	s_xor_b32 s16, s7, -1
	s_and_b32 s17, vcc_lo, s16
	s_and_saveexec_b32 s16, s17
	s_cbranch_execz .LBB4_10142
; %bb.10141:                            ;   in Loop: Header=BB4_4707 Depth=2
	s_waitcnt vmcnt(0) lgkmcnt(0)
	s_waitcnt_vscnt null, 0x0
	flat_store_dword v[26:27], v99
.LBB4_10142:                            ;   in Loop: Header=BB4_4707 Depth=2
	s_or_b32 exec_lo, exec_lo, s16
	v_and_b32_e32 v1, 48, v84
	s_mov_b32 s16, exec_lo
	v_cmpx_ne_u32_e32 0, v1
	s_cbranch_execnz .LBB4_10143
; %bb.10747:                            ;   in Loop: Header=BB4_4707 Depth=2
	s_getpc_b64 s[34:35]
.Lpost_getpc17:
	s_add_u32 s34, s34, (.LBB4_4706-.Lpost_getpc17)&4294967295
	s_addc_u32 s35, s35, (.LBB4_4706-.Lpost_getpc17)>>32
	s_setpc_b64 s[34:35]
.LBB4_10143:                            ;   in Loop: Header=BB4_4707 Depth=2
	v_add_co_u32 v48, vcc_lo, v48, 2
	v_add_co_ci_u32_e64 v49, null, 0, v49, vcc_lo
	s_waitcnt vmcnt(0) lgkmcnt(0)
	s_waitcnt_vscnt null, 0x0
	flat_store_dwordx2 v[22:23], v[48:49]
; %bb.10725:                            ;   in Loop: Header=BB4_4707 Depth=2
	s_getpc_b64 s[34:35]
.Lpost_getpc6:
	s_add_u32 s34, s34, (.LBB4_4706-.Lpost_getpc6)&4294967295
	s_addc_u32 s35, s35, (.LBB4_4706-.Lpost_getpc6)>>32
	s_setpc_b64 s[34:35]
.LBB4_10144:                            ;   in Loop: Header=BB4_47 Depth=1
	s_or_b32 exec_lo, exec_lo, s61
.LBB4_10145:                            ;   in Loop: Header=BB4_47 Depth=1
	s_or_b32 exec_lo, exec_lo, s21
	s_mov_b32 s17, exec_lo
	v_cmpx_gt_i32_e32 2, v1
	s_cbranch_execz .LBB4_10221
; %bb.10146:                            ;   in Loop: Header=BB4_47 Depth=1
	v_cmp_eq_u32_e64 s19, 0, v1
	s_mov_b32 s18, 0
	s_branch .LBB4_10148
.LBB4_10147:                            ;   in Loop: Header=BB4_10148 Depth=2
	s_or_b32 exec_lo, exec_lo, s16
	v_add_nc_u32_e32 v55, v52, v55
	s_mov_b32 s19, 0
	s_andn2_b32 exec_lo, exec_lo, s18
	s_cbranch_execz .LBB4_10220
.LBB4_10148:                            ;   Parent Loop BB4_47 Depth=1
                                        ; =>  This Loop Header: Depth=2
                                        ;       Child Loop BB4_10154 Depth 3
                                        ;       Child Loop BB4_10182 Depth 3
	;; [unrolled: 1-line block ×3, first 2 shown]
	v_sub_nc_u32_e32 v1, v3, v55
	v_and_b32_e32 v4, 12, v84
	s_mov_b32 s21, exec_lo
	v_min_i32_e32 v52, v52, v1
	v_cmpx_ne_u32_e32 0, v4
	s_cbranch_execz .LBB4_10174
; %bb.10149:                            ;   in Loop: Header=BB4_10148 Depth=2
	v_and_b32_e32 v1, 8, v84
	s_mov_b32 s22, exec_lo
	s_waitcnt vmcnt(0) lgkmcnt(1)
	v_add_co_u32 v4, vcc_lo, v32, v1
	v_add_co_ci_u32_e64 v5, null, 0, v33, vcc_lo
	v_add_co_u32 v8, vcc_lo, v48, 2
	v_add_co_ci_u32_e64 v9, null, 0, v49, vcc_lo
	v_cmpx_lt_u64_e64 v[4:5], v[8:9]
	s_cbranch_execz .LBB4_10161
; %bb.10150:                            ;   in Loop: Header=BB4_10148 Depth=2
	v_and_b32_e32 v4, 64, v84
	s_mov_b32 s23, 0
	s_mov_b32 s72, 0
                                        ; implicit-def: $sgpr61
                                        ; implicit-def: $sgpr62
                                        ; implicit-def: $sgpr63
	v_cmp_eq_u32_e32 vcc_lo, 0, v4
	s_branch .LBB4_10154
.LBB4_10151:                            ;   in Loop: Header=BB4_10154 Depth=3
	s_waitcnt vmcnt(0) lgkmcnt(0)
	v_add_co_u32 v10, s16, v32, v1
	v_add_co_ci_u32_e64 v11, null, 0, v33, s16
	s_or_b32 s75, s75, exec_lo
	v_cmp_ge_u64_e64 s16, v[10:11], v[8:9]
	s_orn2_b32 s74, s16, exec_lo
.LBB4_10152:                            ;   in Loop: Header=BB4_10154 Depth=3
	s_or_b32 exec_lo, exec_lo, s77
	s_andn2_b32 s16, s63, exec_lo
	s_and_b32 s63, s75, exec_lo
	s_andn2_b32 s62, s62, exec_lo
	s_and_b32 s74, s74, exec_lo
	s_or_b32 s63, s16, s63
	s_or_b32 s62, s62, s74
.LBB4_10153:                            ;   in Loop: Header=BB4_10154 Depth=3
	s_or_b32 exec_lo, exec_lo, s73
	s_and_b32 s16, exec_lo, s62
	s_or_b32 s23, s16, s23
	s_andn2_b32 s16, s61, exec_lo
	s_and_b32 s61, s63, exec_lo
	s_or_b32 s61, s16, s61
	s_andn2_b32 exec_lo, exec_lo, s23
	s_cbranch_execz .LBB4_10158
.LBB4_10154:                            ;   Parent Loop BB4_47 Depth=1
                                        ;     Parent Loop BB4_10148 Depth=2
                                        ; =>    This Inner Loop Header: Depth=3
	s_sleep 1
	s_waitcnt vmcnt(0) lgkmcnt(0)
	flat_load_dwordx2 v[32:33], v[22:23] glc dlc
	s_or_b32 s63, s63, exec_lo
	s_or_b32 s62, s62, exec_lo
                                        ; implicit-def: $vgpr4
	s_and_saveexec_b32 s73, vcc_lo
	s_cbranch_execz .LBB4_10153
; %bb.10155:                            ;   in Loop: Header=BB4_10154 Depth=3
	s_cmpk_lt_i32 s72, 0x270f
	s_mov_b32 s74, -1
	s_cselect_b32 s76, -1, 0
	s_cmpk_gt_i32 s72, 0x270e
	s_cbranch_scc0 .LBB4_10157
; %bb.10156:                            ;   in Loop: Header=BB4_10154 Depth=3
	s_trap 2
	ds_read_b64 v[4:5], v0
	s_andn2_b32 s72, s76, exec_lo
	s_mov_b32 s75, 0
	s_waitcnt vmcnt(0) lgkmcnt(0)
	s_waitcnt_vscnt null, 0x0
	flat_load_dword v4, v[4:5] glc dlc
	s_waitcnt vmcnt(0) lgkmcnt(0)
	buffer_gl1_inv
	buffer_gl0_inv
	v_cmp_eq_u32_e64 s16, 0, v4
	s_and_b32 s16, s16, exec_lo
	s_or_b32 s76, s72, s16
	s_mov_b32 s72, 0
	s_and_saveexec_b32 s77, s76
	s_cbranch_execz .LBB4_10152
	s_branch .LBB4_10151
.LBB4_10157:                            ;   in Loop: Header=BB4_10154 Depth=3
	s_add_i32 s72, s72, 1
	s_mov_b32 s75, -1
                                        ; implicit-def: $vgpr4
	s_and_saveexec_b32 s77, s76
	s_cbranch_execz .LBB4_10152
	s_branch .LBB4_10151
.LBB4_10158:                            ;   in Loop: Header=BB4_10148 Depth=2
	s_or_b32 exec_lo, exec_lo, s23
	s_xor_b32 s16, s61, -1
	s_and_saveexec_b32 s23, s16
	s_xor_b32 s16, exec_lo, s23
	s_cbranch_execz .LBB4_10160
; %bb.10159:                            ;   in Loop: Header=BB4_10148 Depth=2
	v_or_b32_e32 v84, 64, v84
	s_waitcnt vmcnt(0) lgkmcnt(0)
	s_waitcnt_vscnt null, 0x0
	ds_write_b32 v0, v4
	s_trap 2
.LBB4_10160:                            ;   in Loop: Header=BB4_10148 Depth=2
	s_or_b32 exec_lo, exec_lo, s16
.LBB4_10161:                            ;   in Loop: Header=BB4_10148 Depth=2
	s_or_b32 exec_lo, exec_lo, s22
	v_and_b32_e32 v4, 0x108, v84
	s_mov_b32 s16, exec_lo
	;;#ASMSTART
	s_wakeup
	;;#ASMEND
                                        ; implicit-def: $vgpr10_vgpr11
	v_cmpx_ne_u32_e32 0x108, v4
	s_xor_b32 s16, exec_lo, s16
; %bb.10162:                            ;   in Loop: Header=BB4_10148 Depth=2
	v_and_b32_e32 v10, 7, v48
	v_mov_b32_e32 v11, v2
                                        ; implicit-def: $vgpr48_vgpr49
; %bb.10163:                            ;   in Loop: Header=BB4_10148 Depth=2
	s_andn2_saveexec_b32 s16, s16
	s_cbranch_execz .LBB4_10165
; %bb.10164:                            ;   in Loop: Header=BB4_10148 Depth=2
	v_and_b32_e32 v10, 7, v48
	v_ashrrev_i32_e32 v53, 31, v52
	v_mov_b32_e32 v11, v2
	v_mad_u64_u32 v[4:5], null, v10, 24, v[6:7]
	flat_store_dwordx2 v[4:5], v[52:53] offset:8
.LBB4_10165:                            ;   in Loop: Header=BB4_10148 Depth=2
	s_or_b32 exec_lo, exec_lo, s16
	v_and_b32_e32 v4, 0x100, v84
	s_mov_b32 s16, -1
	s_mov_b32 s22, exec_lo
                                        ; implicit-def: $vgpr12_vgpr13
	v_cmpx_ne_u32_e32 0, v4
	s_cbranch_execz .LBB4_10169
; %bb.10166:                            ;   in Loop: Header=BB4_10148 Depth=2
	v_mad_u64_u32 v[14:15], null, v10, 24, v[6:7]
	s_mov_b32 s23, exec_lo
                                        ; implicit-def: $vgpr12_vgpr13
	v_mov_b32_e32 v4, v15
	v_mad_u64_u32 v[4:5], null, v11, 24, v[4:5]
	v_mov_b32_e32 v15, v4
	flat_load_dword v4, v[14:15]
	s_waitcnt vmcnt(0) lgkmcnt(0)
	v_cmp_ne_u32_e32 vcc_lo, 1, v4
	v_cmpx_eq_u32_e32 1, v4
	s_cbranch_execz .LBB4_10168
; %bb.10167:                            ;   in Loop: Header=BB4_10148 Depth=2
	flat_load_dword v12, v[14:15] offset:4 glc dlc
	s_waitcnt vmcnt(0) lgkmcnt(0)
	v_ashrrev_i32_e32 v13, 31, v12
.LBB4_10168:                            ;   in Loop: Header=BB4_10148 Depth=2
	s_or_b32 exec_lo, exec_lo, s23
	s_orn2_b32 s16, vcc_lo, exec_lo
.LBB4_10169:                            ;   in Loop: Header=BB4_10148 Depth=2
	s_or_b32 exec_lo, exec_lo, s22
	s_and_saveexec_b32 s22, s16
; %bb.10170:                            ;   in Loop: Header=BB4_10148 Depth=2
	v_mul_lo_u32 v4, v11, v85
	v_mul_lo_u32 v5, v10, v86
	v_mad_u64_u32 v[12:13], null, v10, v85, 0
	v_add3_u32 v13, v13, v5, v4
; %bb.10171:                            ;   in Loop: Header=BB4_10148 Depth=2
	s_or_b32 exec_lo, exec_lo, s22
	v_cmp_eq_u32_e32 vcc_lo, 0, v1
	v_and_b32_e32 v10, 0x2000, v84
	s_mov_b32 s16, exec_lo
	v_cndmask_b32_e32 v1, 0xd0, v113, vcc_lo
	v_add_co_u32 v4, vcc_lo, v24, v12
	v_add_co_ci_u32_e64 v5, null, v25, v13, vcc_lo
	v_add_nc_u32_e32 v1, v0, v1
	ds_write_b64 v1, v[4:5] offset:584
	v_cmpx_ne_u32_e32 0, v10
	s_cbranch_execz .LBB4_10173
; %bb.10172:                            ;   in Loop: Header=BB4_10148 Depth=2
	ds_read_b64 v[4:5], v0 offset:872
	s_waitcnt lgkmcnt(0)
	v_add_co_u32 v4, vcc_lo, v4, 1
	v_add_co_ci_u32_e64 v5, null, 0, v5, vcc_lo
	ds_write_b64 v0, v[4:5] offset:872
.LBB4_10173:                            ;   in Loop: Header=BB4_10148 Depth=2
	s_or_b32 exec_lo, exec_lo, s16
	v_mov_b32_e32 v49, v9
	v_mov_b32_e32 v48, v8
.LBB4_10174:                            ;   in Loop: Header=BB4_10148 Depth=2
	s_or_b32 exec_lo, exec_lo, s21
	s_xor_b32 s16, s19, -1
	s_and_b32 s16, exec_lo, s16
	s_or_b32 s18, s16, s18
	s_and_saveexec_b32 s16, s6
	s_cbranch_execz .LBB4_10193
; %bb.10175:                            ;   in Loop: Header=BB4_10148 Depth=2
	s_and_saveexec_b32 s19, s29
	s_xor_b32 s19, exec_lo, s19
	s_cbranch_execz .LBB4_10190
; %bb.10176:                            ;   in Loop: Header=BB4_10148 Depth=2
	s_and_saveexec_b32 s21, s11
	s_cbranch_execz .LBB4_10189
; %bb.10177:                            ;   in Loop: Header=BB4_10148 Depth=2
	s_mov_b32 s23, exec_lo
	s_mov_b32 s22, exec_lo
	v_mbcnt_lo_u32_b32 v1, s23, 0
	s_waitcnt vmcnt(0) lgkmcnt(0)
	s_waitcnt_vscnt null, 0x0
	buffer_gl1_inv
	buffer_gl0_inv
	v_cmpx_eq_u32_e32 0, v1
	s_cbranch_execz .LBB4_10179
; %bb.10178:                            ;   in Loop: Header=BB4_10148 Depth=2
	s_bcnt1_i32_b32 s23, s23
	v_mov_b32_e32 v5, v2
	v_mov_b32_e32 v4, s23
	ds_add_u64 v0, v[4:5]
	s_trap 2
.LBB4_10179:                            ;   in Loop: Header=BB4_10148 Depth=2
	s_or_b32 exec_lo, exec_lo, s22
	s_trap 2
	ds_read_b64 v[4:5], v0
	s_waitcnt lgkmcnt(0)
	buffer_gl0_inv
	v_add_co_u32 v28, vcc_lo, v28, v87
	v_add_co_ci_u32_e64 v29, null, 0, v29, vcc_lo
	s_mov_b32 s22, exec_lo
	v_cmpx_lt_u64_e64 v[4:5], v[28:29]
	s_cbranch_execz .LBB4_10188
; %bb.10180:                            ;   in Loop: Header=BB4_10148 Depth=2
	s_mov_b32 s23, 0
	s_mov_b32 s63, 0
                                        ; implicit-def: $sgpr61
                                        ; implicit-def: $sgpr62
	s_inst_prefetch 0x1
	s_branch .LBB4_10182
	.p2align	6
.LBB4_10181:                            ;   in Loop: Header=BB4_10182 Depth=3
	s_or_b32 exec_lo, exec_lo, s73
	s_and_b32 s72, exec_lo, s74
	s_or_b32 s23, s72, s23
	s_andn2_b32 s61, s61, exec_lo
	s_and_b32 s72, s62, exec_lo
	s_or_b32 s61, s61, s72
	s_andn2_b32 exec_lo, exec_lo, s23
	s_cbranch_execz .LBB4_10186
.LBB4_10182:                            ;   Parent Loop BB4_47 Depth=1
                                        ;     Parent Loop BB4_10148 Depth=2
                                        ; =>    This Inner Loop Header: Depth=3
	s_add_i32 s63, s63, 1
	s_cmpk_lg_i32 s63, 0x2710
	s_cselect_b32 s72, -1, 0
	s_and_b32 vcc_lo, exec_lo, s72
	s_cbranch_vccz .LBB4_10184
; %bb.10183:                            ;   in Loop: Header=BB4_10182 Depth=3
	s_mov_b32 s74, -1
	s_or_b32 s62, s62, exec_lo
	s_and_saveexec_b32 s73, s72
	s_cbranch_execz .LBB4_10181
	s_branch .LBB4_10185
	.p2align	6
.LBB4_10184:                            ;   in Loop: Header=BB4_10182 Depth=3
	s_trap 2
	ds_read_b64 v[4:5], v0
	s_andn2_b32 s72, s72, exec_lo
	s_mov_b32 s63, 0
	s_waitcnt lgkmcnt(0)
	flat_load_dword v1, v[4:5] glc dlc
	s_waitcnt vmcnt(0) lgkmcnt(0)
	buffer_gl1_inv
	buffer_gl0_inv
	v_cmp_eq_u32_e32 vcc_lo, 0, v1
	s_and_b32 s73, vcc_lo, exec_lo
	s_or_b32 s72, s72, s73
	s_mov_b32 s74, -1
	s_or_b32 s62, s62, exec_lo
	s_and_saveexec_b32 s73, s72
	s_cbranch_execz .LBB4_10181
.LBB4_10185:                            ;   in Loop: Header=BB4_10182 Depth=3
	s_sleep 1
	s_trap 2
	ds_read_b64 v[4:5], v0
	s_waitcnt lgkmcnt(0)
	buffer_gl0_inv
	s_andn2_b32 s62, s62, exec_lo
	v_cmp_ge_u64_e32 vcc_lo, v[4:5], v[28:29]
	s_orn2_b32 s74, vcc_lo, exec_lo
	s_branch .LBB4_10181
.LBB4_10186:                            ;   in Loop: Header=BB4_10148 Depth=2
	s_inst_prefetch 0x2
	s_or_b32 exec_lo, exec_lo, s23
	s_and_saveexec_b32 s23, s61
	s_xor_b32 s23, exec_lo, s23
	s_cbranch_execz .LBB4_10188
; %bb.10187:                            ;   in Loop: Header=BB4_10148 Depth=2
	ds_write_b32 v0, v99
	s_trap 2
.LBB4_10188:                            ;   in Loop: Header=BB4_10148 Depth=2
	s_or_b32 exec_lo, exec_lo, s22
	;;#ASMSTART
	s_wakeup
	;;#ASMEND
.LBB4_10189:                            ;   in Loop: Header=BB4_10148 Depth=2
	s_or_b32 exec_lo, exec_lo, s21
.LBB4_10190:                            ;   in Loop: Header=BB4_10148 Depth=2
	s_andn2_saveexec_b32 s19, s19
	s_cbranch_execz .LBB4_10192
; %bb.10191:                            ;   in Loop: Header=BB4_10148 Depth=2
	s_waitcnt vmcnt(0) lgkmcnt(0)
	s_waitcnt_vscnt null, 0x0
	buffer_gl1_inv
	buffer_gl0_inv
	s_barrier
.LBB4_10192:                            ;   in Loop: Header=BB4_10148 Depth=2
	s_or_b32 exec_lo, exec_lo, s19
.LBB4_10193:                            ;   in Loop: Header=BB4_10148 Depth=2
	s_or_b32 exec_lo, exec_lo, s16
                                        ; implicit-def: $vgpr1
	s_and_saveexec_b32 s16, s15
	s_xor_b32 s19, exec_lo, s16
	s_cbranch_execz .LBB4_10197
; %bb.10194:                            ;   in Loop: Header=BB4_10148 Depth=2
	s_trap 2
	ds_read_b32 v1, v0
	v_cmp_lt_i32_e32 vcc_lo, 0, v52
	s_waitcnt lgkmcnt(0)
	v_readfirstlane_b32 s16, v1
	v_and_b32_e32 v1, 16, v84
	s_cmp_eq_u32 s16, 0
	v_cmp_ne_u32_e64 s16, 0, v1
	s_cselect_b32 s21, -1, 0
	v_and_b32_e32 v1, 16, v84
	s_and_b32 s21, vcc_lo, s21
	s_and_b32 s21, s16, s21
	s_and_saveexec_b32 s16, s21
	s_cbranch_execz .LBB4_10196
; %bb.10195:                            ;   in Loop: Header=BB4_10148 Depth=2
	v_mov_b32_e32 v1, 1
	s_waitcnt vmcnt(0)
	s_waitcnt_vscnt null, 0x0
	buffer_gl1_inv
	buffer_gl0_inv
.LBB4_10196:                            ;   in Loop: Header=BB4_10148 Depth=2
	s_or_b32 exec_lo, exec_lo, s16
	s_andn2_saveexec_b32 s16, s19
	s_cbranch_execz .LBB4_10216
	s_branch .LBB4_10198
.LBB4_10197:                            ;   in Loop: Header=BB4_10148 Depth=2
	s_andn2_saveexec_b32 s16, s19
	s_cbranch_execz .LBB4_10216
.LBB4_10198:                            ;   in Loop: Header=BB4_10148 Depth=2
	s_and_saveexec_b32 s19, s29
	s_xor_b32 s19, exec_lo, s19
	s_cbranch_execz .LBB4_10213
; %bb.10199:                            ;   in Loop: Header=BB4_10148 Depth=2
	s_and_saveexec_b32 s21, s11
	s_cbranch_execz .LBB4_10212
; %bb.10200:                            ;   in Loop: Header=BB4_10148 Depth=2
	s_mov_b32 s23, exec_lo
	s_mov_b32 s22, exec_lo
	v_mbcnt_lo_u32_b32 v1, s23, 0
	;;#ASMSTART
	s_waitcnt lgkmcnt(0) vmcnt(0)
	;;#ASMEND
	v_cmpx_eq_u32_e32 0, v1
	s_cbranch_execz .LBB4_10202
; %bb.10201:                            ;   in Loop: Header=BB4_10148 Depth=2
	s_bcnt1_i32_b32 s23, s23
	v_mov_b32_e32 v5, v2
	v_mov_b32_e32 v4, s23
	s_waitcnt vmcnt(0) lgkmcnt(0)
	s_waitcnt_vscnt null, 0x0
	ds_add_u64 v0, v[4:5]
	s_trap 2
.LBB4_10202:                            ;   in Loop: Header=BB4_10148 Depth=2
	s_or_b32 exec_lo, exec_lo, s22
	s_trap 2
	ds_read_b64 v[4:5], v0
	s_waitcnt vmcnt(0) lgkmcnt(0)
	buffer_gl0_inv
	v_add_co_u32 v28, vcc_lo, v28, v87
	v_add_co_ci_u32_e64 v29, null, 0, v29, vcc_lo
	s_mov_b32 s22, exec_lo
	v_cmpx_lt_u64_e64 v[4:5], v[28:29]
	s_cbranch_execz .LBB4_10211
; %bb.10203:                            ;   in Loop: Header=BB4_10148 Depth=2
	s_mov_b32 s23, 0
	s_mov_b32 s63, 0
                                        ; implicit-def: $sgpr61
                                        ; implicit-def: $sgpr62
	s_inst_prefetch 0x1
	s_branch .LBB4_10205
	.p2align	6
.LBB4_10204:                            ;   in Loop: Header=BB4_10205 Depth=3
	s_or_b32 exec_lo, exec_lo, s73
	s_and_b32 s72, exec_lo, s74
	s_or_b32 s23, s72, s23
	s_andn2_b32 s61, s61, exec_lo
	s_and_b32 s72, s62, exec_lo
	s_or_b32 s61, s61, s72
	s_andn2_b32 exec_lo, exec_lo, s23
	s_cbranch_execz .LBB4_10209
.LBB4_10205:                            ;   Parent Loop BB4_47 Depth=1
                                        ;     Parent Loop BB4_10148 Depth=2
                                        ; =>    This Inner Loop Header: Depth=3
	s_add_i32 s63, s63, 1
	s_cmpk_lg_i32 s63, 0x2710
	s_cselect_b32 s72, -1, 0
	s_and_b32 vcc_lo, exec_lo, s72
	s_cbranch_vccz .LBB4_10207
; %bb.10206:                            ;   in Loop: Header=BB4_10205 Depth=3
	s_mov_b32 s74, -1
	s_or_b32 s62, s62, exec_lo
	s_and_saveexec_b32 s73, s72
	s_cbranch_execz .LBB4_10204
	s_branch .LBB4_10208
	.p2align	6
.LBB4_10207:                            ;   in Loop: Header=BB4_10205 Depth=3
	s_trap 2
	ds_read_b64 v[4:5], v0
	s_andn2_b32 s72, s72, exec_lo
	s_mov_b32 s63, 0
	s_waitcnt lgkmcnt(0)
	s_waitcnt_vscnt null, 0x0
	flat_load_dword v1, v[4:5] glc dlc
	s_waitcnt vmcnt(0) lgkmcnt(0)
	buffer_gl1_inv
	buffer_gl0_inv
	v_cmp_eq_u32_e32 vcc_lo, 0, v1
	s_and_b32 s73, vcc_lo, exec_lo
	s_or_b32 s72, s72, s73
	s_mov_b32 s74, -1
	s_or_b32 s62, s62, exec_lo
	s_and_saveexec_b32 s73, s72
	s_cbranch_execz .LBB4_10204
.LBB4_10208:                            ;   in Loop: Header=BB4_10205 Depth=3
	s_sleep 1
	s_trap 2
	ds_read_b64 v[4:5], v0
	s_waitcnt lgkmcnt(0)
	buffer_gl0_inv
	s_andn2_b32 s62, s62, exec_lo
	v_cmp_ge_u64_e32 vcc_lo, v[4:5], v[28:29]
	s_orn2_b32 s74, vcc_lo, exec_lo
	s_branch .LBB4_10204
.LBB4_10209:                            ;   in Loop: Header=BB4_10148 Depth=2
	s_inst_prefetch 0x2
	s_or_b32 exec_lo, exec_lo, s23
	s_and_saveexec_b32 s23, s61
	s_xor_b32 s23, exec_lo, s23
	s_cbranch_execz .LBB4_10211
; %bb.10210:                            ;   in Loop: Header=BB4_10148 Depth=2
	ds_write_b32 v0, v99
	s_trap 2
.LBB4_10211:                            ;   in Loop: Header=BB4_10148 Depth=2
	s_or_b32 exec_lo, exec_lo, s22
	;;#ASMSTART
	s_wakeup
	;;#ASMEND
.LBB4_10212:                            ;   in Loop: Header=BB4_10148 Depth=2
	s_or_b32 exec_lo, exec_lo, s21
.LBB4_10213:                            ;   in Loop: Header=BB4_10148 Depth=2
	s_andn2_saveexec_b32 s19, s19
	s_cbranch_execz .LBB4_10215
; %bb.10214:                            ;   in Loop: Header=BB4_10148 Depth=2
	;;#ASMSTART
	s_waitcnt lgkmcnt(0) vmcnt(0)
	;;#ASMEND
	s_barrier
.LBB4_10215:                            ;   in Loop: Header=BB4_10148 Depth=2
	s_or_b32 exec_lo, exec_lo, s19
	v_and_b32_e32 v1, 16, v84
.LBB4_10216:                            ;   in Loop: Header=BB4_10148 Depth=2
	s_or_b32 exec_lo, exec_lo, s16
	v_cmp_ne_u32_e32 vcc_lo, 0, v1
	s_xor_b32 s16, s7, -1
	s_and_b32 s19, vcc_lo, s16
	s_and_saveexec_b32 s16, s19
	s_cbranch_execz .LBB4_10218
; %bb.10217:                            ;   in Loop: Header=BB4_10148 Depth=2
	s_waitcnt vmcnt(0) lgkmcnt(0)
	s_waitcnt_vscnt null, 0x0
	flat_store_dword v[26:27], v99
.LBB4_10218:                            ;   in Loop: Header=BB4_10148 Depth=2
	s_or_b32 exec_lo, exec_lo, s16
	v_and_b32_e32 v1, 48, v84
	s_mov_b32 s16, exec_lo
	v_cmpx_ne_u32_e32 0, v1
	s_cbranch_execz .LBB4_10147
; %bb.10219:                            ;   in Loop: Header=BB4_10148 Depth=2
	v_add_co_u32 v48, vcc_lo, v48, 2
	v_add_co_ci_u32_e64 v49, null, 0, v49, vcc_lo
	s_waitcnt vmcnt(0) lgkmcnt(0)
	s_waitcnt_vscnt null, 0x0
	flat_store_dwordx2 v[22:23], v[48:49]
	s_branch .LBB4_10147
.LBB4_10220:                            ;   in Loop: Header=BB4_47 Depth=1
	s_or_b32 exec_lo, exec_lo, s18
.LBB4_10221:                            ;   in Loop: Header=BB4_47 Depth=1
	s_or_b32 exec_lo, exec_lo, s17
	v_mov_b32_e32 v50, 0x88
	s_andn2_b32 vcc_lo, exec_lo, s46
	s_cbranch_vccnz .LBB4_10478
; %bb.10222:                            ;   in Loop: Header=BB4_47 Depth=1
	s_mov_b32 s21, 1
.LBB4_10223:                            ;   Parent Loop BB4_47 Depth=1
                                        ; =>  This Loop Header: Depth=2
                                        ;       Child Loop BB4_10226 Depth 3
                                        ;         Child Loop BB4_10234 Depth 4
                                        ;         Child Loop BB4_10262 Depth 4
	;; [unrolled: 1-line block ×5, first 2 shown]
                                        ;           Child Loop BB4_10314 Depth 5
                                        ;         Child Loop BB4_10321 Depth 4
                                        ;         Child Loop BB4_10326 Depth 4
                                        ;           Child Loop BB4_10327 Depth 5
                                        ;         Child Loop BB4_10339 Depth 4
                                        ;         Child Loop BB4_10344 Depth 4
	;; [unrolled: 1-line block ×6, first 2 shown]
                                        ;       Child Loop BB4_10403 Depth 3
                                        ;         Child Loop BB4_10409 Depth 4
                                        ;         Child Loop BB4_10437 Depth 4
	;; [unrolled: 1-line block ×3, first 2 shown]
	s_sub_i32 s16, s42, s21
	s_mov_b32 s62, 0
	s_cmp_ge_i32 s16, s25
	s_cselect_b32 s17, s25, 0
	s_sub_i32 s16, s16, s17
	s_ashr_i32 s17, s16, 31
	v_mul_lo_u32 v1, v39, s16
	v_mad_u64_u32 v[8:9], null, v38, s16, 0
	v_mul_lo_u32 v3, v38, s17
	v_add3_u32 v9, v9, v3, v1
	s_clause 0x1
	buffer_load_dword v3, off, s[0:3], s33 offset:188
	buffer_load_dword v4, off, s[0:3], s33 offset:192
	s_waitcnt vmcnt(1)
	v_sub_co_u32 v3, vcc_lo, v3, v8
	s_waitcnt vmcnt(0)
	v_sub_co_ci_u32_e64 v4, null, v4, v9, vcc_lo
	v_cmp_lt_i64_e32 vcc_lo, v[38:39], v[3:4]
	v_cndmask_b32_e32 v4, v3, v38, vcc_lo
	v_max_i32_e32 v3, 0, v4
	v_cmp_lt_i32_e32 vcc_lo, 0, v4
	v_mov_b32_e32 v4, 0
	v_add_nc_u32_e32 v1, 31, v3
	s_and_b32 s16, s57, vcc_lo
	v_lshrrev_b32_e32 v1, 1, v1
	v_and_b32_e32 v5, 0x3ffffff0, v1
	v_mov_b32_e32 v1, 0
	v_max_i32_e32 v12, s45, v5
	s_and_saveexec_b32 s61, s16
	s_cbranch_execz .LBB4_10400
; %bb.10224:                            ;   in Loop: Header=BB4_10223 Depth=2
	v_add_co_u32 v5, vcc_lo, v8, v57
	v_add_co_ci_u32_e64 v15, null, v9, v58, vcc_lo
	v_mov_b32_e32 v4, 0
	s_mov_b32 s72, 1
	s_mov_b32 s63, -1
	s_branch .LBB4_10226
.LBB4_10225:                            ;   in Loop: Header=BB4_10226 Depth=3
	s_or_b32 exec_lo, exec_lo, s16
	v_add_nc_u32_e32 v4, v12, v4
	s_xor_b32 s16, s63, -1
	v_mov_b32_e32 v1, s72
	s_mov_b32 s63, 0
	s_mov_b32 s72, 2
	v_cmp_ge_i32_e32 vcc_lo, v4, v3
	s_or_b32 s16, s16, vcc_lo
	s_and_b32 s16, exec_lo, s16
	s_or_b32 s62, s16, s62
	s_andn2_b32 exec_lo, exec_lo, s62
	s_cbranch_execz .LBB4_10399
.LBB4_10226:                            ;   Parent Loop BB4_47 Depth=1
                                        ;     Parent Loop BB4_10223 Depth=2
                                        ; =>    This Loop Header: Depth=3
                                        ;         Child Loop BB4_10234 Depth 4
                                        ;         Child Loop BB4_10262 Depth 4
                                        ;         Child Loop BB4_10281 Depth 4
                                        ;         Child Loop BB4_10308 Depth 4
                                        ;         Child Loop BB4_10313 Depth 4
                                        ;           Child Loop BB4_10314 Depth 5
                                        ;         Child Loop BB4_10321 Depth 4
                                        ;         Child Loop BB4_10326 Depth 4
                                        ;           Child Loop BB4_10327 Depth 5
                                        ;         Child Loop BB4_10339 Depth 4
                                        ;         Child Loop BB4_10344 Depth 4
                                        ;         Child Loop BB4_10350 Depth 4
                                        ;         Child Loop BB4_10355 Depth 4
                                        ;         Child Loop BB4_10365 Depth 4
                                        ;         Child Loop BB4_10384 Depth 4
	s_and_saveexec_b32 s17, s4
	s_cbranch_execz .LBB4_10228
; %bb.10227:                            ;   in Loop: Header=BB4_10226 Depth=3
	s_trap 2
	ds_read_b128 v[8:11], v0
	v_ashrrev_i32_e32 v1, 31, v4
	s_waitcnt lgkmcnt(0)
	v_add_co_u32 v13, vcc_lo, v10, v5
	v_add_co_ci_u32_e64 v14, null, v11, v15, vcc_lo
	v_add_co_u32 v8, vcc_lo, v8, v5
	v_add_co_ci_u32_e64 v9, null, v9, v15, vcc_lo
	;; [unrolled: 2-line block ×3, first 2 shown]
	v_cmp_ne_u64_e32 vcc_lo, 0, v[10:11]
	v_add_co_u32 v8, s16, v8, v4
	v_add_co_ci_u32_e64 v9, null, v9, v1, s16
	v_cndmask_b32_e32 v11, 0, v14, vcc_lo
	v_cndmask_b32_e32 v10, 0, v13, vcc_lo
	ds_write_b64 v0, v[8:9]
	ds_write_b64 v0, v[10:11]
.LBB4_10228:                            ;   in Loop: Header=BB4_10226 Depth=3
	s_or_b32 exec_lo, exec_lo, s17
	v_sub_nc_u32_e32 v1, v3, v4
	v_and_b32_e32 v8, 12, v84
	s_mov_b32 s17, exec_lo
	v_min_i32_e32 v12, v12, v1
	v_cmpx_ne_u32_e32 0, v8
	s_cbranch_execz .LBB4_10254
; %bb.10229:                            ;   in Loop: Header=BB4_10226 Depth=3
	v_and_b32_e32 v1, 8, v84
	s_mov_b32 s18, exec_lo
	s_waitcnt vmcnt(0) lgkmcnt(1)
	v_add_co_u32 v10, vcc_lo, v32, v1
	v_add_co_ci_u32_e64 v11, null, 0, v33, vcc_lo
	v_add_co_u32 v8, vcc_lo, v48, 2
	v_add_co_ci_u32_e64 v9, null, 0, v49, vcc_lo
	v_cmpx_lt_u64_e64 v[10:11], v[8:9]
	s_cbranch_execz .LBB4_10241
; %bb.10230:                            ;   in Loop: Header=BB4_10226 Depth=3
	v_and_b32_e32 v10, 64, v84
	s_mov_b32 s19, 0
	s_mov_b32 s74, 0
                                        ; implicit-def: $sgpr22
                                        ; implicit-def: $sgpr23
                                        ; implicit-def: $sgpr73
	v_cmp_eq_u32_e32 vcc_lo, 0, v10
	s_branch .LBB4_10234
.LBB4_10231:                            ;   in Loop: Header=BB4_10234 Depth=4
	s_waitcnt vmcnt(0) lgkmcnt(0)
	v_add_co_u32 v13, s16, v32, v1
	v_add_co_ci_u32_e64 v14, null, 0, v33, s16
	s_or_b32 s77, s77, exec_lo
	v_cmp_ge_u64_e64 s16, v[13:14], v[8:9]
	s_orn2_b32 s76, s16, exec_lo
.LBB4_10232:                            ;   in Loop: Header=BB4_10234 Depth=4
	s_or_b32 exec_lo, exec_lo, s79
	s_andn2_b32 s16, s73, exec_lo
	s_and_b32 s73, s77, exec_lo
	s_andn2_b32 s23, s23, exec_lo
	s_and_b32 s76, s76, exec_lo
	s_or_b32 s73, s16, s73
	s_or_b32 s23, s23, s76
.LBB4_10233:                            ;   in Loop: Header=BB4_10234 Depth=4
	s_or_b32 exec_lo, exec_lo, s75
	s_and_b32 s16, exec_lo, s23
	s_or_b32 s19, s16, s19
	s_andn2_b32 s16, s22, exec_lo
	s_and_b32 s22, s73, exec_lo
	s_or_b32 s22, s16, s22
	s_andn2_b32 exec_lo, exec_lo, s19
	s_cbranch_execz .LBB4_10238
.LBB4_10234:                            ;   Parent Loop BB4_47 Depth=1
                                        ;     Parent Loop BB4_10223 Depth=2
                                        ;       Parent Loop BB4_10226 Depth=3
                                        ; =>      This Inner Loop Header: Depth=4
	s_sleep 1
	s_waitcnt vmcnt(0) lgkmcnt(0)
	flat_load_dwordx2 v[32:33], v[22:23] glc dlc
	s_or_b32 s73, s73, exec_lo
	s_or_b32 s23, s23, exec_lo
                                        ; implicit-def: $vgpr10
	s_and_saveexec_b32 s75, vcc_lo
	s_cbranch_execz .LBB4_10233
; %bb.10235:                            ;   in Loop: Header=BB4_10234 Depth=4
	s_cmpk_lt_i32 s74, 0x270f
	s_mov_b32 s76, -1
	s_cselect_b32 s78, -1, 0
	s_cmpk_gt_i32 s74, 0x270e
	s_cbranch_scc0 .LBB4_10237
; %bb.10236:                            ;   in Loop: Header=BB4_10234 Depth=4
	s_trap 2
	ds_read_b64 v[10:11], v0
	s_andn2_b32 s74, s78, exec_lo
	s_mov_b32 s77, 0
	s_waitcnt vmcnt(0) lgkmcnt(0)
	s_waitcnt_vscnt null, 0x0
	flat_load_dword v10, v[10:11] glc dlc
	s_waitcnt vmcnt(0) lgkmcnt(0)
	buffer_gl1_inv
	buffer_gl0_inv
	v_cmp_eq_u32_e64 s16, 0, v10
	s_and_b32 s16, s16, exec_lo
	s_or_b32 s78, s74, s16
	s_mov_b32 s74, 0
	s_and_saveexec_b32 s79, s78
	s_cbranch_execz .LBB4_10232
	s_branch .LBB4_10231
.LBB4_10237:                            ;   in Loop: Header=BB4_10234 Depth=4
	s_add_i32 s74, s74, 1
	s_mov_b32 s77, -1
                                        ; implicit-def: $vgpr10
	s_and_saveexec_b32 s79, s78
	s_cbranch_execz .LBB4_10232
	s_branch .LBB4_10231
.LBB4_10238:                            ;   in Loop: Header=BB4_10226 Depth=3
	s_or_b32 exec_lo, exec_lo, s19
	s_xor_b32 s16, s22, -1
	s_and_saveexec_b32 s19, s16
	s_xor_b32 s16, exec_lo, s19
	s_cbranch_execz .LBB4_10240
; %bb.10239:                            ;   in Loop: Header=BB4_10226 Depth=3
	v_or_b32_e32 v84, 64, v84
	s_waitcnt vmcnt(0) lgkmcnt(0)
	s_waitcnt_vscnt null, 0x0
	ds_write_b32 v0, v10
	s_trap 2
.LBB4_10240:                            ;   in Loop: Header=BB4_10226 Depth=3
	s_or_b32 exec_lo, exec_lo, s16
.LBB4_10241:                            ;   in Loop: Header=BB4_10226 Depth=3
	s_or_b32 exec_lo, exec_lo, s18
	v_and_b32_e32 v10, 0x108, v84
	;;#ASMSTART
	s_wakeup
	;;#ASMEND
	v_cmp_ne_u32_e32 vcc_lo, 0x108, v10
                                        ; implicit-def: $vgpr10_vgpr11
	s_and_saveexec_b32 s16, vcc_lo
	s_xor_b32 s16, exec_lo, s16
; %bb.10242:                            ;   in Loop: Header=BB4_10226 Depth=3
	v_and_b32_e32 v10, 7, v48
	v_mov_b32_e32 v11, v2
                                        ; implicit-def: $vgpr48_vgpr49
; %bb.10243:                            ;   in Loop: Header=BB4_10226 Depth=3
	s_andn2_saveexec_b32 s16, s16
	s_cbranch_execz .LBB4_10245
; %bb.10244:                            ;   in Loop: Header=BB4_10226 Depth=3
	v_and_b32_e32 v10, 7, v48
	v_ashrrev_i32_e32 v13, 31, v12
	v_mov_b32_e32 v11, v2
	v_mad_u64_u32 v[16:17], null, v10, 24, v[6:7]
	flat_store_dwordx2 v[16:17], v[12:13] offset:8
.LBB4_10245:                            ;   in Loop: Header=BB4_10226 Depth=3
	s_or_b32 exec_lo, exec_lo, s16
	v_and_b32_e32 v13, 0x100, v84
	s_mov_b32 s16, -1
	v_cmp_ne_u32_e32 vcc_lo, 0, v13
                                        ; implicit-def: $vgpr13_vgpr14
	s_and_saveexec_b32 s18, vcc_lo
	s_cbranch_execz .LBB4_10249
; %bb.10246:                            ;   in Loop: Header=BB4_10226 Depth=3
	v_mad_u64_u32 v[48:49], null, v10, 24, v[6:7]
	v_mov_b32_e32 v13, v49
	v_mad_u64_u32 v[13:14], null, v11, 24, v[13:14]
	v_mov_b32_e32 v49, v13
	flat_load_dword v13, v[48:49]
	s_waitcnt vmcnt(0) lgkmcnt(0)
	v_cmp_eq_u32_e64 s16, 1, v13
	v_cmp_ne_u32_e32 vcc_lo, 1, v13
                                        ; implicit-def: $vgpr13_vgpr14
	s_and_saveexec_b32 s19, s16
	s_cbranch_execz .LBB4_10248
; %bb.10247:                            ;   in Loop: Header=BB4_10226 Depth=3
	flat_load_dword v13, v[48:49] offset:4 glc dlc
	s_waitcnt vmcnt(0) lgkmcnt(0)
	v_ashrrev_i32_e32 v14, 31, v13
.LBB4_10248:                            ;   in Loop: Header=BB4_10226 Depth=3
	s_or_b32 exec_lo, exec_lo, s19
	s_orn2_b32 s16, vcc_lo, exec_lo
.LBB4_10249:                            ;   in Loop: Header=BB4_10226 Depth=3
	s_or_b32 exec_lo, exec_lo, s18
	s_and_saveexec_b32 s18, s16
; %bb.10250:                            ;   in Loop: Header=BB4_10226 Depth=3
	v_mul_lo_u32 v11, v11, v85
	v_mul_lo_u32 v16, v10, v86
	v_mad_u64_u32 v[13:14], null, v10, v85, 0
	v_add3_u32 v14, v14, v16, v11
; %bb.10251:                            ;   in Loop: Header=BB4_10226 Depth=3
	s_or_b32 exec_lo, exec_lo, s18
	v_cmp_eq_u32_e32 vcc_lo, 0, v1
	v_and_b32_e32 v16, 0x2000, v84
	s_mov_b32 s16, exec_lo
	v_cndmask_b32_e32 v1, 0xd0, v50, vcc_lo
	v_add_co_u32 v10, vcc_lo, v24, v13
	v_add_co_ci_u32_e64 v11, null, v25, v14, vcc_lo
	v_add_nc_u32_e32 v1, v0, v1
	ds_write_b64 v1, v[10:11] offset:584
	v_cmpx_ne_u32_e32 0, v16
	s_cbranch_execz .LBB4_10253
; %bb.10252:                            ;   in Loop: Header=BB4_10226 Depth=3
	ds_read_b64 v[10:11], v0 offset:872
	s_waitcnt lgkmcnt(0)
	v_add_co_u32 v10, vcc_lo, v10, 1
	v_add_co_ci_u32_e64 v11, null, 0, v11, vcc_lo
	ds_write_b64 v0, v[10:11] offset:872
.LBB4_10253:                            ;   in Loop: Header=BB4_10226 Depth=3
	s_or_b32 exec_lo, exec_lo, s16
	v_mov_b32_e32 v49, v9
	v_mov_b32_e32 v48, v8
.LBB4_10254:                            ;   in Loop: Header=BB4_10226 Depth=3
	s_or_b32 exec_lo, exec_lo, s17
	s_and_saveexec_b32 s16, s6
	s_cbranch_execz .LBB4_10273
; %bb.10255:                            ;   in Loop: Header=BB4_10226 Depth=3
	s_and_saveexec_b32 s17, s29
	s_xor_b32 s17, exec_lo, s17
	s_cbranch_execz .LBB4_10270
; %bb.10256:                            ;   in Loop: Header=BB4_10226 Depth=3
	s_and_saveexec_b32 s18, s11
	s_cbranch_execz .LBB4_10269
; %bb.10257:                            ;   in Loop: Header=BB4_10226 Depth=3
	s_mov_b32 s22, exec_lo
	s_mov_b32 s19, exec_lo
	v_mbcnt_lo_u32_b32 v1, s22, 0
	s_waitcnt vmcnt(0) lgkmcnt(0)
	s_waitcnt_vscnt null, 0x0
	buffer_gl1_inv
	buffer_gl0_inv
	v_cmpx_eq_u32_e32 0, v1
	s_cbranch_execz .LBB4_10259
; %bb.10258:                            ;   in Loop: Header=BB4_10226 Depth=3
	s_bcnt1_i32_b32 s22, s22
	v_mov_b32_e32 v9, v2
	v_mov_b32_e32 v8, s22
	ds_add_u64 v0, v[8:9]
	s_trap 2
.LBB4_10259:                            ;   in Loop: Header=BB4_10226 Depth=3
	s_or_b32 exec_lo, exec_lo, s19
	s_trap 2
	ds_read_b64 v[8:9], v0
	s_waitcnt lgkmcnt(0)
	buffer_gl0_inv
	v_add_co_u32 v28, vcc_lo, v28, v87
	v_add_co_ci_u32_e64 v29, null, 0, v29, vcc_lo
	s_mov_b32 s19, exec_lo
	v_cmpx_lt_u64_e64 v[8:9], v[28:29]
	s_cbranch_execz .LBB4_10268
; %bb.10260:                            ;   in Loop: Header=BB4_10226 Depth=3
	s_mov_b32 s22, 0
	s_mov_b32 s74, 0
                                        ; implicit-def: $sgpr23
                                        ; implicit-def: $sgpr73
	s_inst_prefetch 0x1
	s_branch .LBB4_10262
	.p2align	6
.LBB4_10261:                            ;   in Loop: Header=BB4_10262 Depth=4
	s_or_b32 exec_lo, exec_lo, s76
	s_and_b32 s75, exec_lo, s77
	s_or_b32 s22, s75, s22
	s_andn2_b32 s23, s23, exec_lo
	s_and_b32 s75, s73, exec_lo
	s_or_b32 s23, s23, s75
	s_andn2_b32 exec_lo, exec_lo, s22
	s_cbranch_execz .LBB4_10266
.LBB4_10262:                            ;   Parent Loop BB4_47 Depth=1
                                        ;     Parent Loop BB4_10223 Depth=2
                                        ;       Parent Loop BB4_10226 Depth=3
                                        ; =>      This Inner Loop Header: Depth=4
	s_add_i32 s74, s74, 1
	s_cmpk_lg_i32 s74, 0x2710
	s_cselect_b32 s75, -1, 0
	s_and_b32 vcc_lo, exec_lo, s75
	s_cbranch_vccz .LBB4_10264
; %bb.10263:                            ;   in Loop: Header=BB4_10262 Depth=4
	s_mov_b32 s77, -1
	s_or_b32 s73, s73, exec_lo
	s_and_saveexec_b32 s76, s75
	s_cbranch_execz .LBB4_10261
	s_branch .LBB4_10265
	.p2align	6
.LBB4_10264:                            ;   in Loop: Header=BB4_10262 Depth=4
	s_trap 2
	ds_read_b64 v[8:9], v0
	s_andn2_b32 s75, s75, exec_lo
	s_mov_b32 s74, 0
	s_waitcnt lgkmcnt(0)
	flat_load_dword v1, v[8:9] glc dlc
	s_waitcnt vmcnt(0) lgkmcnt(0)
	buffer_gl1_inv
	buffer_gl0_inv
	v_cmp_eq_u32_e32 vcc_lo, 0, v1
	s_and_b32 s76, vcc_lo, exec_lo
	s_or_b32 s75, s75, s76
	s_mov_b32 s77, -1
	s_or_b32 s73, s73, exec_lo
	s_and_saveexec_b32 s76, s75
	s_cbranch_execz .LBB4_10261
.LBB4_10265:                            ;   in Loop: Header=BB4_10262 Depth=4
	s_sleep 1
	s_trap 2
	ds_read_b64 v[8:9], v0
	s_waitcnt lgkmcnt(0)
	buffer_gl0_inv
	s_andn2_b32 s73, s73, exec_lo
	v_cmp_ge_u64_e32 vcc_lo, v[8:9], v[28:29]
	s_orn2_b32 s77, vcc_lo, exec_lo
	s_branch .LBB4_10261
.LBB4_10266:                            ;   in Loop: Header=BB4_10226 Depth=3
	s_inst_prefetch 0x2
	s_or_b32 exec_lo, exec_lo, s22
	s_and_saveexec_b32 s22, s23
	s_xor_b32 s22, exec_lo, s22
	s_cbranch_execz .LBB4_10268
; %bb.10267:                            ;   in Loop: Header=BB4_10226 Depth=3
	ds_write_b32 v0, v99
	s_trap 2
.LBB4_10268:                            ;   in Loop: Header=BB4_10226 Depth=3
	s_or_b32 exec_lo, exec_lo, s19
	;;#ASMSTART
	s_wakeup
	;;#ASMEND
.LBB4_10269:                            ;   in Loop: Header=BB4_10226 Depth=3
	s_or_b32 exec_lo, exec_lo, s18
.LBB4_10270:                            ;   in Loop: Header=BB4_10226 Depth=3
	s_andn2_saveexec_b32 s17, s17
	s_cbranch_execz .LBB4_10272
; %bb.10271:                            ;   in Loop: Header=BB4_10226 Depth=3
	s_waitcnt vmcnt(0) lgkmcnt(0)
	s_waitcnt_vscnt null, 0x0
	buffer_gl1_inv
	buffer_gl0_inv
	s_barrier
.LBB4_10272:                            ;   in Loop: Header=BB4_10226 Depth=3
	s_or_b32 exec_lo, exec_lo, s17
.LBB4_10273:                            ;   in Loop: Header=BB4_10226 Depth=3
	s_or_b32 exec_lo, exec_lo, s16
	s_trap 2
	ds_read_b32 v1, v0
	v_and_b32_e32 v8, 0x4000, v84
	s_xor_b32 s16, s5, -1
	v_cmp_ne_u32_e32 vcc_lo, 0, v8
	s_and_b32 s17, s16, vcc_lo
	s_and_saveexec_b32 s16, s17
	s_cbranch_execz .LBB4_10292
; %bb.10274:                            ;   in Loop: Header=BB4_10226 Depth=3
	s_and_saveexec_b32 s17, s29
	s_xor_b32 s17, exec_lo, s17
	s_cbranch_execz .LBB4_10289
; %bb.10275:                            ;   in Loop: Header=BB4_10226 Depth=3
	s_and_saveexec_b32 s18, s11
	s_cbranch_execz .LBB4_10288
; %bb.10276:                            ;   in Loop: Header=BB4_10226 Depth=3
	s_mov_b32 s22, exec_lo
	s_mov_b32 s19, exec_lo
	v_mbcnt_lo_u32_b32 v8, s22, 0
	s_waitcnt vmcnt(0) lgkmcnt(0)
	s_waitcnt_vscnt null, 0x0
	buffer_gl1_inv
	buffer_gl0_inv
	v_cmpx_eq_u32_e32 0, v8
	s_cbranch_execz .LBB4_10278
; %bb.10277:                            ;   in Loop: Header=BB4_10226 Depth=3
	s_bcnt1_i32_b32 s22, s22
	v_mov_b32_e32 v9, v2
	v_mov_b32_e32 v8, s22
	ds_add_u64 v0, v[8:9]
	s_trap 2
.LBB4_10278:                            ;   in Loop: Header=BB4_10226 Depth=3
	s_or_b32 exec_lo, exec_lo, s19
	s_trap 2
	ds_read_b64 v[8:9], v0
	s_waitcnt lgkmcnt(0)
	buffer_gl0_inv
	v_add_co_u32 v28, vcc_lo, v28, v87
	v_add_co_ci_u32_e64 v29, null, 0, v29, vcc_lo
	s_mov_b32 s19, exec_lo
	v_cmpx_lt_u64_e64 v[8:9], v[28:29]
	s_cbranch_execz .LBB4_10287
; %bb.10279:                            ;   in Loop: Header=BB4_10226 Depth=3
	s_mov_b32 s22, 0
	s_mov_b32 s74, 0
                                        ; implicit-def: $sgpr23
                                        ; implicit-def: $sgpr73
	s_inst_prefetch 0x1
	s_branch .LBB4_10281
	.p2align	6
.LBB4_10280:                            ;   in Loop: Header=BB4_10281 Depth=4
	s_or_b32 exec_lo, exec_lo, s76
	s_and_b32 s75, exec_lo, s77
	s_or_b32 s22, s75, s22
	s_andn2_b32 s23, s23, exec_lo
	s_and_b32 s75, s73, exec_lo
	s_or_b32 s23, s23, s75
	s_andn2_b32 exec_lo, exec_lo, s22
	s_cbranch_execz .LBB4_10285
.LBB4_10281:                            ;   Parent Loop BB4_47 Depth=1
                                        ;     Parent Loop BB4_10223 Depth=2
                                        ;       Parent Loop BB4_10226 Depth=3
                                        ; =>      This Inner Loop Header: Depth=4
	s_add_i32 s74, s74, 1
	s_cmpk_lg_i32 s74, 0x2710
	s_cselect_b32 s75, -1, 0
	s_and_b32 vcc_lo, exec_lo, s75
	s_cbranch_vccz .LBB4_10283
; %bb.10282:                            ;   in Loop: Header=BB4_10281 Depth=4
	s_mov_b32 s77, -1
	s_or_b32 s73, s73, exec_lo
	s_and_saveexec_b32 s76, s75
	s_cbranch_execz .LBB4_10280
	s_branch .LBB4_10284
	.p2align	6
.LBB4_10283:                            ;   in Loop: Header=BB4_10281 Depth=4
	s_trap 2
	ds_read_b64 v[8:9], v0
	s_andn2_b32 s75, s75, exec_lo
	s_mov_b32 s74, 0
	s_waitcnt lgkmcnt(0)
	flat_load_dword v8, v[8:9] glc dlc
	s_waitcnt vmcnt(0) lgkmcnt(0)
	buffer_gl1_inv
	buffer_gl0_inv
	v_cmp_eq_u32_e32 vcc_lo, 0, v8
	s_and_b32 s76, vcc_lo, exec_lo
	s_or_b32 s75, s75, s76
	s_mov_b32 s77, -1
	s_or_b32 s73, s73, exec_lo
	s_and_saveexec_b32 s76, s75
	s_cbranch_execz .LBB4_10280
.LBB4_10284:                            ;   in Loop: Header=BB4_10281 Depth=4
	s_sleep 1
	s_trap 2
	ds_read_b64 v[8:9], v0
	s_waitcnt lgkmcnt(0)
	buffer_gl0_inv
	s_andn2_b32 s73, s73, exec_lo
	v_cmp_ge_u64_e32 vcc_lo, v[8:9], v[28:29]
	s_orn2_b32 s77, vcc_lo, exec_lo
	s_branch .LBB4_10280
.LBB4_10285:                            ;   in Loop: Header=BB4_10226 Depth=3
	s_inst_prefetch 0x2
	s_or_b32 exec_lo, exec_lo, s22
	s_and_saveexec_b32 s22, s23
	s_xor_b32 s22, exec_lo, s22
	s_cbranch_execz .LBB4_10287
; %bb.10286:                            ;   in Loop: Header=BB4_10226 Depth=3
	ds_write_b32 v0, v99
	s_trap 2
.LBB4_10287:                            ;   in Loop: Header=BB4_10226 Depth=3
	s_or_b32 exec_lo, exec_lo, s19
	;;#ASMSTART
	s_wakeup
	;;#ASMEND
.LBB4_10288:                            ;   in Loop: Header=BB4_10226 Depth=3
	s_or_b32 exec_lo, exec_lo, s18
.LBB4_10289:                            ;   in Loop: Header=BB4_10226 Depth=3
	s_andn2_saveexec_b32 s17, s17
	s_cbranch_execz .LBB4_10291
; %bb.10290:                            ;   in Loop: Header=BB4_10226 Depth=3
	s_waitcnt vmcnt(0) lgkmcnt(0)
	s_waitcnt_vscnt null, 0x0
	buffer_gl1_inv
	buffer_gl0_inv
	s_barrier
.LBB4_10291:                            ;   in Loop: Header=BB4_10226 Depth=3
	s_or_b32 exec_lo, exec_lo, s17
.LBB4_10292:                            ;   in Loop: Header=BB4_10226 Depth=3
	s_or_b32 exec_lo, exec_lo, s16
	s_trap 2
	ds_read_b64 v[13:14], v0
	s_waitcnt lgkmcnt(0)
	v_cmp_eq_u64_e32 vcc_lo, 0, v[13:14]
	s_cbranch_vccnz .LBB4_10301
; %bb.10293:                            ;   in Loop: Header=BB4_10226 Depth=3
	s_trap 2
	ds_read_b64 v[52:53], v0
	s_waitcnt lgkmcnt(0)
	v_cmp_eq_u64_e32 vcc_lo, 0, v[52:53]
	s_cbranch_vccnz .LBB4_10301
; %bb.10294:                            ;   in Loop: Header=BB4_10226 Depth=3
	s_trap 2
	ds_read_b64 v[54:55], v0
	v_cmp_eq_u32_e64 s16, 0, v1
	v_cndmask_b32_e64 v1, 0, v12, s16
	s_mov_b32 s16, -1
	s_waitcnt lgkmcnt(0)
	v_cmp_ne_u64_e32 vcc_lo, 0, v[54:55]
	s_cbranch_vccz .LBB4_10330
; %bb.10295:                            ;   in Loop: Header=BB4_10226 Depth=3
	s_and_saveexec_b32 s17, s13
	s_cbranch_execz .LBB4_10297
; %bb.10296:                            ;   in Loop: Header=BB4_10226 Depth=3
	ds_read_b32 v8, v0 offset:720
	s_waitcnt lgkmcnt(0)
	v_and_b32_e32 v8, 15, v8
	v_cmp_eq_u32_e32 vcc_lo, 0, v8
	s_orn2_b32 s16, vcc_lo, exec_lo
.LBB4_10297:                            ;   in Loop: Header=BB4_10226 Depth=3
	s_or_b32 exec_lo, exec_lo, s17
	s_and_saveexec_b32 s17, s14
	s_cbranch_execz .LBB4_10299
; %bb.10298:                            ;   in Loop: Header=BB4_10226 Depth=3
	ds_read_b32 v8, v0 offset:784
	s_waitcnt lgkmcnt(0)
	v_and_b32_e32 v8, 15, v8
	v_cmp_eq_u32_e32 vcc_lo, 0, v8
	s_and_b32 s18, s16, vcc_lo
	s_andn2_b32 s16, s16, exec_lo
	s_and_b32 s18, s18, exec_lo
	s_or_b32 s16, s16, s18
.LBB4_10299:                            ;   in Loop: Header=BB4_10226 Depth=3
	s_or_b32 exec_lo, exec_lo, s17
	s_xor_b32 s16, s16, -1
	v_mov_b32_e32 v16, 0
	v_cndmask_b32_e64 v8, 0, 1, s16
	v_mov_b32_e32 v17, v1
	v_mov_b32_e32 v18, v0
	s_mov_b32 s16, -1
	v_cmp_ne_u32_e32 vcc_lo, 0, v8
	s_cbranch_vccz .LBB4_10306
; %bb.10300:                            ;   in Loop: Header=BB4_10226 Depth=3
	s_and_saveexec_b32 s22, s16
	s_cbranch_execnz .LBB4_10319
	s_branch .LBB4_10329
.LBB4_10301:                            ;   in Loop: Header=BB4_10226 Depth=3
	s_mov_b32 s16, 0
	s_and_saveexec_b32 s17, s6
	s_cbranch_execnz .LBB4_10358
.LBB4_10302:                            ;   in Loop: Header=BB4_10226 Depth=3
	s_or_b32 exec_lo, exec_lo, s17
                                        ; implicit-def: $vgpr1
	s_and_saveexec_b32 s17, s15
	s_xor_b32 s17, exec_lo, s17
	s_cbranch_execz .LBB4_10376
.LBB4_10303:                            ;   in Loop: Header=BB4_10226 Depth=3
	v_and_b32_e32 v1, 16, v84
	v_cmp_ne_u32_e32 vcc_lo, 0, v1
	v_and_b32_e32 v1, 16, v84
	s_and_b32 s18, vcc_lo, s16
	s_and_saveexec_b32 s16, s18
	s_cbranch_execz .LBB4_10305
; %bb.10304:                            ;   in Loop: Header=BB4_10226 Depth=3
	v_mov_b32_e32 v1, 1
	s_waitcnt vmcnt(0) lgkmcnt(0)
	s_waitcnt_vscnt null, 0x0
	buffer_gl1_inv
	buffer_gl0_inv
.LBB4_10305:                            ;   in Loop: Header=BB4_10226 Depth=3
	s_or_b32 exec_lo, exec_lo, s16
	s_andn2_saveexec_b32 s16, s17
	s_cbranch_execz .LBB4_10395
	s_branch .LBB4_10377
.LBB4_10306:                            ;   in Loop: Header=BB4_10226 Depth=3
	v_ashrrev_i32_e32 v8, 31, v1
	s_mov_b32 s17, exec_lo
	v_lshrrev_b32_e32 v8, 22, v8
	v_add_nc_u32_e32 v8, v1, v8
	v_ashrrev_i32_e32 v16, 10, v8
	v_lshrrev_b32_e32 v8, 5, v0
	v_sub_nc_u32_e32 v20, v16, v8
	v_cmpx_lt_i32_e32 0, v20
	s_cbranch_execz .LBB4_10310
; %bb.10307:                            ;   in Loop: Header=BB4_10226 Depth=3
	buffer_load_dword v17, off, s[0:3], s33 offset:196 ; 4-byte Folded Reload
	s_mov_b32 s18, 0
	s_waitcnt vmcnt(0)
	v_add_co_u32 v8, vcc_lo, v13, v17
	v_add_co_ci_u32_e64 v9, null, 0, v14, vcc_lo
	v_add_co_u32 v10, vcc_lo, v52, v17
	v_add_co_ci_u32_e64 v11, null, 0, v53, vcc_lo
	;; [unrolled: 2-line block ×3, first 2 shown]
	.p2align	6
.LBB4_10308:                            ;   Parent Loop BB4_47 Depth=1
                                        ;     Parent Loop BB4_10223 Depth=2
                                        ;       Parent Loop BB4_10226 Depth=3
                                        ; =>      This Inner Loop Header: Depth=4
	s_clause 0x1
	global_load_dwordx4 v[34:37], v[8:9], off slc
	global_load_dwordx4 v[66:69], v[8:9], off offset:512 slc
	v_sub_nc_u32_e32 v20, v20, v87
	v_add_co_u32 v8, vcc_lo, v8, v118
	v_add_co_ci_u32_e64 v9, null, 0, v9, vcc_lo
	v_cmp_gt_i32_e32 vcc_lo, 1, v20
	s_waitcnt vmcnt(1)
	global_store_dwordx4 v[10:11], v[34:37], off glc slc
	s_waitcnt vmcnt(0)
	global_store_dwordx4 v[10:11], v[66:69], off offset:512 glc slc
	global_store_dwordx4 v[64:65], v[34:37], off glc slc
	global_store_dwordx4 v[64:65], v[66:69], off offset:512 glc slc
	v_add_co_u32 v10, s16, v10, v118
	v_add_co_ci_u32_e64 v11, null, 0, v11, s16
	v_add_co_u32 v64, s16, v64, v118
	v_add_co_ci_u32_e64 v65, null, 0, v65, s16
	s_or_b32 s18, vcc_lo, s18
	s_andn2_b32 exec_lo, exec_lo, s18
	s_cbranch_execnz .LBB4_10308
; %bb.10309:                            ;   in Loop: Header=BB4_10226 Depth=3
	s_or_b32 exec_lo, exec_lo, s18
.LBB4_10310:                            ;   in Loop: Header=BB4_10226 Depth=3
	s_or_b32 exec_lo, exec_lo, s17
	v_lshlrev_b32_e32 v19, 10, v16
	v_mov_b32_e32 v16, 0
	s_mov_b32 s16, 0
	s_mov_b32 s19, exec_lo
                                        ; implicit-def: $vgpr17
                                        ; implicit-def: $vgpr18
	v_cmpx_ne_u32_e64 v1, v19
	s_cbranch_execz .LBB4_10318
; %bb.10311:                            ;   in Loop: Header=BB4_10226 Depth=3
	v_lshlrev_b32_e32 v8, 5, v20
	v_and_b32_e32 v9, 31, v0
	v_sub_nc_u32_e32 v10, v1, v19
	s_mov_b32 s73, exec_lo
	v_sub_nc_u32_e32 v8, v9, v8
	v_ashrrev_i32_e32 v11, 31, v10
	v_ashrrev_i32_e32 v9, 31, v8
	v_lshrrev_b32_e32 v11, 23, v11
	v_lshrrev_b32_e32 v9, 27, v9
	v_add_nc_u32_e32 v11, v10, v11
	v_add_nc_u32_e32 v9, v8, v9
	v_and_b32_e32 v16, 0xffffffe0, v9
	v_ashrrev_i32_e32 v9, 5, v9
	v_sub_nc_u32_e32 v18, v8, v16
	v_and_b32_e32 v16, 0xfffffe00, v11
	v_ashrrev_i32_e32 v11, 9, v11
	v_lshlrev_b32_e32 v8, 4, v18
	v_sub_nc_u32_e32 v17, v10, v16
	v_lshl_add_u32 v8, v9, 9, v8
	v_cmp_lt_i32_e64 s16, 15, v17
	v_sub_nc_u32_e32 v21, v10, v8
	v_add_co_ci_u32_e64 v11, null, 0, v11, s16
	v_sub_nc_u32_e32 v20, v11, v9
	v_cmpx_lt_i32_e32 15, v21
	s_cbranch_execz .LBB4_10317
; %bb.10312:                            ;   in Loop: Header=BB4_10226 Depth=3
	v_add_nc_u32_e32 v8, v8, v19
	s_mov_b32 s74, 0
	v_ashrrev_i32_e32 v9, 31, v8
	v_add_co_u32 v64, vcc_lo, v8, v13
	v_add_co_ci_u32_e64 v65, null, v9, v14, vcc_lo
	v_add_co_u32 v30, vcc_lo, v8, v52
	v_add_co_ci_u32_e64 v31, null, v9, v53, vcc_lo
	;; [unrolled: 2-line block ×3, first 2 shown]
	s_inst_prefetch 0x1
	.p2align	6
.LBB4_10313:                            ;   Parent Loop BB4_47 Depth=1
                                        ;     Parent Loop BB4_10223 Depth=2
                                        ;       Parent Loop BB4_10226 Depth=3
                                        ; =>      This Loop Header: Depth=4
                                        ;           Child Loop BB4_10314 Depth 5
	global_load_dwordx4 v[8:11], v[64:65], off slc
	s_mov_b64 s[22:23], 0
	s_mov_b32 s75, -1
	.p2align	6
.LBB4_10314:                            ;   Parent Loop BB4_47 Depth=1
                                        ;     Parent Loop BB4_10223 Depth=2
                                        ;       Parent Loop BB4_10226 Depth=3
                                        ;         Parent Loop BB4_10313 Depth=4
                                        ; =>        This Inner Loop Header: Depth=5
	s_cmp_eq_u32 s22, 1
	s_cselect_b32 vcc_lo, -1, 0
	s_cmp_eq_u32 s22, 0
	v_cndmask_b32_e32 v36, v30, v34, vcc_lo
	v_cndmask_b32_e32 v37, v31, v35, vcc_lo
	s_mov_b64 s[22:23], 1
	v_add_co_u32 v50, s17, 0x200, v36
	v_add_co_ci_u32_e64 v51, null, 0, v37, s17
	s_cselect_b32 s17, -1, 0
	v_cndmask_b32_e32 v34, v34, v50, vcc_lo
	v_cndmask_b32_e64 v30, v30, v50, s17
	v_cndmask_b32_e32 v35, v35, v51, vcc_lo
	v_cndmask_b32_e64 v31, v31, v51, s17
	s_and_b32 s18, exec_lo, s75
	s_mov_b32 s75, 0
	s_mov_b32 vcc_lo, s18
	s_waitcnt vmcnt(0)
	global_store_dwordx4 v[36:37], v[8:11], off glc slc
	s_cbranch_vccnz .LBB4_10314
; %bb.10315:                            ;   in Loop: Header=BB4_10313 Depth=4
	v_sub_nc_u32_e32 v21, v21, v117
	v_add_co_u32 v30, vcc_lo, v30, v41
	v_add_co_ci_u32_e64 v31, null, v31, v44, vcc_lo
	v_add_co_u32 v34, vcc_lo, v34, v41
	v_add_co_ci_u32_e64 v35, null, v35, v44, vcc_lo
	v_cmp_gt_i32_e32 vcc_lo, 16, v21
	v_add_co_u32 v64, s17, v47, v64
	v_add_co_ci_u32_e64 v65, null, v56, v65, s17
	v_sub_nc_u32_e32 v20, v20, v87
	s_or_b32 s74, vcc_lo, s74
	s_andn2_b32 exec_lo, exec_lo, s74
	s_cbranch_execnz .LBB4_10313
; %bb.10316:                            ;   in Loop: Header=BB4_10226 Depth=3
	s_inst_prefetch 0x2
	s_or_b32 exec_lo, exec_lo, s74
.LBB4_10317:                            ;   in Loop: Header=BB4_10226 Depth=3
	s_or_b32 exec_lo, exec_lo, s73
	v_and_b32_e32 v8, 15, v1
	v_cmp_lt_i32_e32 vcc_lo, 0, v20
	v_sub_nc_u32_e32 v9, v17, v8
	v_cndmask_b32_e32 v10, 0, v87, vcc_lo
	v_cndmask_b32_e64 v17, v17, v8, s16
	v_cndmask_b32_e64 v8, 0, v9, s16
	v_sub_nc_u32_e32 v9, v10, v20
	v_cmp_ne_u32_e32 vcc_lo, 0, v17
	v_add3_u32 v16, v16, v19, v8
	v_lshl_add_u32 v18, v9, 5, v18
	s_and_b32 s16, vcc_lo, exec_lo
.LBB4_10318:                            ;   in Loop: Header=BB4_10226 Depth=3
	s_or_b32 exec_lo, exec_lo, s19
	s_and_saveexec_b32 s22, s16
	s_cbranch_execz .LBB4_10329
.LBB4_10319:                            ;   in Loop: Header=BB4_10226 Depth=3
	v_ashrrev_i32_e32 v8, 31, v18
	v_ashrrev_i32_e32 v9, 31, v17
	s_mov_b32 s17, exec_lo
	v_lshrrev_b32_e32 v8, 27, v8
	v_lshrrev_b32_e32 v9, 23, v9
	v_add_nc_u32_e32 v8, v18, v8
	v_add_nc_u32_e32 v9, v17, v9
	v_ashrrev_i32_e32 v19, 5, v8
	v_ashrrev_i32_e32 v21, 9, v9
	v_sub_nc_u32_e32 v20, v21, v19
	v_cmpx_lt_i32_e32 0, v20
	s_cbranch_execz .LBB4_10323
; %bb.10320:                            ;   in Loop: Header=BB4_10226 Depth=3
	v_and_b32_e32 v8, 0xffffffe0, v8
	v_lshlrev_b32_e32 v9, 9, v19
	v_add_co_u32 v34, vcc_lo, 0x1e0, v13
	v_add_co_ci_u32_e64 v35, null, 0, v14, vcc_lo
	v_sub_nc_u32_e32 v8, v18, v8
	s_mov_b32 s18, 0
	v_add3_u32 v30, v16, v8, v9
	v_ashrrev_i32_e32 v31, 31, v30
	v_add_co_u32 v8, vcc_lo, v30, v52
	v_add_co_ci_u32_e64 v9, null, v31, v53, vcc_lo
	v_add_co_u32 v10, vcc_lo, v30, v54
	v_add_co_ci_u32_e64 v11, null, v31, v55, vcc_lo
	;; [unrolled: 2-line block ×3, first 2 shown]
.LBB4_10321:                            ;   Parent Loop BB4_47 Depth=1
                                        ;     Parent Loop BB4_10223 Depth=2
                                        ;       Parent Loop BB4_10226 Depth=3
                                        ; =>      This Inner Loop Header: Depth=4
	v_add_co_u32 v30, vcc_lo, 0xfffffe20, v54
	v_add_co_ci_u32_e64 v31, null, -1, v55, vcc_lo
	v_add_co_u32 v34, vcc_lo, 0xfffffe40, v54
	v_add_co_ci_u32_e64 v35, null, -1, v55, vcc_lo
	;; [unrolled: 2-line block ×15, first 2 shown]
	flat_load_ubyte v115, v[54:55] slc
	flat_load_ubyte v30, v[30:31] slc
	;; [unrolled: 1-line block ×16, first 2 shown]
	v_sub_nc_u32_e32 v20, v20, v87
	v_add_co_u32 v54, vcc_lo, v54, v117
	v_add_co_ci_u32_e64 v55, null, 0, v55, vcc_lo
	v_cmp_gt_i32_e32 vcc_lo, 1, v20
	s_waitcnt vmcnt(15) lgkmcnt(15)
	flat_store_byte v[8:9], v115 offset:480 glc slc
	s_waitcnt vmcnt(14) lgkmcnt(15)
	flat_store_byte v[8:9], v30 glc slc
	s_waitcnt vmcnt(13) lgkmcnt(15)
	flat_store_byte v[8:9], v31 offset:32 glc slc
	s_waitcnt vmcnt(12) lgkmcnt(15)
	flat_store_byte v[8:9], v34 offset:64 glc slc
	;; [unrolled: 2-line block ×14, first 2 shown]
	flat_store_byte v[10:11], v30 glc slc
	flat_store_byte v[10:11], v31 offset:32 glc slc
	flat_store_byte v[10:11], v34 offset:64 glc slc
	;; [unrolled: 1-line block ×15, first 2 shown]
	v_add_co_u32 v8, s16, v8, v117
	v_add_co_ci_u32_e64 v9, null, 0, v9, s16
	v_add_co_u32 v10, s16, v10, v117
	v_add_co_ci_u32_e64 v11, null, 0, v11, s16
	s_or_b32 s18, vcc_lo, s18
	s_andn2_b32 exec_lo, exec_lo, s18
	s_cbranch_execnz .LBB4_10321
; %bb.10322:                            ;   in Loop: Header=BB4_10226 Depth=3
	s_or_b32 exec_lo, exec_lo, s18
.LBB4_10323:                            ;   in Loop: Header=BB4_10226 Depth=3
	s_or_b32 exec_lo, exec_lo, s17
	v_lshlrev_b32_e32 v8, 9, v21
	v_cmp_ne_u32_e32 vcc_lo, v17, v8
	s_and_b32 exec_lo, exec_lo, vcc_lo
	s_cbranch_execz .LBB4_10329
; %bb.10324:                            ;   in Loop: Header=BB4_10226 Depth=3
	v_lshlrev_b32_e32 v9, 5, v19
	v_lshlrev_b32_e32 v10, 5, v20
	v_sub_nc_u32_e32 v9, v18, v9
	v_sub_nc_u32_e32 v9, v9, v10
	v_add_nc_u32_e32 v8, v8, v9
	v_sub_nc_u32_e32 v10, v17, v8
	v_cmp_lt_i32_e32 vcc_lo, 0, v10
	s_and_b32 exec_lo, exec_lo, vcc_lo
	s_cbranch_execz .LBB4_10329
; %bb.10325:                            ;   in Loop: Header=BB4_10226 Depth=3
	s_trap 2
	ds_read_b64 v[30:31], v0
	ds_read_b128 v[17:20], v0
	v_add_nc_u32_e32 v21, v8, v16
	s_mov_b32 s23, 0
	v_ashrrev_i32_e32 v34, 31, v21
	s_waitcnt lgkmcnt(1)
	v_add_co_u32 v8, vcc_lo, v30, v21
	v_add_co_ci_u32_e64 v9, null, v31, v34, vcc_lo
	s_waitcnt lgkmcnt(0)
	v_add_co_u32 v11, vcc_lo, v17, v21
	v_add_co_ci_u32_e64 v16, null, v18, v34, vcc_lo
	v_add_co_u32 v17, vcc_lo, v19, v21
	v_add_co_ci_u32_e64 v18, null, v20, v34, vcc_lo
	s_inst_prefetch 0x1
	.p2align	6
.LBB4_10326:                            ;   Parent Loop BB4_47 Depth=1
                                        ;     Parent Loop BB4_10223 Depth=2
                                        ;       Parent Loop BB4_10226 Depth=3
                                        ; =>      This Loop Header: Depth=4
                                        ;           Child Loop BB4_10327 Depth 5
	flat_load_ubyte v19, v[8:9] slc
	s_mov_b64 s[18:19], 0
	s_mov_b32 s73, -1
	.p2align	6
.LBB4_10327:                            ;   Parent Loop BB4_47 Depth=1
                                        ;     Parent Loop BB4_10223 Depth=2
                                        ;       Parent Loop BB4_10226 Depth=3
                                        ;         Parent Loop BB4_10326 Depth=4
                                        ; =>        This Inner Loop Header: Depth=5
	s_cmp_eq_u32 s18, 1
	s_cselect_b32 vcc_lo, -1, 0
	s_cmp_eq_u32 s18, 0
	v_cndmask_b32_e32 v20, v11, v17, vcc_lo
	v_cndmask_b32_e32 v21, v16, v18, vcc_lo
	s_mov_b64 s[18:19], 1
	v_add_co_u32 v30, s16, v20, 32
	v_add_co_ci_u32_e64 v31, null, 0, v21, s16
	s_cselect_b32 s16, -1, 0
	v_cndmask_b32_e32 v17, v17, v30, vcc_lo
	v_cndmask_b32_e64 v11, v11, v30, s16
	v_cndmask_b32_e32 v18, v18, v31, vcc_lo
	v_cndmask_b32_e64 v16, v16, v31, s16
	s_and_b32 s17, exec_lo, s73
	s_mov_b32 s73, 0
	s_mov_b32 vcc_lo, s17
	s_waitcnt vmcnt(0) lgkmcnt(0)
	flat_store_byte v[20:21], v19 glc slc
	s_cbranch_vccnz .LBB4_10327
; %bb.10328:                            ;   in Loop: Header=BB4_10326 Depth=4
	v_sub_nc_u32_e32 v10, v10, v98
	v_add_co_u32 v11, vcc_lo, v11, v119
	v_add_co_ci_u32_e64 v16, null, v16, v42, vcc_lo
	v_add_co_u32 v17, vcc_lo, v17, v119
	v_add_co_ci_u32_e64 v18, null, v18, v42, vcc_lo
	v_cmp_gt_i32_e32 vcc_lo, 1, v10
	v_add_co_u32 v8, s16, v45, v8
	v_add_co_ci_u32_e64 v9, null, v46, v9, s16
	s_or_b32 s23, vcc_lo, s23
	s_andn2_b32 exec_lo, exec_lo, s23
	s_cbranch_execnz .LBB4_10326
.LBB4_10329:                            ;   in Loop: Header=BB4_10226 Depth=3
	s_inst_prefetch 0x2
	s_or_b32 exec_lo, exec_lo, s22
	s_mov_b32 s16, 0
.LBB4_10330:                            ;   in Loop: Header=BB4_10226 Depth=3
	v_mov_b32_e32 v50, 0x88
	s_and_b32 vcc_lo, exec_lo, s16
	s_cbranch_vccz .LBB4_10357
; %bb.10331:                            ;   in Loop: Header=BB4_10226 Depth=3
	s_mov_b32 s16, -1
	s_and_saveexec_b32 s17, s13
	s_cbranch_execz .LBB4_10333
; %bb.10332:                            ;   in Loop: Header=BB4_10226 Depth=3
	ds_read_b32 v8, v0 offset:720
	s_waitcnt lgkmcnt(0)
	v_and_b32_e32 v8, 15, v8
	v_cmp_eq_u32_e32 vcc_lo, 0, v8
	s_orn2_b32 s16, vcc_lo, exec_lo
.LBB4_10333:                            ;   in Loop: Header=BB4_10226 Depth=3
	s_or_b32 exec_lo, exec_lo, s17
	s_and_saveexec_b32 s17, s12
	s_cbranch_execz .LBB4_10335
; %bb.10334:                            ;   in Loop: Header=BB4_10226 Depth=3
	ds_read_b32 v8, v0 offset:784
	s_waitcnt lgkmcnt(0)
	v_and_b32_e32 v8, 15, v8
	v_cmp_eq_u32_e32 vcc_lo, 0, v8
	s_and_b32 s18, s16, vcc_lo
	s_andn2_b32 s16, s16, exec_lo
	s_and_b32 s18, s18, exec_lo
	s_or_b32 s16, s16, s18
.LBB4_10335:                            ;   in Loop: Header=BB4_10226 Depth=3
	s_or_b32 exec_lo, exec_lo, s17
	s_xor_b32 s16, s16, -1
	v_mov_b32_e32 v10, 0
	v_cndmask_b32_e64 v8, 0, 1, s16
	v_mov_b32_e32 v9, v0
	s_mov_b32 s16, -1
	v_cmp_ne_u32_e32 vcc_lo, 0, v8
	v_mov_b32_e32 v8, v1
	s_cbranch_vccz .LBB4_10337
; %bb.10336:                            ;   in Loop: Header=BB4_10226 Depth=3
	s_and_saveexec_b32 s17, s16
	s_cbranch_execnz .LBB4_10348
	s_branch .LBB4_10356
.LBB4_10337:                            ;   in Loop: Header=BB4_10226 Depth=3
	v_ashrrev_i32_e32 v8, 31, v1
	s_mov_b32 s17, exec_lo
	v_lshrrev_b32_e32 v8, 21, v8
	v_add_nc_u32_e32 v8, v1, v8
	v_ashrrev_i32_e32 v17, 11, v8
	v_lshrrev_b32_e32 v8, 5, v0
	v_sub_nc_u32_e32 v16, v17, v8
	v_cmpx_lt_i32_e32 0, v16
	s_cbranch_execz .LBB4_10341
; %bb.10338:                            ;   in Loop: Header=BB4_10226 Depth=3
	v_mov_b32_e32 v8, v52
	v_mov_b32_e32 v10, v13
	;; [unrolled: 1-line block ×4, first 2 shown]
	s_mov_b32 s18, 0
	s_inst_prefetch 0x1
	.p2align	6
.LBB4_10339:                            ;   Parent Loop BB4_47 Depth=1
                                        ;     Parent Loop BB4_10223 Depth=2
                                        ;       Parent Loop BB4_10226 Depth=3
                                        ; =>      This Inner Loop Header: Depth=4
	v_add_co_u32 v30, vcc_lo, v43, v10
	v_add_co_ci_u32_e64 v31, null, 0, v11, vcc_lo
	v_sub_nc_u32_e32 v16, v16, v87
	s_clause 0x3
	global_load_dwordx4 v[18:21], v[30:31], off slc
	global_load_dwordx4 v[34:37], v[30:31], off offset:512 slc
	global_load_dwordx4 v[64:67], v[30:31], off offset:1024 slc
	;; [unrolled: 1-line block ×3, first 2 shown]
	v_add_co_u32 v30, vcc_lo, v43, v8
	v_add_co_ci_u32_e64 v31, null, 0, v9, vcc_lo
	v_add_co_u32 v10, vcc_lo, v10, v116
	v_add_co_ci_u32_e64 v11, null, 0, v11, vcc_lo
	v_add_co_u32 v8, vcc_lo, v8, v116
	v_cmp_gt_i32_e64 s16, 1, v16
	v_add_co_ci_u32_e64 v9, null, 0, v9, vcc_lo
	s_waitcnt vmcnt(3)
	global_store_dwordx4 v[30:31], v[18:21], off glc slc
	s_waitcnt vmcnt(2)
	global_store_dwordx4 v[30:31], v[34:37], off offset:512 glc slc
	s_waitcnt vmcnt(1)
	global_store_dwordx4 v[30:31], v[64:67], off offset:1024 glc slc
	;; [unrolled: 2-line block ×3, first 2 shown]
	s_or_b32 s18, s16, s18
	s_andn2_b32 exec_lo, exec_lo, s18
	s_cbranch_execnz .LBB4_10339
; %bb.10340:                            ;   in Loop: Header=BB4_10226 Depth=3
	s_inst_prefetch 0x2
	s_or_b32 exec_lo, exec_lo, s18
.LBB4_10341:                            ;   in Loop: Header=BB4_10226 Depth=3
	s_or_b32 exec_lo, exec_lo, s17
	v_lshlrev_b32_e32 v11, 11, v17
	v_mov_b32_e32 v10, 0
	s_mov_b32 s16, 0
	s_mov_b32 s18, exec_lo
                                        ; implicit-def: $vgpr8
                                        ; implicit-def: $vgpr9
	v_cmpx_ne_u32_e64 v1, v11
	s_cbranch_execz .LBB4_10347
; %bb.10342:                            ;   in Loop: Header=BB4_10226 Depth=3
	v_lshlrev_b32_e32 v8, 5, v16
	v_and_b32_e32 v9, 31, v0
	v_sub_nc_u32_e32 v16, v1, v11
	s_mov_b32 s19, exec_lo
	v_sub_nc_u32_e32 v8, v9, v8
	v_ashrrev_i32_e32 v10, 31, v16
	v_ashrrev_i32_e32 v9, 31, v8
	v_lshrrev_b32_e32 v9, 27, v9
	v_add_nc_u32_e32 v17, v8, v9
	v_lshrrev_b32_e32 v9, 23, v10
	v_and_b32_e32 v10, 0xffffffe0, v17
	v_add_nc_u32_e32 v18, v16, v9
	v_ashrrev_i32_e32 v19, 5, v17
	v_sub_nc_u32_e32 v9, v8, v10
	v_and_b32_e32 v10, 0xfffffe00, v18
	v_ashrrev_i32_e32 v20, 9, v18
	v_lshlrev_b32_e32 v17, 4, v9
	v_sub_nc_u32_e32 v8, v16, v10
	v_lshl_add_u32 v18, v19, 9, v17
	v_cmp_lt_i32_e32 vcc_lo, 15, v8
	v_sub_nc_u32_e32 v17, v16, v18
	v_add_co_ci_u32_e64 v20, null, 0, v20, vcc_lo
	v_sub_nc_u32_e32 v16, v20, v19
	v_cmpx_lt_i32_e32 15, v17
	s_cbranch_execz .LBB4_10346
; %bb.10343:                            ;   in Loop: Header=BB4_10226 Depth=3
	v_add_nc_u32_e32 v18, v18, v11
	s_mov_b32 s22, 0
	v_ashrrev_i32_e32 v19, 31, v18
	.p2align	6
.LBB4_10344:                            ;   Parent Loop BB4_47 Depth=1
                                        ;     Parent Loop BB4_10223 Depth=2
                                        ;       Parent Loop BB4_10226 Depth=3
                                        ; =>      This Inner Loop Header: Depth=4
	v_add_co_u32 v20, s16, v13, v18
	v_add_co_ci_u32_e64 v21, null, v14, v19, s16
	v_sub_nc_u32_e32 v17, v17, v117
	v_sub_nc_u32_e32 v16, v16, v87
	global_load_dwordx4 v[34:37], v[20:21], off slc
	v_add_co_u32 v20, s16, v52, v18
	v_add_co_ci_u32_e64 v21, null, v53, v19, s16
	v_cmp_gt_i32_e64 s16, 16, v17
	v_add_co_u32 v18, s17, v18, v117
	v_add_co_ci_u32_e64 v19, null, 0, v19, s17
	s_or_b32 s22, s16, s22
	s_waitcnt vmcnt(0)
	global_store_dwordx4 v[20:21], v[34:37], off glc slc
	s_andn2_b32 exec_lo, exec_lo, s22
	s_cbranch_execnz .LBB4_10344
; %bb.10345:                            ;   in Loop: Header=BB4_10226 Depth=3
	s_or_b32 exec_lo, exec_lo, s22
.LBB4_10346:                            ;   in Loop: Header=BB4_10226 Depth=3
	s_or_b32 exec_lo, exec_lo, s19
	v_and_b32_e32 v17, 15, v1
	v_cmp_lt_i32_e64 s16, 0, v16
	v_sub_nc_u32_e32 v18, v8, v17
	v_cndmask_b32_e64 v19, 0, v87, s16
	v_cndmask_b32_e32 v8, v8, v17, vcc_lo
	v_cndmask_b32_e32 v17, 0, v18, vcc_lo
	v_sub_nc_u32_e32 v16, v19, v16
	v_cmp_ne_u32_e32 vcc_lo, 0, v8
	v_add3_u32 v10, v10, v11, v17
	v_lshl_add_u32 v9, v16, 5, v9
	s_and_b32 s16, vcc_lo, exec_lo
.LBB4_10347:                            ;   in Loop: Header=BB4_10226 Depth=3
	s_or_b32 exec_lo, exec_lo, s18
	s_and_saveexec_b32 s17, s16
	s_cbranch_execz .LBB4_10356
.LBB4_10348:                            ;   in Loop: Header=BB4_10226 Depth=3
	v_ashrrev_i32_e32 v11, 31, v9
	v_ashrrev_i32_e32 v16, 31, v8
	s_mov_b32 s16, exec_lo
	v_lshrrev_b32_e32 v11, 27, v11
	v_lshrrev_b32_e32 v16, 23, v16
	v_add_nc_u32_e32 v18, v9, v11
	v_add_nc_u32_e32 v16, v8, v16
	v_ashrrev_i32_e32 v11, 5, v18
	v_ashrrev_i32_e32 v17, 9, v16
	v_sub_nc_u32_e32 v16, v17, v11
	v_cmpx_lt_i32_e32 0, v16
	s_cbranch_execz .LBB4_10352
; %bb.10349:                            ;   in Loop: Header=BB4_10226 Depth=3
	v_and_b32_e32 v18, 0xffffffe0, v18
	v_lshlrev_b32_e32 v19, 9, v11
	s_mov_b32 s18, 0
	v_sub_nc_u32_e32 v18, v9, v18
	v_add3_u32 v18, v10, v18, v19
	v_ashrrev_i32_e32 v19, 31, v18
.LBB4_10350:                            ;   Parent Loop BB4_47 Depth=1
                                        ;     Parent Loop BB4_10223 Depth=2
                                        ;       Parent Loop BB4_10226 Depth=3
                                        ; =>      This Inner Loop Header: Depth=4
	v_add_co_u32 v20, vcc_lo, v18, v13
	v_add_co_ci_u32_e64 v21, null, v19, v14, vcc_lo
	v_sub_nc_u32_e32 v16, v16, v87
	s_clause 0xf
	flat_load_ubyte v30, v[20:21] slc
	flat_load_ubyte v31, v[20:21] offset:32 slc
	flat_load_ubyte v34, v[20:21] offset:64 slc
	flat_load_ubyte v35, v[20:21] offset:96 slc
	flat_load_ubyte v36, v[20:21] offset:128 slc
	flat_load_ubyte v37, v[20:21] offset:160 slc
	flat_load_ubyte v50, v[20:21] offset:192 slc
	flat_load_ubyte v51, v[20:21] offset:224 slc
	flat_load_ubyte v54, v[20:21] offset:256 slc
	flat_load_ubyte v55, v[20:21] offset:288 slc
	flat_load_ubyte v64, v[20:21] offset:320 slc
	flat_load_ubyte v65, v[20:21] offset:352 slc
	flat_load_ubyte v66, v[20:21] offset:384 slc
	flat_load_ubyte v67, v[20:21] offset:416 slc
	flat_load_ubyte v68, v[20:21] offset:448 slc
	flat_load_ubyte v69, v[20:21] offset:480 slc
	v_add_co_u32 v20, vcc_lo, v18, v52
	v_add_co_ci_u32_e64 v21, null, v19, v53, vcc_lo
	v_add_co_u32 v13, vcc_lo, v13, v117
	v_add_co_ci_u32_e64 v14, null, 0, v14, vcc_lo
	;; [unrolled: 2-line block ×3, first 2 shown]
	v_cmp_gt_i32_e32 vcc_lo, 1, v16
	s_waitcnt vmcnt(15) lgkmcnt(15)
	flat_store_byte v[20:21], v30 glc slc
	s_waitcnt vmcnt(14) lgkmcnt(15)
	flat_store_byte v[20:21], v31 offset:32 glc slc
	s_waitcnt vmcnt(13) lgkmcnt(15)
	flat_store_byte v[20:21], v34 offset:64 glc slc
	;; [unrolled: 2-line block ×15, first 2 shown]
	s_or_b32 s18, vcc_lo, s18
	s_andn2_b32 exec_lo, exec_lo, s18
	s_cbranch_execnz .LBB4_10350
; %bb.10351:                            ;   in Loop: Header=BB4_10226 Depth=3
	s_or_b32 exec_lo, exec_lo, s18
	v_mov_b32_e32 v50, 0x88
.LBB4_10352:                            ;   in Loop: Header=BB4_10226 Depth=3
	s_or_b32 exec_lo, exec_lo, s16
	v_lshlrev_b32_e32 v13, 9, v17
	v_cmp_ne_u32_e32 vcc_lo, v8, v13
	s_and_b32 exec_lo, exec_lo, vcc_lo
	s_cbranch_execz .LBB4_10356
; %bb.10353:                            ;   in Loop: Header=BB4_10226 Depth=3
	v_lshlrev_b32_e32 v11, 5, v11
	v_sub_nc_u32_e32 v9, v9, v11
	v_lshlrev_b32_e32 v11, 5, v16
	v_sub_nc_u32_e32 v9, v9, v11
	v_add_nc_u32_e32 v13, v13, v9
	v_sub_nc_u32_e32 v11, v8, v13
	v_cmp_lt_i32_e32 vcc_lo, 0, v11
	s_and_b32 exec_lo, exec_lo, vcc_lo
	s_cbranch_execz .LBB4_10356
; %bb.10354:                            ;   in Loop: Header=BB4_10226 Depth=3
	s_trap 2
	ds_read_b64 v[8:9], v0
	v_add_nc_u32_e32 v10, v13, v10
	s_mov_b32 s18, 0
	v_ashrrev_i32_e32 v13, 31, v10
	.p2align	6
.LBB4_10355:                            ;   Parent Loop BB4_47 Depth=1
                                        ;     Parent Loop BB4_10223 Depth=2
                                        ;       Parent Loop BB4_10226 Depth=3
                                        ; =>      This Inner Loop Header: Depth=4
	s_waitcnt lgkmcnt(0)
	v_add_co_u32 v16, vcc_lo, v8, v10
	v_add_co_ci_u32_e64 v17, null, v9, v13, vcc_lo
	v_sub_nc_u32_e32 v11, v11, v98
	v_add_co_u32 v10, s16, v10, v98
	flat_load_ubyte v14, v[16:17] slc
	v_add_co_ci_u32_e64 v13, null, 0, v13, s16
	v_cmp_gt_i32_e32 vcc_lo, 1, v11
	s_or_b32 s18, vcc_lo, s18
	s_waitcnt vmcnt(0) lgkmcnt(0)
	flat_store_byte v[16:17], v14 glc slc
	s_andn2_b32 exec_lo, exec_lo, s18
	s_cbranch_execnz .LBB4_10355
.LBB4_10356:                            ;   in Loop: Header=BB4_10226 Depth=3
	s_or_b32 exec_lo, exec_lo, s17
.LBB4_10357:                            ;   in Loop: Header=BB4_10226 Depth=3
	v_cmp_lt_i32_e64 s16, 0, v1
	s_and_saveexec_b32 s17, s6
	s_cbranch_execz .LBB4_10302
.LBB4_10358:                            ;   in Loop: Header=BB4_10226 Depth=3
	s_and_saveexec_b32 s18, s29
	s_xor_b32 s18, exec_lo, s18
	s_cbranch_execz .LBB4_10373
; %bb.10359:                            ;   in Loop: Header=BB4_10226 Depth=3
	s_and_saveexec_b32 s19, s11
	s_cbranch_execz .LBB4_10372
; %bb.10360:                            ;   in Loop: Header=BB4_10226 Depth=3
	s_mov_b32 s23, exec_lo
	s_mov_b32 s22, exec_lo
	v_mbcnt_lo_u32_b32 v1, s23, 0
	s_waitcnt vmcnt(0) lgkmcnt(0)
	s_waitcnt_vscnt null, 0x0
	buffer_gl1_inv
	buffer_gl0_inv
	v_cmpx_eq_u32_e32 0, v1
	s_cbranch_execz .LBB4_10362
; %bb.10361:                            ;   in Loop: Header=BB4_10226 Depth=3
	s_bcnt1_i32_b32 s23, s23
	v_mov_b32_e32 v9, v2
	v_mov_b32_e32 v8, s23
	ds_add_u64 v0, v[8:9]
	s_trap 2
.LBB4_10362:                            ;   in Loop: Header=BB4_10226 Depth=3
	s_or_b32 exec_lo, exec_lo, s22
	s_trap 2
	ds_read_b64 v[8:9], v0
	s_waitcnt lgkmcnt(0)
	buffer_gl0_inv
	v_add_co_u32 v28, vcc_lo, v28, v87
	v_add_co_ci_u32_e64 v29, null, 0, v29, vcc_lo
	s_mov_b32 s22, exec_lo
	v_cmpx_lt_u64_e64 v[8:9], v[28:29]
	s_cbranch_execz .LBB4_10371
; %bb.10363:                            ;   in Loop: Header=BB4_10226 Depth=3
	s_mov_b32 s23, 0
	s_mov_b32 s75, 0
                                        ; implicit-def: $sgpr73
                                        ; implicit-def: $sgpr74
	s_inst_prefetch 0x1
	s_branch .LBB4_10365
	.p2align	6
.LBB4_10364:                            ;   in Loop: Header=BB4_10365 Depth=4
	s_or_b32 exec_lo, exec_lo, s77
	s_and_b32 s76, exec_lo, s78
	s_or_b32 s23, s76, s23
	s_andn2_b32 s73, s73, exec_lo
	s_and_b32 s76, s74, exec_lo
	s_or_b32 s73, s73, s76
	s_andn2_b32 exec_lo, exec_lo, s23
	s_cbranch_execz .LBB4_10369
.LBB4_10365:                            ;   Parent Loop BB4_47 Depth=1
                                        ;     Parent Loop BB4_10223 Depth=2
                                        ;       Parent Loop BB4_10226 Depth=3
                                        ; =>      This Inner Loop Header: Depth=4
	s_add_i32 s75, s75, 1
	s_cmpk_lg_i32 s75, 0x2710
	s_cselect_b32 s76, -1, 0
	s_and_b32 vcc_lo, exec_lo, s76
	s_cbranch_vccz .LBB4_10367
; %bb.10366:                            ;   in Loop: Header=BB4_10365 Depth=4
	s_mov_b32 s78, -1
	s_or_b32 s74, s74, exec_lo
	s_and_saveexec_b32 s77, s76
	s_cbranch_execz .LBB4_10364
	s_branch .LBB4_10368
	.p2align	6
.LBB4_10367:                            ;   in Loop: Header=BB4_10365 Depth=4
	s_trap 2
	ds_read_b64 v[8:9], v0
	s_andn2_b32 s76, s76, exec_lo
	s_mov_b32 s75, 0
	s_waitcnt lgkmcnt(0)
	flat_load_dword v1, v[8:9] glc dlc
	s_waitcnt vmcnt(0) lgkmcnt(0)
	buffer_gl1_inv
	buffer_gl0_inv
	v_cmp_eq_u32_e32 vcc_lo, 0, v1
	s_and_b32 s77, vcc_lo, exec_lo
	s_or_b32 s76, s76, s77
	s_mov_b32 s78, -1
	s_or_b32 s74, s74, exec_lo
	s_and_saveexec_b32 s77, s76
	s_cbranch_execz .LBB4_10364
.LBB4_10368:                            ;   in Loop: Header=BB4_10365 Depth=4
	s_sleep 1
	s_trap 2
	ds_read_b64 v[8:9], v0
	s_waitcnt lgkmcnt(0)
	buffer_gl0_inv
	s_andn2_b32 s74, s74, exec_lo
	v_cmp_ge_u64_e32 vcc_lo, v[8:9], v[28:29]
	s_orn2_b32 s78, vcc_lo, exec_lo
	s_branch .LBB4_10364
.LBB4_10369:                            ;   in Loop: Header=BB4_10226 Depth=3
	s_inst_prefetch 0x2
	s_or_b32 exec_lo, exec_lo, s23
	s_and_saveexec_b32 s23, s73
	s_xor_b32 s23, exec_lo, s23
	s_cbranch_execz .LBB4_10371
; %bb.10370:                            ;   in Loop: Header=BB4_10226 Depth=3
	ds_write_b32 v0, v99
	s_trap 2
.LBB4_10371:                            ;   in Loop: Header=BB4_10226 Depth=3
	s_or_b32 exec_lo, exec_lo, s22
	;;#ASMSTART
	s_wakeup
	;;#ASMEND
.LBB4_10372:                            ;   in Loop: Header=BB4_10226 Depth=3
	s_or_b32 exec_lo, exec_lo, s19
.LBB4_10373:                            ;   in Loop: Header=BB4_10226 Depth=3
	s_andn2_saveexec_b32 s18, s18
	s_cbranch_execz .LBB4_10375
; %bb.10374:                            ;   in Loop: Header=BB4_10226 Depth=3
	s_waitcnt vmcnt(0) lgkmcnt(0)
	s_waitcnt_vscnt null, 0x0
	buffer_gl1_inv
	buffer_gl0_inv
	s_barrier
.LBB4_10375:                            ;   in Loop: Header=BB4_10226 Depth=3
	s_or_b32 exec_lo, exec_lo, s18
	s_or_b32 exec_lo, exec_lo, s17
                                        ; implicit-def: $vgpr1
	s_and_saveexec_b32 s17, s15
	s_xor_b32 s17, exec_lo, s17
	s_cbranch_execnz .LBB4_10303
.LBB4_10376:                            ;   in Loop: Header=BB4_10226 Depth=3
	s_andn2_saveexec_b32 s16, s17
	s_cbranch_execz .LBB4_10395
.LBB4_10377:                            ;   in Loop: Header=BB4_10226 Depth=3
	s_and_saveexec_b32 s17, s29
	s_xor_b32 s17, exec_lo, s17
	s_cbranch_execz .LBB4_10392
; %bb.10378:                            ;   in Loop: Header=BB4_10226 Depth=3
	s_and_saveexec_b32 s18, s11
	s_cbranch_execz .LBB4_10391
; %bb.10379:                            ;   in Loop: Header=BB4_10226 Depth=3
	s_mov_b32 s22, exec_lo
	s_mov_b32 s19, exec_lo
	v_mbcnt_lo_u32_b32 v1, s22, 0
	;;#ASMSTART
	s_waitcnt lgkmcnt(0) vmcnt(0)
	;;#ASMEND
	v_cmpx_eq_u32_e32 0, v1
	s_cbranch_execz .LBB4_10381
; %bb.10380:                            ;   in Loop: Header=BB4_10226 Depth=3
	s_bcnt1_i32_b32 s22, s22
	v_mov_b32_e32 v9, v2
	v_mov_b32_e32 v8, s22
	s_waitcnt vmcnt(0) lgkmcnt(0)
	s_waitcnt_vscnt null, 0x0
	ds_add_u64 v0, v[8:9]
	s_trap 2
.LBB4_10381:                            ;   in Loop: Header=BB4_10226 Depth=3
	s_or_b32 exec_lo, exec_lo, s19
	s_trap 2
	ds_read_b64 v[8:9], v0
	s_waitcnt vmcnt(0) lgkmcnt(0)
	buffer_gl0_inv
	v_add_co_u32 v28, vcc_lo, v28, v87
	v_add_co_ci_u32_e64 v29, null, 0, v29, vcc_lo
	s_mov_b32 s19, exec_lo
	v_cmpx_lt_u64_e64 v[8:9], v[28:29]
	s_cbranch_execz .LBB4_10390
; %bb.10382:                            ;   in Loop: Header=BB4_10226 Depth=3
	s_mov_b32 s22, 0
	s_mov_b32 s74, 0
                                        ; implicit-def: $sgpr23
                                        ; implicit-def: $sgpr73
	s_inst_prefetch 0x1
	s_branch .LBB4_10384
	.p2align	6
.LBB4_10383:                            ;   in Loop: Header=BB4_10384 Depth=4
	s_or_b32 exec_lo, exec_lo, s76
	s_and_b32 s75, exec_lo, s77
	s_or_b32 s22, s75, s22
	s_andn2_b32 s23, s23, exec_lo
	s_and_b32 s75, s73, exec_lo
	s_or_b32 s23, s23, s75
	s_andn2_b32 exec_lo, exec_lo, s22
	s_cbranch_execz .LBB4_10388
.LBB4_10384:                            ;   Parent Loop BB4_47 Depth=1
                                        ;     Parent Loop BB4_10223 Depth=2
                                        ;       Parent Loop BB4_10226 Depth=3
                                        ; =>      This Inner Loop Header: Depth=4
	s_add_i32 s74, s74, 1
	s_cmpk_lg_i32 s74, 0x2710
	s_cselect_b32 s75, -1, 0
	s_and_b32 vcc_lo, exec_lo, s75
	s_cbranch_vccz .LBB4_10386
; %bb.10385:                            ;   in Loop: Header=BB4_10384 Depth=4
	s_mov_b32 s77, -1
	s_or_b32 s73, s73, exec_lo
	s_and_saveexec_b32 s76, s75
	s_cbranch_execz .LBB4_10383
	s_branch .LBB4_10387
	.p2align	6
.LBB4_10386:                            ;   in Loop: Header=BB4_10384 Depth=4
	s_trap 2
	ds_read_b64 v[8:9], v0
	s_andn2_b32 s75, s75, exec_lo
	s_mov_b32 s74, 0
	s_waitcnt lgkmcnt(0)
	s_waitcnt_vscnt null, 0x0
	flat_load_dword v1, v[8:9] glc dlc
	s_waitcnt vmcnt(0) lgkmcnt(0)
	buffer_gl1_inv
	buffer_gl0_inv
	v_cmp_eq_u32_e32 vcc_lo, 0, v1
	s_and_b32 s76, vcc_lo, exec_lo
	s_or_b32 s75, s75, s76
	s_mov_b32 s77, -1
	s_or_b32 s73, s73, exec_lo
	s_and_saveexec_b32 s76, s75
	s_cbranch_execz .LBB4_10383
.LBB4_10387:                            ;   in Loop: Header=BB4_10384 Depth=4
	s_sleep 1
	s_trap 2
	ds_read_b64 v[8:9], v0
	s_waitcnt lgkmcnt(0)
	buffer_gl0_inv
	s_andn2_b32 s73, s73, exec_lo
	v_cmp_ge_u64_e32 vcc_lo, v[8:9], v[28:29]
	s_orn2_b32 s77, vcc_lo, exec_lo
	s_branch .LBB4_10383
.LBB4_10388:                            ;   in Loop: Header=BB4_10226 Depth=3
	s_inst_prefetch 0x2
	s_or_b32 exec_lo, exec_lo, s22
	s_and_saveexec_b32 s22, s23
	s_xor_b32 s22, exec_lo, s22
	s_cbranch_execz .LBB4_10390
; %bb.10389:                            ;   in Loop: Header=BB4_10226 Depth=3
	ds_write_b32 v0, v99
	s_trap 2
.LBB4_10390:                            ;   in Loop: Header=BB4_10226 Depth=3
	s_or_b32 exec_lo, exec_lo, s19
	;;#ASMSTART
	s_wakeup
	;;#ASMEND
.LBB4_10391:                            ;   in Loop: Header=BB4_10226 Depth=3
	s_or_b32 exec_lo, exec_lo, s18
.LBB4_10392:                            ;   in Loop: Header=BB4_10226 Depth=3
	s_andn2_saveexec_b32 s17, s17
	s_cbranch_execz .LBB4_10394
; %bb.10393:                            ;   in Loop: Header=BB4_10226 Depth=3
	;;#ASMSTART
	s_waitcnt lgkmcnt(0) vmcnt(0)
	;;#ASMEND
	s_barrier
.LBB4_10394:                            ;   in Loop: Header=BB4_10226 Depth=3
	s_or_b32 exec_lo, exec_lo, s17
	v_and_b32_e32 v1, 16, v84
.LBB4_10395:                            ;   in Loop: Header=BB4_10226 Depth=3
	s_or_b32 exec_lo, exec_lo, s16
	v_cmp_ne_u32_e32 vcc_lo, 0, v1
	s_xor_b32 s16, s7, -1
	s_and_b32 s17, vcc_lo, s16
	s_and_saveexec_b32 s16, s17
	s_cbranch_execz .LBB4_10397
; %bb.10396:                            ;   in Loop: Header=BB4_10226 Depth=3
	s_waitcnt vmcnt(0) lgkmcnt(0)
	s_waitcnt_vscnt null, 0x0
	flat_store_dword v[26:27], v99
.LBB4_10397:                            ;   in Loop: Header=BB4_10226 Depth=3
	s_or_b32 exec_lo, exec_lo, s16
	v_and_b32_e32 v1, 48, v84
	s_mov_b32 s16, exec_lo
	v_cmpx_ne_u32_e32 0, v1
	s_cbranch_execz .LBB4_10225
; %bb.10398:                            ;   in Loop: Header=BB4_10226 Depth=3
	v_add_co_u32 v48, vcc_lo, v48, 2
	v_add_co_ci_u32_e64 v49, null, 0, v49, vcc_lo
	s_waitcnt vmcnt(0) lgkmcnt(0)
	s_waitcnt_vscnt null, 0x0
	flat_store_dwordx2 v[22:23], v[48:49]
	s_branch .LBB4_10225
.LBB4_10399:                            ;   in Loop: Header=BB4_10223 Depth=2
	s_or_b32 exec_lo, exec_lo, s62
.LBB4_10400:                            ;   in Loop: Header=BB4_10223 Depth=2
	s_or_b32 exec_lo, exec_lo, s61
	s_mov_b32 s17, exec_lo
	v_cmpx_gt_i32_e32 2, v1
	s_cbranch_execz .LBB4_10476
; %bb.10401:                            ;   in Loop: Header=BB4_10223 Depth=2
	v_cmp_eq_u32_e64 s19, 0, v1
	s_mov_b32 s18, 0
	s_branch .LBB4_10403
.LBB4_10402:                            ;   in Loop: Header=BB4_10403 Depth=3
	s_or_b32 exec_lo, exec_lo, s16
	v_add_nc_u32_e32 v4, v12, v4
	s_mov_b32 s19, 0
	s_andn2_b32 exec_lo, exec_lo, s18
	s_cbranch_execz .LBB4_10475
.LBB4_10403:                            ;   Parent Loop BB4_47 Depth=1
                                        ;     Parent Loop BB4_10223 Depth=2
                                        ; =>    This Loop Header: Depth=3
                                        ;         Child Loop BB4_10409 Depth 4
                                        ;         Child Loop BB4_10437 Depth 4
	;; [unrolled: 1-line block ×3, first 2 shown]
	v_sub_nc_u32_e32 v1, v3, v4
	v_and_b32_e32 v5, 12, v84
	s_mov_b32 s22, exec_lo
	v_min_i32_e32 v12, v12, v1
	v_cmpx_ne_u32_e32 0, v5
	s_cbranch_execz .LBB4_10429
; %bb.10404:                            ;   in Loop: Header=BB4_10403 Depth=3
	v_and_b32_e32 v1, 8, v84
	s_mov_b32 s23, exec_lo
	s_waitcnt vmcnt(0) lgkmcnt(1)
	v_add_co_u32 v10, vcc_lo, v32, v1
	v_add_co_ci_u32_e64 v11, null, 0, v33, vcc_lo
	v_add_co_u32 v8, vcc_lo, v48, 2
	v_add_co_ci_u32_e64 v9, null, 0, v49, vcc_lo
	v_cmpx_lt_u64_e64 v[10:11], v[8:9]
	s_cbranch_execz .LBB4_10416
; %bb.10405:                            ;   in Loop: Header=BB4_10403 Depth=3
	v_and_b32_e32 v5, 64, v84
	s_mov_b32 s61, 0
	s_mov_b32 s73, 0
                                        ; implicit-def: $sgpr62
                                        ; implicit-def: $sgpr63
                                        ; implicit-def: $sgpr72
	v_cmp_eq_u32_e32 vcc_lo, 0, v5
	s_branch .LBB4_10409
.LBB4_10406:                            ;   in Loop: Header=BB4_10409 Depth=4
	s_waitcnt vmcnt(0) lgkmcnt(0)
	v_add_co_u32 v10, s16, v32, v1
	v_add_co_ci_u32_e64 v11, null, 0, v33, s16
	s_or_b32 s76, s76, exec_lo
	v_cmp_ge_u64_e64 s16, v[10:11], v[8:9]
	s_orn2_b32 s75, s16, exec_lo
.LBB4_10407:                            ;   in Loop: Header=BB4_10409 Depth=4
	s_or_b32 exec_lo, exec_lo, s78
	s_andn2_b32 s16, s72, exec_lo
	s_and_b32 s72, s76, exec_lo
	s_andn2_b32 s63, s63, exec_lo
	s_and_b32 s75, s75, exec_lo
	s_or_b32 s72, s16, s72
	s_or_b32 s63, s63, s75
.LBB4_10408:                            ;   in Loop: Header=BB4_10409 Depth=4
	s_or_b32 exec_lo, exec_lo, s74
	s_and_b32 s16, exec_lo, s63
	s_or_b32 s61, s16, s61
	s_andn2_b32 s16, s62, exec_lo
	s_and_b32 s62, s72, exec_lo
	s_or_b32 s62, s16, s62
	s_andn2_b32 exec_lo, exec_lo, s61
	s_cbranch_execz .LBB4_10413
.LBB4_10409:                            ;   Parent Loop BB4_47 Depth=1
                                        ;     Parent Loop BB4_10223 Depth=2
                                        ;       Parent Loop BB4_10403 Depth=3
                                        ; =>      This Inner Loop Header: Depth=4
	s_sleep 1
	s_waitcnt vmcnt(0) lgkmcnt(0)
	flat_load_dwordx2 v[32:33], v[22:23] glc dlc
	s_or_b32 s72, s72, exec_lo
	s_or_b32 s63, s63, exec_lo
                                        ; implicit-def: $vgpr5
	s_and_saveexec_b32 s74, vcc_lo
	s_cbranch_execz .LBB4_10408
; %bb.10410:                            ;   in Loop: Header=BB4_10409 Depth=4
	s_cmpk_lt_i32 s73, 0x270f
	s_mov_b32 s75, -1
	s_cselect_b32 s77, -1, 0
	s_cmpk_gt_i32 s73, 0x270e
	s_cbranch_scc0 .LBB4_10412
; %bb.10411:                            ;   in Loop: Header=BB4_10409 Depth=4
	s_trap 2
	ds_read_b64 v[10:11], v0
	s_andn2_b32 s73, s77, exec_lo
	s_mov_b32 s76, 0
	s_waitcnt vmcnt(0) lgkmcnt(0)
	s_waitcnt_vscnt null, 0x0
	flat_load_dword v5, v[10:11] glc dlc
	s_waitcnt vmcnt(0) lgkmcnt(0)
	buffer_gl1_inv
	buffer_gl0_inv
	v_cmp_eq_u32_e64 s16, 0, v5
	s_and_b32 s16, s16, exec_lo
	s_or_b32 s77, s73, s16
	s_mov_b32 s73, 0
	s_and_saveexec_b32 s78, s77
	s_cbranch_execz .LBB4_10407
	s_branch .LBB4_10406
.LBB4_10412:                            ;   in Loop: Header=BB4_10409 Depth=4
	s_add_i32 s73, s73, 1
	s_mov_b32 s76, -1
                                        ; implicit-def: $vgpr5
	s_and_saveexec_b32 s78, s77
	s_cbranch_execz .LBB4_10407
	s_branch .LBB4_10406
.LBB4_10413:                            ;   in Loop: Header=BB4_10403 Depth=3
	s_or_b32 exec_lo, exec_lo, s61
	s_xor_b32 s16, s62, -1
	s_and_saveexec_b32 s61, s16
	s_xor_b32 s16, exec_lo, s61
	s_cbranch_execz .LBB4_10415
; %bb.10414:                            ;   in Loop: Header=BB4_10403 Depth=3
	v_or_b32_e32 v84, 64, v84
	s_waitcnt vmcnt(0) lgkmcnt(0)
	s_waitcnt_vscnt null, 0x0
	ds_write_b32 v0, v5
	s_trap 2
.LBB4_10415:                            ;   in Loop: Header=BB4_10403 Depth=3
	s_or_b32 exec_lo, exec_lo, s16
.LBB4_10416:                            ;   in Loop: Header=BB4_10403 Depth=3
	s_or_b32 exec_lo, exec_lo, s23
	v_and_b32_e32 v5, 0x108, v84
	s_mov_b32 s16, exec_lo
	;;#ASMSTART
	s_wakeup
	;;#ASMEND
                                        ; implicit-def: $vgpr10_vgpr11
	v_cmpx_ne_u32_e32 0x108, v5
	s_xor_b32 s16, exec_lo, s16
; %bb.10417:                            ;   in Loop: Header=BB4_10403 Depth=3
	v_and_b32_e32 v10, 7, v48
	v_mov_b32_e32 v11, v2
                                        ; implicit-def: $vgpr48_vgpr49
; %bb.10418:                            ;   in Loop: Header=BB4_10403 Depth=3
	s_andn2_saveexec_b32 s16, s16
	s_cbranch_execz .LBB4_10420
; %bb.10419:                            ;   in Loop: Header=BB4_10403 Depth=3
	v_and_b32_e32 v10, 7, v48
	v_ashrrev_i32_e32 v13, 31, v12
	v_mov_b32_e32 v11, v2
	v_mad_u64_u32 v[14:15], null, v10, 24, v[6:7]
	flat_store_dwordx2 v[14:15], v[12:13] offset:8
.LBB4_10420:                            ;   in Loop: Header=BB4_10403 Depth=3
	s_or_b32 exec_lo, exec_lo, s16
	v_and_b32_e32 v5, 0x100, v84
	s_mov_b32 s16, -1
	s_mov_b32 s23, exec_lo
                                        ; implicit-def: $vgpr13_vgpr14
	v_cmpx_ne_u32_e32 0, v5
	s_cbranch_execz .LBB4_10424
; %bb.10421:                            ;   in Loop: Header=BB4_10403 Depth=3
	v_mad_u64_u32 v[48:49], null, v10, 24, v[6:7]
	s_mov_b32 s61, exec_lo
	v_mov_b32_e32 v5, v49
	v_mad_u64_u32 v[13:14], null, v11, 24, v[5:6]
	v_mov_b32_e32 v49, v13
                                        ; implicit-def: $vgpr13_vgpr14
	flat_load_dword v5, v[48:49]
	s_waitcnt vmcnt(0) lgkmcnt(0)
	v_cmp_ne_u32_e32 vcc_lo, 1, v5
	v_cmpx_eq_u32_e32 1, v5
	s_cbranch_execz .LBB4_10423
; %bb.10422:                            ;   in Loop: Header=BB4_10403 Depth=3
	flat_load_dword v13, v[48:49] offset:4 glc dlc
	s_waitcnt vmcnt(0) lgkmcnt(0)
	v_ashrrev_i32_e32 v14, 31, v13
.LBB4_10423:                            ;   in Loop: Header=BB4_10403 Depth=3
	s_or_b32 exec_lo, exec_lo, s61
	s_orn2_b32 s16, vcc_lo, exec_lo
.LBB4_10424:                            ;   in Loop: Header=BB4_10403 Depth=3
	s_or_b32 exec_lo, exec_lo, s23
	s_and_saveexec_b32 s23, s16
; %bb.10425:                            ;   in Loop: Header=BB4_10403 Depth=3
	v_mul_lo_u32 v5, v11, v85
	v_mul_lo_u32 v11, v10, v86
	v_mad_u64_u32 v[13:14], null, v10, v85, 0
	v_add3_u32 v14, v14, v11, v5
; %bb.10426:                            ;   in Loop: Header=BB4_10403 Depth=3
	s_or_b32 exec_lo, exec_lo, s23
	v_cmp_eq_u32_e32 vcc_lo, 0, v1
	v_and_b32_e32 v5, 0x2000, v84
	s_mov_b32 s16, exec_lo
	v_cndmask_b32_e32 v1, 0xd0, v50, vcc_lo
	v_add_co_u32 v10, vcc_lo, v24, v13
	v_add_co_ci_u32_e64 v11, null, v25, v14, vcc_lo
	v_add_nc_u32_e32 v1, v0, v1
	ds_write_b64 v1, v[10:11] offset:584
	v_cmpx_ne_u32_e32 0, v5
	s_cbranch_execz .LBB4_10428
; %bb.10427:                            ;   in Loop: Header=BB4_10403 Depth=3
	ds_read_b64 v[10:11], v0 offset:872
	s_waitcnt lgkmcnt(0)
	v_add_co_u32 v10, vcc_lo, v10, 1
	v_add_co_ci_u32_e64 v11, null, 0, v11, vcc_lo
	ds_write_b64 v0, v[10:11] offset:872
.LBB4_10428:                            ;   in Loop: Header=BB4_10403 Depth=3
	s_or_b32 exec_lo, exec_lo, s16
	v_mov_b32_e32 v49, v9
	v_mov_b32_e32 v48, v8
.LBB4_10429:                            ;   in Loop: Header=BB4_10403 Depth=3
	s_or_b32 exec_lo, exec_lo, s22
	s_xor_b32 s16, s19, -1
	s_and_b32 s16, exec_lo, s16
	s_or_b32 s18, s16, s18
	s_and_saveexec_b32 s16, s6
	s_cbranch_execz .LBB4_10448
; %bb.10430:                            ;   in Loop: Header=BB4_10403 Depth=3
	s_and_saveexec_b32 s19, s29
	s_xor_b32 s19, exec_lo, s19
	s_cbranch_execz .LBB4_10445
; %bb.10431:                            ;   in Loop: Header=BB4_10403 Depth=3
	s_and_saveexec_b32 s22, s11
	s_cbranch_execz .LBB4_10444
; %bb.10432:                            ;   in Loop: Header=BB4_10403 Depth=3
	s_mov_b32 s61, exec_lo
	s_mov_b32 s23, exec_lo
	v_mbcnt_lo_u32_b32 v1, s61, 0
	s_waitcnt vmcnt(0) lgkmcnt(0)
	s_waitcnt_vscnt null, 0x0
	buffer_gl1_inv
	buffer_gl0_inv
	v_cmpx_eq_u32_e32 0, v1
	s_cbranch_execz .LBB4_10434
; %bb.10433:                            ;   in Loop: Header=BB4_10403 Depth=3
	s_bcnt1_i32_b32 s61, s61
	v_mov_b32_e32 v9, v2
	v_mov_b32_e32 v8, s61
	ds_add_u64 v0, v[8:9]
	s_trap 2
.LBB4_10434:                            ;   in Loop: Header=BB4_10403 Depth=3
	s_or_b32 exec_lo, exec_lo, s23
	s_trap 2
	ds_read_b64 v[8:9], v0
	s_waitcnt lgkmcnt(0)
	buffer_gl0_inv
	v_add_co_u32 v28, vcc_lo, v28, v87
	v_add_co_ci_u32_e64 v29, null, 0, v29, vcc_lo
	s_mov_b32 s23, exec_lo
	v_cmpx_lt_u64_e64 v[8:9], v[28:29]
	s_cbranch_execz .LBB4_10443
; %bb.10435:                            ;   in Loop: Header=BB4_10403 Depth=3
	s_mov_b32 s61, 0
	s_mov_b32 s72, 0
                                        ; implicit-def: $sgpr62
                                        ; implicit-def: $sgpr63
	s_inst_prefetch 0x1
	s_branch .LBB4_10437
	.p2align	6
.LBB4_10436:                            ;   in Loop: Header=BB4_10437 Depth=4
	s_or_b32 exec_lo, exec_lo, s74
	s_and_b32 s73, exec_lo, s75
	s_or_b32 s61, s73, s61
	s_andn2_b32 s62, s62, exec_lo
	s_and_b32 s73, s63, exec_lo
	s_or_b32 s62, s62, s73
	s_andn2_b32 exec_lo, exec_lo, s61
	s_cbranch_execz .LBB4_10441
.LBB4_10437:                            ;   Parent Loop BB4_47 Depth=1
                                        ;     Parent Loop BB4_10223 Depth=2
                                        ;       Parent Loop BB4_10403 Depth=3
                                        ; =>      This Inner Loop Header: Depth=4
	s_add_i32 s72, s72, 1
	s_cmpk_lg_i32 s72, 0x2710
	s_cselect_b32 s73, -1, 0
	s_and_b32 vcc_lo, exec_lo, s73
	s_cbranch_vccz .LBB4_10439
; %bb.10438:                            ;   in Loop: Header=BB4_10437 Depth=4
	s_mov_b32 s75, -1
	s_or_b32 s63, s63, exec_lo
	s_and_saveexec_b32 s74, s73
	s_cbranch_execz .LBB4_10436
	s_branch .LBB4_10440
	.p2align	6
.LBB4_10439:                            ;   in Loop: Header=BB4_10437 Depth=4
	s_trap 2
	ds_read_b64 v[8:9], v0
	s_andn2_b32 s73, s73, exec_lo
	s_mov_b32 s72, 0
	s_waitcnt lgkmcnt(0)
	flat_load_dword v1, v[8:9] glc dlc
	s_waitcnt vmcnt(0) lgkmcnt(0)
	buffer_gl1_inv
	buffer_gl0_inv
	v_cmp_eq_u32_e32 vcc_lo, 0, v1
	s_and_b32 s74, vcc_lo, exec_lo
	s_or_b32 s73, s73, s74
	s_mov_b32 s75, -1
	s_or_b32 s63, s63, exec_lo
	s_and_saveexec_b32 s74, s73
	s_cbranch_execz .LBB4_10436
.LBB4_10440:                            ;   in Loop: Header=BB4_10437 Depth=4
	s_sleep 1
	s_trap 2
	ds_read_b64 v[8:9], v0
	s_waitcnt lgkmcnt(0)
	buffer_gl0_inv
	s_andn2_b32 s63, s63, exec_lo
	v_cmp_ge_u64_e32 vcc_lo, v[8:9], v[28:29]
	s_orn2_b32 s75, vcc_lo, exec_lo
	s_branch .LBB4_10436
.LBB4_10441:                            ;   in Loop: Header=BB4_10403 Depth=3
	s_inst_prefetch 0x2
	s_or_b32 exec_lo, exec_lo, s61
	s_and_saveexec_b32 s61, s62
	s_xor_b32 s61, exec_lo, s61
	s_cbranch_execz .LBB4_10443
; %bb.10442:                            ;   in Loop: Header=BB4_10403 Depth=3
	ds_write_b32 v0, v99
	s_trap 2
.LBB4_10443:                            ;   in Loop: Header=BB4_10403 Depth=3
	s_or_b32 exec_lo, exec_lo, s23
	;;#ASMSTART
	s_wakeup
	;;#ASMEND
.LBB4_10444:                            ;   in Loop: Header=BB4_10403 Depth=3
	s_or_b32 exec_lo, exec_lo, s22
.LBB4_10445:                            ;   in Loop: Header=BB4_10403 Depth=3
	s_andn2_saveexec_b32 s19, s19
	s_cbranch_execz .LBB4_10447
; %bb.10446:                            ;   in Loop: Header=BB4_10403 Depth=3
	s_waitcnt vmcnt(0) lgkmcnt(0)
	s_waitcnt_vscnt null, 0x0
	buffer_gl1_inv
	buffer_gl0_inv
	s_barrier
.LBB4_10447:                            ;   in Loop: Header=BB4_10403 Depth=3
	s_or_b32 exec_lo, exec_lo, s19
.LBB4_10448:                            ;   in Loop: Header=BB4_10403 Depth=3
	s_or_b32 exec_lo, exec_lo, s16
                                        ; implicit-def: $vgpr1
	s_and_saveexec_b32 s16, s15
	s_xor_b32 s19, exec_lo, s16
	s_cbranch_execz .LBB4_10452
; %bb.10449:                            ;   in Loop: Header=BB4_10403 Depth=3
	s_trap 2
	ds_read_b32 v1, v0
	v_cmp_lt_i32_e32 vcc_lo, 0, v12
	s_waitcnt lgkmcnt(0)
	v_readfirstlane_b32 s16, v1
	v_and_b32_e32 v1, 16, v84
	s_cmp_eq_u32 s16, 0
	v_cmp_ne_u32_e64 s16, 0, v1
	s_cselect_b32 s22, -1, 0
	v_and_b32_e32 v1, 16, v84
	s_and_b32 s22, vcc_lo, s22
	s_and_b32 s22, s16, s22
	s_and_saveexec_b32 s16, s22
	s_cbranch_execz .LBB4_10451
; %bb.10450:                            ;   in Loop: Header=BB4_10403 Depth=3
	v_mov_b32_e32 v1, 1
	s_waitcnt vmcnt(0)
	s_waitcnt_vscnt null, 0x0
	buffer_gl1_inv
	buffer_gl0_inv
.LBB4_10451:                            ;   in Loop: Header=BB4_10403 Depth=3
	s_or_b32 exec_lo, exec_lo, s16
	s_andn2_saveexec_b32 s16, s19
	s_cbranch_execz .LBB4_10471
	s_branch .LBB4_10453
.LBB4_10452:                            ;   in Loop: Header=BB4_10403 Depth=3
	s_andn2_saveexec_b32 s16, s19
	s_cbranch_execz .LBB4_10471
.LBB4_10453:                            ;   in Loop: Header=BB4_10403 Depth=3
	s_and_saveexec_b32 s19, s29
	s_xor_b32 s19, exec_lo, s19
	s_cbranch_execz .LBB4_10468
; %bb.10454:                            ;   in Loop: Header=BB4_10403 Depth=3
	s_and_saveexec_b32 s22, s11
	s_cbranch_execz .LBB4_10467
; %bb.10455:                            ;   in Loop: Header=BB4_10403 Depth=3
	s_mov_b32 s61, exec_lo
	s_mov_b32 s23, exec_lo
	v_mbcnt_lo_u32_b32 v1, s61, 0
	;;#ASMSTART
	s_waitcnt lgkmcnt(0) vmcnt(0)
	;;#ASMEND
	v_cmpx_eq_u32_e32 0, v1
	s_cbranch_execz .LBB4_10457
; %bb.10456:                            ;   in Loop: Header=BB4_10403 Depth=3
	s_bcnt1_i32_b32 s61, s61
	v_mov_b32_e32 v9, v2
	v_mov_b32_e32 v8, s61
	s_waitcnt vmcnt(0) lgkmcnt(0)
	s_waitcnt_vscnt null, 0x0
	ds_add_u64 v0, v[8:9]
	s_trap 2
.LBB4_10457:                            ;   in Loop: Header=BB4_10403 Depth=3
	s_or_b32 exec_lo, exec_lo, s23
	s_trap 2
	ds_read_b64 v[8:9], v0
	s_waitcnt vmcnt(0) lgkmcnt(0)
	buffer_gl0_inv
	v_add_co_u32 v28, vcc_lo, v28, v87
	v_add_co_ci_u32_e64 v29, null, 0, v29, vcc_lo
	s_mov_b32 s23, exec_lo
	v_cmpx_lt_u64_e64 v[8:9], v[28:29]
	s_cbranch_execz .LBB4_10466
; %bb.10458:                            ;   in Loop: Header=BB4_10403 Depth=3
	s_mov_b32 s61, 0
	s_mov_b32 s72, 0
                                        ; implicit-def: $sgpr62
                                        ; implicit-def: $sgpr63
	s_inst_prefetch 0x1
	s_branch .LBB4_10460
	.p2align	6
.LBB4_10459:                            ;   in Loop: Header=BB4_10460 Depth=4
	s_or_b32 exec_lo, exec_lo, s74
	s_and_b32 s73, exec_lo, s75
	s_or_b32 s61, s73, s61
	s_andn2_b32 s62, s62, exec_lo
	s_and_b32 s73, s63, exec_lo
	s_or_b32 s62, s62, s73
	s_andn2_b32 exec_lo, exec_lo, s61
	s_cbranch_execz .LBB4_10464
.LBB4_10460:                            ;   Parent Loop BB4_47 Depth=1
                                        ;     Parent Loop BB4_10223 Depth=2
                                        ;       Parent Loop BB4_10403 Depth=3
                                        ; =>      This Inner Loop Header: Depth=4
	s_add_i32 s72, s72, 1
	s_cmpk_lg_i32 s72, 0x2710
	s_cselect_b32 s73, -1, 0
	s_and_b32 vcc_lo, exec_lo, s73
	s_cbranch_vccz .LBB4_10462
; %bb.10461:                            ;   in Loop: Header=BB4_10460 Depth=4
	s_mov_b32 s75, -1
	s_or_b32 s63, s63, exec_lo
	s_and_saveexec_b32 s74, s73
	s_cbranch_execz .LBB4_10459
	s_branch .LBB4_10463
	.p2align	6
.LBB4_10462:                            ;   in Loop: Header=BB4_10460 Depth=4
	s_trap 2
	ds_read_b64 v[8:9], v0
	s_andn2_b32 s73, s73, exec_lo
	s_mov_b32 s72, 0
	s_waitcnt lgkmcnt(0)
	s_waitcnt_vscnt null, 0x0
	flat_load_dword v1, v[8:9] glc dlc
	s_waitcnt vmcnt(0) lgkmcnt(0)
	buffer_gl1_inv
	buffer_gl0_inv
	v_cmp_eq_u32_e32 vcc_lo, 0, v1
	s_and_b32 s74, vcc_lo, exec_lo
	s_or_b32 s73, s73, s74
	s_mov_b32 s75, -1
	s_or_b32 s63, s63, exec_lo
	s_and_saveexec_b32 s74, s73
	s_cbranch_execz .LBB4_10459
.LBB4_10463:                            ;   in Loop: Header=BB4_10460 Depth=4
	s_sleep 1
	s_trap 2
	ds_read_b64 v[8:9], v0
	s_waitcnt lgkmcnt(0)
	buffer_gl0_inv
	s_andn2_b32 s63, s63, exec_lo
	v_cmp_ge_u64_e32 vcc_lo, v[8:9], v[28:29]
	s_orn2_b32 s75, vcc_lo, exec_lo
	s_branch .LBB4_10459
.LBB4_10464:                            ;   in Loop: Header=BB4_10403 Depth=3
	s_inst_prefetch 0x2
	s_or_b32 exec_lo, exec_lo, s61
	s_and_saveexec_b32 s61, s62
	s_xor_b32 s61, exec_lo, s61
	s_cbranch_execz .LBB4_10466
; %bb.10465:                            ;   in Loop: Header=BB4_10403 Depth=3
	ds_write_b32 v0, v99
	s_trap 2
.LBB4_10466:                            ;   in Loop: Header=BB4_10403 Depth=3
	s_or_b32 exec_lo, exec_lo, s23
	;;#ASMSTART
	s_wakeup
	;;#ASMEND
.LBB4_10467:                            ;   in Loop: Header=BB4_10403 Depth=3
	s_or_b32 exec_lo, exec_lo, s22
.LBB4_10468:                            ;   in Loop: Header=BB4_10403 Depth=3
	s_andn2_saveexec_b32 s19, s19
	s_cbranch_execz .LBB4_10470
; %bb.10469:                            ;   in Loop: Header=BB4_10403 Depth=3
	;;#ASMSTART
	s_waitcnt lgkmcnt(0) vmcnt(0)
	;;#ASMEND
	s_barrier
.LBB4_10470:                            ;   in Loop: Header=BB4_10403 Depth=3
	s_or_b32 exec_lo, exec_lo, s19
	v_and_b32_e32 v1, 16, v84
.LBB4_10471:                            ;   in Loop: Header=BB4_10403 Depth=3
	s_or_b32 exec_lo, exec_lo, s16
	v_cmp_ne_u32_e32 vcc_lo, 0, v1
	s_xor_b32 s16, s7, -1
	s_and_b32 s19, vcc_lo, s16
	s_and_saveexec_b32 s16, s19
	s_cbranch_execz .LBB4_10473
; %bb.10472:                            ;   in Loop: Header=BB4_10403 Depth=3
	s_waitcnt vmcnt(0) lgkmcnt(0)
	s_waitcnt_vscnt null, 0x0
	flat_store_dword v[26:27], v99
.LBB4_10473:                            ;   in Loop: Header=BB4_10403 Depth=3
	s_or_b32 exec_lo, exec_lo, s16
	v_and_b32_e32 v1, 48, v84
	s_mov_b32 s16, exec_lo
	v_cmpx_ne_u32_e32 0, v1
	s_cbranch_execz .LBB4_10402
; %bb.10474:                            ;   in Loop: Header=BB4_10403 Depth=3
	v_add_co_u32 v48, vcc_lo, v48, 2
	v_add_co_ci_u32_e64 v49, null, 0, v49, vcc_lo
	s_waitcnt vmcnt(0) lgkmcnt(0)
	s_waitcnt_vscnt null, 0x0
	flat_store_dwordx2 v[22:23], v[48:49]
	s_branch .LBB4_10402
.LBB4_10475:                            ;   in Loop: Header=BB4_10223 Depth=2
	s_or_b32 exec_lo, exec_lo, s18
.LBB4_10476:                            ;   in Loop: Header=BB4_10223 Depth=2
	s_or_b32 exec_lo, exec_lo, s17
	s_add_i32 s16, s21, 1
	s_cmp_eq_u32 s21, s56
	s_cbranch_scc1 .LBB4_10478
; %bb.10477:                            ;   in Loop: Header=BB4_10223 Depth=2
	s_mov_b32 s21, s16
	s_branch .LBB4_10223
.LBB4_10478:                            ;   in Loop: Header=BB4_47 Depth=1
	v_mul_lo_u32 v1, v39, s58
	v_mul_lo_u32 v3, v38, s59
	v_mad_u64_u32 v[8:9], null, v38, s58, 0
	v_mov_b32_e32 v10, 0
	v_mov_b32_e32 v5, 0
	v_add3_u32 v9, v9, v3, v1
	s_clause 0x1
	buffer_load_dword v3, off, s[0:3], s33 offset:188
	buffer_load_dword v4, off, s[0:3], s33 offset:192
	s_waitcnt vmcnt(1)
	v_sub_co_u32 v3, vcc_lo, v3, v8
	s_waitcnt vmcnt(0)
	v_sub_co_ci_u32_e64 v4, null, v4, v9, vcc_lo
	v_cmp_lt_i64_e32 vcc_lo, v[38:39], v[3:4]
	v_cndmask_b32_e32 v1, v3, v38, vcc_lo
	v_max_i32_e32 v3, 0, v1
	v_cmp_lt_i32_e32 vcc_lo, 0, v1
	v_add_nc_u32_e32 v4, 31, v3
	s_and_b32 s16, s57, vcc_lo
	v_lshrrev_b32_e32 v4, 1, v4
	v_and_b32_e32 v4, 0x3ffffff0, v4
	v_max_i32_e32 v4, s45, v4
	s_and_saveexec_b32 s18, s16
	s_cbranch_execz .LBB4_10616
; %bb.10479:                            ;   in Loop: Header=BB4_47 Depth=1
	v_add_co_u32 v1, vcc_lo, v8, v57
	v_add_co_ci_u32_e64 v16, null, v9, v58, vcc_lo
	v_mov_b32_e32 v5, 0
	s_mov_b32 s22, 1
	s_mov_b32 s21, -1
	s_mov_b32 s19, 0
	s_branch .LBB4_10481
.LBB4_10480:                            ;   in Loop: Header=BB4_10481 Depth=2
	s_or_b32 exec_lo, exec_lo, s16
	v_add_nc_u32_e32 v5, v4, v5
	s_xor_b32 s16, s21, -1
	v_mov_b32_e32 v10, s22
	s_mov_b32 s21, 0
	s_mov_b32 s22, 2
	v_cmp_ge_i32_e32 vcc_lo, v5, v3
	s_or_b32 s16, s16, vcc_lo
	s_and_b32 s16, exec_lo, s16
	s_or_b32 s19, s16, s19
	s_andn2_b32 exec_lo, exec_lo, s19
	s_cbranch_execz .LBB4_10615
.LBB4_10481:                            ;   Parent Loop BB4_47 Depth=1
                                        ; =>  This Loop Header: Depth=2
                                        ;       Child Loop BB4_10489 Depth 3
                                        ;       Child Loop BB4_10513 Depth 3
	;; [unrolled: 1-line block ×9, first 2 shown]
	s_and_saveexec_b32 s17, s4
	s_cbranch_execz .LBB4_10483
; %bb.10482:                            ;   in Loop: Header=BB4_10481 Depth=2
	s_trap 2
	ds_read_b128 v[8:11], v0
	v_ashrrev_i32_e32 v12, 31, v5
	s_waitcnt lgkmcnt(0)
	v_add_co_u32 v13, vcc_lo, v10, v1
	v_add_co_ci_u32_e64 v14, null, v11, v16, vcc_lo
	v_add_co_u32 v8, vcc_lo, v8, v1
	v_add_co_ci_u32_e64 v9, null, v9, v16, vcc_lo
	;; [unrolled: 2-line block ×3, first 2 shown]
	v_cmp_ne_u64_e32 vcc_lo, 0, v[10:11]
	v_add_co_u32 v8, s16, v8, v5
	v_add_co_ci_u32_e64 v9, null, v9, v12, s16
	v_cndmask_b32_e32 v11, 0, v14, vcc_lo
	v_cndmask_b32_e32 v10, 0, v13, vcc_lo
	ds_write_b64 v0, v[8:9]
	ds_write_b64 v0, v[10:11]
.LBB4_10483:                            ;   in Loop: Header=BB4_10481 Depth=2
	s_or_b32 exec_lo, exec_lo, s17
	v_and_b32_e32 v8, 4, v84
	s_mov_b32 s17, exec_lo
	v_cmpx_ne_u32_e32 0, v8
	s_cbranch_execz .LBB4_10505
; %bb.10484:                            ;   in Loop: Header=BB4_10481 Depth=2
	v_add_co_u32 v8, vcc_lo, v48, 2
	v_add_co_ci_u32_e64 v9, null, 0, v49, vcc_lo
	s_mov_b32 s23, exec_lo
	s_waitcnt vmcnt(0) lgkmcnt(1)
	v_cmpx_lt_u64_e64 v[32:33], v[8:9]
	s_cbranch_execz .LBB4_10496
; %bb.10485:                            ;   in Loop: Header=BB4_10481 Depth=2
	v_and_b32_e32 v10, 64, v84
	s_mov_b32 s61, 0
	s_mov_b32 s73, 0
                                        ; implicit-def: $sgpr62
                                        ; implicit-def: $sgpr63
                                        ; implicit-def: $sgpr72
	v_cmp_eq_u32_e32 vcc_lo, 0, v10
	s_branch .LBB4_10489
.LBB4_10486:                            ;   in Loop: Header=BB4_10489 Depth=3
	s_waitcnt vmcnt(0) lgkmcnt(0)
	v_cmp_ge_u64_e64 s16, v[32:33], v[8:9]
	s_or_b32 s76, s76, exec_lo
	s_orn2_b32 s75, s16, exec_lo
.LBB4_10487:                            ;   in Loop: Header=BB4_10489 Depth=3
	s_or_b32 exec_lo, exec_lo, s78
	s_andn2_b32 s16, s72, exec_lo
	s_and_b32 s72, s76, exec_lo
	s_andn2_b32 s63, s63, exec_lo
	s_and_b32 s75, s75, exec_lo
	s_or_b32 s72, s16, s72
	s_or_b32 s63, s63, s75
.LBB4_10488:                            ;   in Loop: Header=BB4_10489 Depth=3
	s_or_b32 exec_lo, exec_lo, s74
	s_and_b32 s16, exec_lo, s63
	s_or_b32 s61, s16, s61
	s_andn2_b32 s16, s62, exec_lo
	s_and_b32 s62, s72, exec_lo
	s_or_b32 s62, s16, s62
	s_andn2_b32 exec_lo, exec_lo, s61
	s_cbranch_execz .LBB4_10493
.LBB4_10489:                            ;   Parent Loop BB4_47 Depth=1
                                        ;     Parent Loop BB4_10481 Depth=2
                                        ; =>    This Inner Loop Header: Depth=3
	s_sleep 1
	s_waitcnt vmcnt(0) lgkmcnt(0)
	flat_load_dwordx2 v[32:33], v[22:23] glc dlc
	s_or_b32 s72, s72, exec_lo
	s_or_b32 s63, s63, exec_lo
                                        ; implicit-def: $vgpr10
	s_and_saveexec_b32 s74, vcc_lo
	s_cbranch_execz .LBB4_10488
; %bb.10490:                            ;   in Loop: Header=BB4_10489 Depth=3
	s_cmpk_lt_i32 s73, 0x270f
	s_mov_b32 s75, -1
	s_cselect_b32 s77, -1, 0
	s_cmpk_gt_i32 s73, 0x270e
	s_cbranch_scc0 .LBB4_10492
; %bb.10491:                            ;   in Loop: Header=BB4_10489 Depth=3
	s_trap 2
	ds_read_b64 v[10:11], v0
	s_andn2_b32 s73, s77, exec_lo
	s_mov_b32 s76, 0
	s_waitcnt vmcnt(0) lgkmcnt(0)
	s_waitcnt_vscnt null, 0x0
	flat_load_dword v10, v[10:11] glc dlc
	s_waitcnt vmcnt(0) lgkmcnt(0)
	buffer_gl1_inv
	buffer_gl0_inv
	v_cmp_eq_u32_e64 s16, 0, v10
	s_and_b32 s16, s16, exec_lo
	s_or_b32 s77, s73, s16
	s_mov_b32 s73, 0
	s_and_saveexec_b32 s78, s77
	s_cbranch_execz .LBB4_10487
	s_branch .LBB4_10486
.LBB4_10492:                            ;   in Loop: Header=BB4_10489 Depth=3
	s_add_i32 s73, s73, 1
	s_mov_b32 s76, -1
                                        ; implicit-def: $vgpr10
	s_and_saveexec_b32 s78, s77
	s_cbranch_execz .LBB4_10487
	s_branch .LBB4_10486
.LBB4_10493:                            ;   in Loop: Header=BB4_10481 Depth=2
	s_or_b32 exec_lo, exec_lo, s61
	s_xor_b32 s16, s62, -1
	s_and_saveexec_b32 s61, s16
	s_xor_b32 s16, exec_lo, s61
	s_cbranch_execz .LBB4_10495
; %bb.10494:                            ;   in Loop: Header=BB4_10481 Depth=2
	v_or_b32_e32 v84, 64, v84
	s_waitcnt vmcnt(0) lgkmcnt(0)
	s_waitcnt_vscnt null, 0x0
	ds_write_b32 v0, v10
	s_trap 2
.LBB4_10495:                            ;   in Loop: Header=BB4_10481 Depth=2
	s_or_b32 exec_lo, exec_lo, s16
.LBB4_10496:                            ;   in Loop: Header=BB4_10481 Depth=2
	s_or_b32 exec_lo, exec_lo, s23
	v_and_b32_e32 v10, 0x100, v84
	v_and_b32_e32 v14, 7, v48
	s_mov_b32 s16, -1
	;;#ASMSTART
	s_wakeup
	;;#ASMEND
	v_cmp_ne_u32_e32 vcc_lo, 0, v10
                                        ; implicit-def: $vgpr10_vgpr11
	s_and_saveexec_b32 s23, vcc_lo
	s_cbranch_execz .LBB4_10500
; %bb.10497:                            ;   in Loop: Header=BB4_10481 Depth=2
	v_mad_u64_u32 v[12:13], null, v14, 24, v[6:7]
	flat_load_dword v10, v[12:13]
	s_waitcnt vmcnt(0) lgkmcnt(0)
	v_cmp_eq_u32_e64 s16, 1, v10
	v_cmp_ne_u32_e32 vcc_lo, 1, v10
                                        ; implicit-def: $vgpr10_vgpr11
	s_and_saveexec_b32 s61, s16
	s_cbranch_execz .LBB4_10499
; %bb.10498:                            ;   in Loop: Header=BB4_10481 Depth=2
	flat_load_dword v10, v[12:13] offset:4 glc dlc
	s_waitcnt vmcnt(0) lgkmcnt(0)
	v_ashrrev_i32_e32 v11, 31, v10
.LBB4_10499:                            ;   in Loop: Header=BB4_10481 Depth=2
	s_or_b32 exec_lo, exec_lo, s61
	s_orn2_b32 s16, vcc_lo, exec_lo
.LBB4_10500:                            ;   in Loop: Header=BB4_10481 Depth=2
	s_or_b32 exec_lo, exec_lo, s23
	s_and_saveexec_b32 s23, s16
; %bb.10501:                            ;   in Loop: Header=BB4_10481 Depth=2
	v_mad_i64_i32 v[10:11], null, v14, v85, 0
; %bb.10502:                            ;   in Loop: Header=BB4_10481 Depth=2
	s_or_b32 exec_lo, exec_lo, s23
	v_add_co_u32 v10, vcc_lo, v24, v10
	v_and_b32_e32 v12, 0x2000, v84
	v_add_co_ci_u32_e64 v11, null, v25, v11, vcc_lo
	s_mov_b32 s16, exec_lo
	ds_write_b64 v0, v[10:11] offset:720
	v_cmpx_ne_u32_e32 0, v12
	s_cbranch_execz .LBB4_10504
; %bb.10503:                            ;   in Loop: Header=BB4_10481 Depth=2
	ds_read_b64 v[10:11], v0 offset:872
	s_waitcnt lgkmcnt(0)
	v_add_co_u32 v10, vcc_lo, v10, 1
	v_add_co_ci_u32_e64 v11, null, 0, v11, vcc_lo
	ds_write_b64 v0, v[10:11] offset:872
.LBB4_10504:                            ;   in Loop: Header=BB4_10481 Depth=2
	s_or_b32 exec_lo, exec_lo, s16
	v_mov_b32_e32 v49, v9
	v_mov_b32_e32 v48, v8
.LBB4_10505:                            ;   in Loop: Header=BB4_10481 Depth=2
	s_or_b32 exec_lo, exec_lo, s17
	s_and_saveexec_b32 s16, s6
	s_cbranch_execz .LBB4_10524
; %bb.10506:                            ;   in Loop: Header=BB4_10481 Depth=2
	s_and_saveexec_b32 s17, s29
	s_xor_b32 s17, exec_lo, s17
	s_cbranch_execz .LBB4_10521
; %bb.10507:                            ;   in Loop: Header=BB4_10481 Depth=2
	s_and_saveexec_b32 s23, s11
	s_cbranch_execz .LBB4_10520
; %bb.10508:                            ;   in Loop: Header=BB4_10481 Depth=2
	s_mov_b32 s62, exec_lo
	s_mov_b32 s61, exec_lo
	v_mbcnt_lo_u32_b32 v8, s62, 0
	s_waitcnt vmcnt(0) lgkmcnt(0)
	s_waitcnt_vscnt null, 0x0
	buffer_gl1_inv
	buffer_gl0_inv
	v_cmpx_eq_u32_e32 0, v8
	s_cbranch_execz .LBB4_10510
; %bb.10509:                            ;   in Loop: Header=BB4_10481 Depth=2
	s_bcnt1_i32_b32 s62, s62
	v_mov_b32_e32 v9, v2
	v_mov_b32_e32 v8, s62
	ds_add_u64 v0, v[8:9]
	s_trap 2
.LBB4_10510:                            ;   in Loop: Header=BB4_10481 Depth=2
	s_or_b32 exec_lo, exec_lo, s61
	s_trap 2
	ds_read_b64 v[8:9], v0
	s_waitcnt lgkmcnt(0)
	buffer_gl0_inv
	v_add_co_u32 v28, vcc_lo, v28, v87
	v_add_co_ci_u32_e64 v29, null, 0, v29, vcc_lo
	s_mov_b32 s61, exec_lo
	v_cmpx_lt_u64_e64 v[8:9], v[28:29]
	s_cbranch_execz .LBB4_10519
; %bb.10511:                            ;   in Loop: Header=BB4_10481 Depth=2
	s_mov_b32 s62, 0
	s_mov_b32 s73, 0
                                        ; implicit-def: $sgpr63
                                        ; implicit-def: $sgpr72
	s_inst_prefetch 0x1
	s_branch .LBB4_10513
	.p2align	6
.LBB4_10512:                            ;   in Loop: Header=BB4_10513 Depth=3
	s_or_b32 exec_lo, exec_lo, s75
	s_and_b32 s74, exec_lo, s76
	s_or_b32 s62, s74, s62
	s_andn2_b32 s63, s63, exec_lo
	s_and_b32 s74, s72, exec_lo
	s_or_b32 s63, s63, s74
	s_andn2_b32 exec_lo, exec_lo, s62
	s_cbranch_execz .LBB4_10517
.LBB4_10513:                            ;   Parent Loop BB4_47 Depth=1
                                        ;     Parent Loop BB4_10481 Depth=2
                                        ; =>    This Inner Loop Header: Depth=3
	s_add_i32 s73, s73, 1
	s_cmpk_lg_i32 s73, 0x2710
	s_cselect_b32 s74, -1, 0
	s_and_b32 vcc_lo, exec_lo, s74
	s_cbranch_vccz .LBB4_10515
; %bb.10514:                            ;   in Loop: Header=BB4_10513 Depth=3
	s_mov_b32 s76, -1
	s_or_b32 s72, s72, exec_lo
	s_and_saveexec_b32 s75, s74
	s_cbranch_execz .LBB4_10512
	s_branch .LBB4_10516
	.p2align	6
.LBB4_10515:                            ;   in Loop: Header=BB4_10513 Depth=3
	s_trap 2
	ds_read_b64 v[8:9], v0
	s_andn2_b32 s74, s74, exec_lo
	s_mov_b32 s73, 0
	s_waitcnt lgkmcnt(0)
	flat_load_dword v8, v[8:9] glc dlc
	s_waitcnt vmcnt(0) lgkmcnt(0)
	buffer_gl1_inv
	buffer_gl0_inv
	v_cmp_eq_u32_e32 vcc_lo, 0, v8
	s_and_b32 s75, vcc_lo, exec_lo
	s_or_b32 s74, s74, s75
	s_mov_b32 s76, -1
	s_or_b32 s72, s72, exec_lo
	s_and_saveexec_b32 s75, s74
	s_cbranch_execz .LBB4_10512
.LBB4_10516:                            ;   in Loop: Header=BB4_10513 Depth=3
	s_sleep 1
	s_trap 2
	ds_read_b64 v[8:9], v0
	s_waitcnt lgkmcnt(0)
	buffer_gl0_inv
	s_andn2_b32 s72, s72, exec_lo
	v_cmp_ge_u64_e32 vcc_lo, v[8:9], v[28:29]
	s_orn2_b32 s76, vcc_lo, exec_lo
	s_branch .LBB4_10512
.LBB4_10517:                            ;   in Loop: Header=BB4_10481 Depth=2
	s_inst_prefetch 0x2
	s_or_b32 exec_lo, exec_lo, s62
	s_and_saveexec_b32 s62, s63
	s_xor_b32 s62, exec_lo, s62
	s_cbranch_execz .LBB4_10519
; %bb.10518:                            ;   in Loop: Header=BB4_10481 Depth=2
	ds_write_b32 v0, v99
	s_trap 2
.LBB4_10519:                            ;   in Loop: Header=BB4_10481 Depth=2
	s_or_b32 exec_lo, exec_lo, s61
	;;#ASMSTART
	s_wakeup
	;;#ASMEND
.LBB4_10520:                            ;   in Loop: Header=BB4_10481 Depth=2
	s_or_b32 exec_lo, exec_lo, s23
.LBB4_10521:                            ;   in Loop: Header=BB4_10481 Depth=2
	s_andn2_saveexec_b32 s17, s17
	s_cbranch_execz .LBB4_10523
; %bb.10522:                            ;   in Loop: Header=BB4_10481 Depth=2
	s_waitcnt vmcnt(0) lgkmcnt(0)
	s_waitcnt_vscnt null, 0x0
	buffer_gl1_inv
	buffer_gl0_inv
	s_barrier
.LBB4_10523:                            ;   in Loop: Header=BB4_10481 Depth=2
	s_or_b32 exec_lo, exec_lo, s17
.LBB4_10524:                            ;   in Loop: Header=BB4_10481 Depth=2
	s_or_b32 exec_lo, exec_lo, s16
	s_trap 2
	ds_read_b32 v12, v0
	v_and_b32_e32 v8, 0x4000, v84
	s_xor_b32 s16, s5, -1
	v_cmp_ne_u32_e32 vcc_lo, 0, v8
	s_and_b32 s17, s16, vcc_lo
	s_and_saveexec_b32 s16, s17
	s_cbranch_execz .LBB4_10543
; %bb.10525:                            ;   in Loop: Header=BB4_10481 Depth=2
	s_and_saveexec_b32 s17, s29
	s_xor_b32 s17, exec_lo, s17
	s_cbranch_execz .LBB4_10540
; %bb.10526:                            ;   in Loop: Header=BB4_10481 Depth=2
	s_and_saveexec_b32 s23, s11
	s_cbranch_execz .LBB4_10539
; %bb.10527:                            ;   in Loop: Header=BB4_10481 Depth=2
	s_mov_b32 s62, exec_lo
	s_mov_b32 s61, exec_lo
	v_mbcnt_lo_u32_b32 v8, s62, 0
	s_waitcnt vmcnt(0) lgkmcnt(0)
	s_waitcnt_vscnt null, 0x0
	buffer_gl1_inv
	buffer_gl0_inv
	v_cmpx_eq_u32_e32 0, v8
	s_cbranch_execz .LBB4_10529
; %bb.10528:                            ;   in Loop: Header=BB4_10481 Depth=2
	s_bcnt1_i32_b32 s62, s62
	v_mov_b32_e32 v9, v2
	v_mov_b32_e32 v8, s62
	ds_add_u64 v0, v[8:9]
	s_trap 2
.LBB4_10529:                            ;   in Loop: Header=BB4_10481 Depth=2
	s_or_b32 exec_lo, exec_lo, s61
	s_trap 2
	ds_read_b64 v[8:9], v0
	s_waitcnt lgkmcnt(0)
	buffer_gl0_inv
	v_add_co_u32 v28, vcc_lo, v28, v87
	v_add_co_ci_u32_e64 v29, null, 0, v29, vcc_lo
	s_mov_b32 s61, exec_lo
	v_cmpx_lt_u64_e64 v[8:9], v[28:29]
	s_cbranch_execz .LBB4_10538
; %bb.10530:                            ;   in Loop: Header=BB4_10481 Depth=2
	s_mov_b32 s62, 0
	s_mov_b32 s73, 0
                                        ; implicit-def: $sgpr63
                                        ; implicit-def: $sgpr72
	s_inst_prefetch 0x1
	s_branch .LBB4_10532
	.p2align	6
.LBB4_10531:                            ;   in Loop: Header=BB4_10532 Depth=3
	s_or_b32 exec_lo, exec_lo, s75
	s_and_b32 s74, exec_lo, s76
	s_or_b32 s62, s74, s62
	s_andn2_b32 s63, s63, exec_lo
	s_and_b32 s74, s72, exec_lo
	s_or_b32 s63, s63, s74
	s_andn2_b32 exec_lo, exec_lo, s62
	s_cbranch_execz .LBB4_10536
.LBB4_10532:                            ;   Parent Loop BB4_47 Depth=1
                                        ;     Parent Loop BB4_10481 Depth=2
                                        ; =>    This Inner Loop Header: Depth=3
	s_add_i32 s73, s73, 1
	s_cmpk_lg_i32 s73, 0x2710
	s_cselect_b32 s74, -1, 0
	s_and_b32 vcc_lo, exec_lo, s74
	s_cbranch_vccz .LBB4_10534
; %bb.10533:                            ;   in Loop: Header=BB4_10532 Depth=3
	s_mov_b32 s76, -1
	s_or_b32 s72, s72, exec_lo
	s_and_saveexec_b32 s75, s74
	s_cbranch_execz .LBB4_10531
	s_branch .LBB4_10535
	.p2align	6
.LBB4_10534:                            ;   in Loop: Header=BB4_10532 Depth=3
	s_trap 2
	ds_read_b64 v[8:9], v0
	s_andn2_b32 s74, s74, exec_lo
	s_mov_b32 s73, 0
	s_waitcnt lgkmcnt(0)
	flat_load_dword v8, v[8:9] glc dlc
	s_waitcnt vmcnt(0) lgkmcnt(0)
	buffer_gl1_inv
	buffer_gl0_inv
	v_cmp_eq_u32_e32 vcc_lo, 0, v8
	s_and_b32 s75, vcc_lo, exec_lo
	s_or_b32 s74, s74, s75
	s_mov_b32 s76, -1
	s_or_b32 s72, s72, exec_lo
	s_and_saveexec_b32 s75, s74
	s_cbranch_execz .LBB4_10531
.LBB4_10535:                            ;   in Loop: Header=BB4_10532 Depth=3
	s_sleep 1
	s_trap 2
	ds_read_b64 v[8:9], v0
	s_waitcnt lgkmcnt(0)
	buffer_gl0_inv
	s_andn2_b32 s72, s72, exec_lo
	v_cmp_ge_u64_e32 vcc_lo, v[8:9], v[28:29]
	s_orn2_b32 s76, vcc_lo, exec_lo
	s_branch .LBB4_10531
.LBB4_10536:                            ;   in Loop: Header=BB4_10481 Depth=2
	s_inst_prefetch 0x2
	s_or_b32 exec_lo, exec_lo, s62
	s_and_saveexec_b32 s62, s63
	s_xor_b32 s62, exec_lo, s62
	s_cbranch_execz .LBB4_10538
; %bb.10537:                            ;   in Loop: Header=BB4_10481 Depth=2
	ds_write_b32 v0, v99
	s_trap 2
.LBB4_10538:                            ;   in Loop: Header=BB4_10481 Depth=2
	s_or_b32 exec_lo, exec_lo, s61
	;;#ASMSTART
	s_wakeup
	;;#ASMEND
.LBB4_10539:                            ;   in Loop: Header=BB4_10481 Depth=2
	s_or_b32 exec_lo, exec_lo, s23
.LBB4_10540:                            ;   in Loop: Header=BB4_10481 Depth=2
	s_andn2_saveexec_b32 s17, s17
	s_cbranch_execz .LBB4_10542
; %bb.10541:                            ;   in Loop: Header=BB4_10481 Depth=2
	s_waitcnt vmcnt(0) lgkmcnt(0)
	s_waitcnt_vscnt null, 0x0
	buffer_gl1_inv
	buffer_gl0_inv
	s_barrier
.LBB4_10542:                            ;   in Loop: Header=BB4_10481 Depth=2
	s_or_b32 exec_lo, exec_lo, s17
.LBB4_10543:                            ;   in Loop: Header=BB4_10481 Depth=2
	s_or_b32 exec_lo, exec_lo, s16
	s_trap 2
	ds_read_b64 v[8:9], v0
	v_sub_nc_u32_e32 v10, v3, v5
	v_min_i32_e32 v4, v4, v10
	s_waitcnt lgkmcnt(0)
	v_cmp_eq_u64_e32 vcc_lo, 0, v[8:9]
	s_cbranch_vccnz .LBB4_10551
; %bb.10544:                            ;   in Loop: Header=BB4_10481 Depth=2
	s_trap 2
	ds_read_b64 v[10:11], v0
	s_waitcnt lgkmcnt(0)
	v_cmp_eq_u64_e32 vcc_lo, 0, v[10:11]
	s_cbranch_vccnz .LBB4_10551
; %bb.10545:                            ;   in Loop: Header=BB4_10481 Depth=2
	s_mov_b32 s16, -1
	s_and_saveexec_b32 s17, s13
	s_cbranch_execz .LBB4_10547
; %bb.10546:                            ;   in Loop: Header=BB4_10481 Depth=2
	ds_read_b32 v13, v0 offset:720
	s_waitcnt lgkmcnt(0)
	v_and_b32_e32 v13, 15, v13
	v_cmp_eq_u32_e32 vcc_lo, 0, v13
	s_orn2_b32 s16, vcc_lo, exec_lo
.LBB4_10547:                            ;   in Loop: Header=BB4_10481 Depth=2
	s_or_b32 exec_lo, exec_lo, s17
	s_and_saveexec_b32 s17, s12
	s_cbranch_execz .LBB4_10549
; %bb.10548:                            ;   in Loop: Header=BB4_10481 Depth=2
	ds_read_b32 v13, v0 offset:784
	s_waitcnt lgkmcnt(0)
	v_and_b32_e32 v13, 15, v13
	v_cmp_eq_u32_e32 vcc_lo, 0, v13
	s_and_b32 s23, s16, vcc_lo
	s_andn2_b32 s16, s16, exec_lo
	s_and_b32 s23, s23, exec_lo
	s_or_b32 s16, s16, s23
.LBB4_10549:                            ;   in Loop: Header=BB4_10481 Depth=2
	s_or_b32 exec_lo, exec_lo, s17
	v_cmp_eq_u32_e32 vcc_lo, 0, v12
	s_xor_b32 s16, s16, -1
	v_mov_b32_e32 v12, 0
	v_cndmask_b32_e64 v13, 0, 1, s16
	v_mov_b32_e32 v14, v0
	v_cndmask_b32_e32 v17, 0, v4, vcc_lo
	s_mov_b32 s16, -1
	v_cmp_ne_u32_e32 vcc_lo, 0, v13
	v_mov_b32_e32 v13, v17
	s_cbranch_vccz .LBB4_10556
; %bb.10550:                            ;   in Loop: Header=BB4_10481 Depth=2
	s_and_saveexec_b32 s17, s16
	s_cbranch_execnz .LBB4_10567
	s_branch .LBB4_10575
.LBB4_10551:                            ;   in Loop: Header=BB4_10481 Depth=2
	s_mov_b32 s16, 0
	s_and_saveexec_b32 s17, s6
	s_cbranch_execnz .LBB4_10576
.LBB4_10552:                            ;   in Loop: Header=BB4_10481 Depth=2
	s_or_b32 exec_lo, exec_lo, s17
	s_and_saveexec_b32 s17, s15
	s_xor_b32 s17, exec_lo, s17
	s_cbranch_execz .LBB4_10594
.LBB4_10553:                            ;   in Loop: Header=BB4_10481 Depth=2
	v_and_b32_e32 v8, 16, v84
	v_cmp_ne_u32_e32 vcc_lo, 0, v8
	s_and_b32 s23, vcc_lo, s16
	s_and_saveexec_b32 s16, s23
	s_cbranch_execz .LBB4_10555
; %bb.10554:                            ;   in Loop: Header=BB4_10481 Depth=2
	s_waitcnt vmcnt(0) lgkmcnt(0)
	s_waitcnt_vscnt null, 0x0
	buffer_gl1_inv
	buffer_gl0_inv
.LBB4_10555:                            ;   in Loop: Header=BB4_10481 Depth=2
	s_or_b32 exec_lo, exec_lo, s16
	s_andn2_saveexec_b32 s16, s17
	s_cbranch_execz .LBB4_10613
	s_branch .LBB4_10595
.LBB4_10556:                            ;   in Loop: Header=BB4_10481 Depth=2
	v_ashrrev_i32_e32 v12, 31, v17
	s_mov_b32 s17, exec_lo
	v_lshrrev_b32_e32 v12, 21, v12
	v_add_nc_u32_e32 v12, v17, v12
	v_ashrrev_i32_e32 v19, 11, v12
	v_lshrrev_b32_e32 v12, 5, v0
	v_sub_nc_u32_e32 v18, v19, v12
	v_cmpx_lt_i32_e32 0, v18
	s_cbranch_execz .LBB4_10560
; %bb.10557:                            ;   in Loop: Header=BB4_10481 Depth=2
	v_mov_b32_e32 v13, v11
	v_mov_b32_e32 v15, v9
	;; [unrolled: 1-line block ×4, first 2 shown]
	s_mov_b32 s23, 0
	s_inst_prefetch 0x1
	.p2align	6
.LBB4_10558:                            ;   Parent Loop BB4_47 Depth=1
                                        ;     Parent Loop BB4_10481 Depth=2
                                        ; =>    This Inner Loop Header: Depth=3
	v_add_co_u32 v20, vcc_lo, v43, v14
	v_add_co_ci_u32_e64 v21, null, 0, v15, vcc_lo
	v_sub_nc_u32_e32 v18, v18, v87
	s_clause 0x3
	global_load_dwordx4 v[34:37], v[20:21], off slc
	global_load_dwordx4 v[50:53], v[20:21], off offset:512 slc
	global_load_dwordx4 v[64:67], v[20:21], off offset:1024 slc
	global_load_dwordx4 v[68:71], v[20:21], off offset:1536 slc
	v_add_co_u32 v20, vcc_lo, v43, v12
	v_add_co_ci_u32_e64 v21, null, 0, v13, vcc_lo
	v_add_co_u32 v14, vcc_lo, v14, v116
	v_add_co_ci_u32_e64 v15, null, 0, v15, vcc_lo
	v_add_co_u32 v12, vcc_lo, v12, v116
	v_cmp_gt_i32_e64 s16, 1, v18
	v_add_co_ci_u32_e64 v13, null, 0, v13, vcc_lo
	s_waitcnt vmcnt(3)
	global_store_dwordx4 v[20:21], v[34:37], off glc slc
	s_waitcnt vmcnt(2)
	global_store_dwordx4 v[20:21], v[50:53], off offset:512 glc slc
	s_waitcnt vmcnt(1)
	global_store_dwordx4 v[20:21], v[64:67], off offset:1024 glc slc
	;; [unrolled: 2-line block ×3, first 2 shown]
	s_or_b32 s23, s16, s23
	s_andn2_b32 exec_lo, exec_lo, s23
	s_cbranch_execnz .LBB4_10558
; %bb.10559:                            ;   in Loop: Header=BB4_10481 Depth=2
	s_inst_prefetch 0x2
	s_or_b32 exec_lo, exec_lo, s23
.LBB4_10560:                            ;   in Loop: Header=BB4_10481 Depth=2
	s_or_b32 exec_lo, exec_lo, s17
	v_lshlrev_b32_e32 v15, 11, v19
	v_mov_b32_e32 v12, 0
	s_mov_b32 s16, 0
	s_mov_b32 s23, exec_lo
                                        ; implicit-def: $vgpr13
                                        ; implicit-def: $vgpr14
	v_cmpx_ne_u32_e64 v17, v15
	s_cbranch_execz .LBB4_10566
; %bb.10561:                            ;   in Loop: Header=BB4_10481 Depth=2
	v_lshlrev_b32_e32 v12, 5, v18
	v_and_b32_e32 v13, 31, v0
	v_sub_nc_u32_e32 v18, v17, v15
	s_mov_b32 s61, exec_lo
	v_sub_nc_u32_e32 v12, v13, v12
	v_ashrrev_i32_e32 v14, 31, v18
	v_ashrrev_i32_e32 v13, 31, v12
	v_lshrrev_b32_e32 v14, 23, v14
	v_lshrrev_b32_e32 v13, 27, v13
	v_add_nc_u32_e32 v20, v18, v14
	v_add_nc_u32_e32 v13, v12, v13
	v_ashrrev_i32_e32 v30, 9, v20
	v_and_b32_e32 v19, 0xffffffe0, v13
	v_ashrrev_i32_e32 v21, 5, v13
	v_sub_nc_u32_e32 v14, v12, v19
	v_and_b32_e32 v12, 0xfffffe00, v20
	v_lshlrev_b32_e32 v19, 4, v14
	v_sub_nc_u32_e32 v13, v18, v12
	v_lshl_add_u32 v20, v21, 9, v19
	v_cmp_lt_i32_e32 vcc_lo, 15, v13
	v_sub_nc_u32_e32 v19, v18, v20
	v_add_co_ci_u32_e64 v30, null, 0, v30, vcc_lo
	v_sub_nc_u32_e32 v18, v30, v21
	v_cmpx_lt_i32_e32 15, v19
	s_cbranch_execz .LBB4_10565
; %bb.10562:                            ;   in Loop: Header=BB4_10481 Depth=2
	v_add_nc_u32_e32 v20, v20, v15
	s_mov_b32 s62, 0
	v_ashrrev_i32_e32 v21, 31, v20
	.p2align	6
.LBB4_10563:                            ;   Parent Loop BB4_47 Depth=1
                                        ;     Parent Loop BB4_10481 Depth=2
                                        ; =>    This Inner Loop Header: Depth=3
	v_add_co_u32 v30, s16, v8, v20
	v_add_co_ci_u32_e64 v31, null, v9, v21, s16
	v_sub_nc_u32_e32 v19, v19, v117
	v_sub_nc_u32_e32 v18, v18, v87
	global_load_dwordx4 v[34:37], v[30:31], off slc
	v_add_co_u32 v30, s16, v10, v20
	v_add_co_ci_u32_e64 v31, null, v11, v21, s16
	v_cmp_gt_i32_e64 s16, 16, v19
	v_add_co_u32 v20, s17, v20, v117
	v_add_co_ci_u32_e64 v21, null, 0, v21, s17
	s_or_b32 s62, s16, s62
	s_waitcnt vmcnt(0)
	global_store_dwordx4 v[30:31], v[34:37], off glc slc
	s_andn2_b32 exec_lo, exec_lo, s62
	s_cbranch_execnz .LBB4_10563
; %bb.10564:                            ;   in Loop: Header=BB4_10481 Depth=2
	s_or_b32 exec_lo, exec_lo, s62
.LBB4_10565:                            ;   in Loop: Header=BB4_10481 Depth=2
	s_or_b32 exec_lo, exec_lo, s61
	v_and_b32_e32 v19, 15, v17
	v_cmp_lt_i32_e64 s16, 0, v18
	v_sub_nc_u32_e32 v20, v13, v19
	v_cndmask_b32_e64 v21, 0, v87, s16
	v_cndmask_b32_e32 v13, v13, v19, vcc_lo
	v_cndmask_b32_e32 v19, 0, v20, vcc_lo
	v_sub_nc_u32_e32 v18, v21, v18
	v_cmp_ne_u32_e32 vcc_lo, 0, v13
	v_add3_u32 v12, v12, v15, v19
	v_lshl_add_u32 v14, v18, 5, v14
	s_and_b32 s16, vcc_lo, exec_lo
.LBB4_10566:                            ;   in Loop: Header=BB4_10481 Depth=2
	s_or_b32 exec_lo, exec_lo, s23
	s_and_saveexec_b32 s17, s16
	s_cbranch_execz .LBB4_10575
.LBB4_10567:                            ;   in Loop: Header=BB4_10481 Depth=2
	v_ashrrev_i32_e32 v15, 31, v14
	v_ashrrev_i32_e32 v18, 31, v13
	s_mov_b32 s16, exec_lo
	v_lshrrev_b32_e32 v15, 27, v15
	v_lshrrev_b32_e32 v18, 23, v18
	v_add_nc_u32_e32 v20, v14, v15
	v_add_nc_u32_e32 v18, v13, v18
	v_ashrrev_i32_e32 v15, 5, v20
	v_ashrrev_i32_e32 v19, 9, v18
	v_sub_nc_u32_e32 v18, v19, v15
	v_cmpx_lt_i32_e32 0, v18
	s_cbranch_execz .LBB4_10571
; %bb.10568:                            ;   in Loop: Header=BB4_10481 Depth=2
	v_and_b32_e32 v20, 0xffffffe0, v20
	v_lshlrev_b32_e32 v21, 9, v15
	s_mov_b32 s23, 0
	v_sub_nc_u32_e32 v20, v14, v20
	v_add3_u32 v20, v12, v20, v21
	v_ashrrev_i32_e32 v21, 31, v20
.LBB4_10569:                            ;   Parent Loop BB4_47 Depth=1
                                        ;     Parent Loop BB4_10481 Depth=2
                                        ; =>    This Inner Loop Header: Depth=3
	v_add_co_u32 v30, vcc_lo, v20, v8
	v_add_co_ci_u32_e64 v31, null, v21, v9, vcc_lo
	v_sub_nc_u32_e32 v18, v18, v87
	s_clause 0xf
	flat_load_ubyte v34, v[30:31] slc
	flat_load_ubyte v35, v[30:31] offset:32 slc
	flat_load_ubyte v36, v[30:31] offset:64 slc
	;; [unrolled: 1-line block ×15, first 2 shown]
	v_add_co_u32 v30, vcc_lo, v20, v10
	v_add_co_ci_u32_e64 v31, null, v21, v11, vcc_lo
	v_add_co_u32 v8, vcc_lo, v8, v117
	v_add_co_ci_u32_e64 v9, null, 0, v9, vcc_lo
	;; [unrolled: 2-line block ×3, first 2 shown]
	v_cmp_gt_i32_e32 vcc_lo, 1, v18
	s_waitcnt vmcnt(15) lgkmcnt(15)
	flat_store_byte v[30:31], v34 glc slc
	s_waitcnt vmcnt(14) lgkmcnt(15)
	flat_store_byte v[30:31], v35 offset:32 glc slc
	s_waitcnt vmcnt(13) lgkmcnt(15)
	flat_store_byte v[30:31], v36 offset:64 glc slc
	;; [unrolled: 2-line block ×15, first 2 shown]
	s_or_b32 s23, vcc_lo, s23
	s_andn2_b32 exec_lo, exec_lo, s23
	s_cbranch_execnz .LBB4_10569
; %bb.10570:                            ;   in Loop: Header=BB4_10481 Depth=2
	s_or_b32 exec_lo, exec_lo, s23
.LBB4_10571:                            ;   in Loop: Header=BB4_10481 Depth=2
	s_or_b32 exec_lo, exec_lo, s16
	v_lshlrev_b32_e32 v8, 9, v19
	v_cmp_ne_u32_e32 vcc_lo, v13, v8
	s_and_b32 exec_lo, exec_lo, vcc_lo
	s_cbranch_execz .LBB4_10575
; %bb.10572:                            ;   in Loop: Header=BB4_10481 Depth=2
	v_lshlrev_b32_e32 v9, 5, v15
	v_lshlrev_b32_e32 v10, 5, v18
	v_sub_nc_u32_e32 v9, v14, v9
	v_sub_nc_u32_e32 v9, v9, v10
	v_add_nc_u32_e32 v11, v8, v9
	v_sub_nc_u32_e32 v10, v13, v11
	v_cmp_lt_i32_e32 vcc_lo, 0, v10
	s_and_b32 exec_lo, exec_lo, vcc_lo
	s_cbranch_execz .LBB4_10575
; %bb.10573:                            ;   in Loop: Header=BB4_10481 Depth=2
	s_trap 2
	ds_read_b64 v[8:9], v0
	v_add_nc_u32_e32 v11, v11, v12
	s_mov_b32 s23, 0
	v_ashrrev_i32_e32 v12, 31, v11
	.p2align	6
.LBB4_10574:                            ;   Parent Loop BB4_47 Depth=1
                                        ;     Parent Loop BB4_10481 Depth=2
                                        ; =>    This Inner Loop Header: Depth=3
	s_waitcnt lgkmcnt(0)
	v_add_co_u32 v13, vcc_lo, v8, v11
	v_add_co_ci_u32_e64 v14, null, v9, v12, vcc_lo
	v_sub_nc_u32_e32 v10, v10, v98
	v_add_co_u32 v11, s16, v11, v98
	flat_load_ubyte v15, v[13:14] slc
	v_add_co_ci_u32_e64 v12, null, 0, v12, s16
	v_cmp_gt_i32_e32 vcc_lo, 1, v10
	s_or_b32 s23, vcc_lo, s23
	s_waitcnt vmcnt(0) lgkmcnt(0)
	flat_store_byte v[13:14], v15 glc slc
	s_andn2_b32 exec_lo, exec_lo, s23
	s_cbranch_execnz .LBB4_10574
.LBB4_10575:                            ;   in Loop: Header=BB4_10481 Depth=2
	s_or_b32 exec_lo, exec_lo, s17
	v_cmp_lt_i32_e64 s16, 0, v17
	s_and_saveexec_b32 s17, s6
	s_cbranch_execz .LBB4_10552
.LBB4_10576:                            ;   in Loop: Header=BB4_10481 Depth=2
	s_and_saveexec_b32 s23, s29
	s_xor_b32 s23, exec_lo, s23
	s_cbranch_execz .LBB4_10591
; %bb.10577:                            ;   in Loop: Header=BB4_10481 Depth=2
	s_and_saveexec_b32 s61, s11
	s_cbranch_execz .LBB4_10590
; %bb.10578:                            ;   in Loop: Header=BB4_10481 Depth=2
	s_mov_b32 s63, exec_lo
	s_mov_b32 s62, exec_lo
	v_mbcnt_lo_u32_b32 v8, s63, 0
	s_waitcnt vmcnt(0) lgkmcnt(0)
	s_waitcnt_vscnt null, 0x0
	buffer_gl1_inv
	buffer_gl0_inv
	v_cmpx_eq_u32_e32 0, v8
	s_cbranch_execz .LBB4_10580
; %bb.10579:                            ;   in Loop: Header=BB4_10481 Depth=2
	s_bcnt1_i32_b32 s63, s63
	v_mov_b32_e32 v9, v2
	v_mov_b32_e32 v8, s63
	ds_add_u64 v0, v[8:9]
	s_trap 2
.LBB4_10580:                            ;   in Loop: Header=BB4_10481 Depth=2
	s_or_b32 exec_lo, exec_lo, s62
	s_trap 2
	ds_read_b64 v[8:9], v0
	s_waitcnt lgkmcnt(0)
	buffer_gl0_inv
	v_add_co_u32 v28, vcc_lo, v28, v87
	v_add_co_ci_u32_e64 v29, null, 0, v29, vcc_lo
	s_mov_b32 s62, exec_lo
	v_cmpx_lt_u64_e64 v[8:9], v[28:29]
	s_cbranch_execz .LBB4_10589
; %bb.10581:                            ;   in Loop: Header=BB4_10481 Depth=2
	s_mov_b32 s63, 0
	s_mov_b32 s74, 0
                                        ; implicit-def: $sgpr72
                                        ; implicit-def: $sgpr73
	s_inst_prefetch 0x1
	s_branch .LBB4_10583
	.p2align	6
.LBB4_10582:                            ;   in Loop: Header=BB4_10583 Depth=3
	s_or_b32 exec_lo, exec_lo, s76
	s_and_b32 s75, exec_lo, s77
	s_or_b32 s63, s75, s63
	s_andn2_b32 s72, s72, exec_lo
	s_and_b32 s75, s73, exec_lo
	s_or_b32 s72, s72, s75
	s_andn2_b32 exec_lo, exec_lo, s63
	s_cbranch_execz .LBB4_10587
.LBB4_10583:                            ;   Parent Loop BB4_47 Depth=1
                                        ;     Parent Loop BB4_10481 Depth=2
                                        ; =>    This Inner Loop Header: Depth=3
	s_add_i32 s74, s74, 1
	s_cmpk_lg_i32 s74, 0x2710
	s_cselect_b32 s75, -1, 0
	s_and_b32 vcc_lo, exec_lo, s75
	s_cbranch_vccz .LBB4_10585
; %bb.10584:                            ;   in Loop: Header=BB4_10583 Depth=3
	s_mov_b32 s77, -1
	s_or_b32 s73, s73, exec_lo
	s_and_saveexec_b32 s76, s75
	s_cbranch_execz .LBB4_10582
	s_branch .LBB4_10586
	.p2align	6
.LBB4_10585:                            ;   in Loop: Header=BB4_10583 Depth=3
	s_trap 2
	ds_read_b64 v[8:9], v0
	s_andn2_b32 s75, s75, exec_lo
	s_mov_b32 s74, 0
	s_waitcnt lgkmcnt(0)
	flat_load_dword v8, v[8:9] glc dlc
	s_waitcnt vmcnt(0) lgkmcnt(0)
	buffer_gl1_inv
	buffer_gl0_inv
	v_cmp_eq_u32_e32 vcc_lo, 0, v8
	s_and_b32 s76, vcc_lo, exec_lo
	s_or_b32 s75, s75, s76
	s_mov_b32 s77, -1
	s_or_b32 s73, s73, exec_lo
	s_and_saveexec_b32 s76, s75
	s_cbranch_execz .LBB4_10582
.LBB4_10586:                            ;   in Loop: Header=BB4_10583 Depth=3
	s_sleep 1
	s_trap 2
	ds_read_b64 v[8:9], v0
	s_waitcnt lgkmcnt(0)
	buffer_gl0_inv
	s_andn2_b32 s73, s73, exec_lo
	v_cmp_ge_u64_e32 vcc_lo, v[8:9], v[28:29]
	s_orn2_b32 s77, vcc_lo, exec_lo
	s_branch .LBB4_10582
.LBB4_10587:                            ;   in Loop: Header=BB4_10481 Depth=2
	s_inst_prefetch 0x2
	s_or_b32 exec_lo, exec_lo, s63
	s_and_saveexec_b32 s63, s72
	s_xor_b32 s63, exec_lo, s63
	s_cbranch_execz .LBB4_10589
; %bb.10588:                            ;   in Loop: Header=BB4_10481 Depth=2
	ds_write_b32 v0, v99
	s_trap 2
.LBB4_10589:                            ;   in Loop: Header=BB4_10481 Depth=2
	s_or_b32 exec_lo, exec_lo, s62
	;;#ASMSTART
	s_wakeup
	;;#ASMEND
.LBB4_10590:                            ;   in Loop: Header=BB4_10481 Depth=2
	s_or_b32 exec_lo, exec_lo, s61
.LBB4_10591:                            ;   in Loop: Header=BB4_10481 Depth=2
	s_andn2_saveexec_b32 s23, s23
	s_cbranch_execz .LBB4_10593
; %bb.10592:                            ;   in Loop: Header=BB4_10481 Depth=2
	s_waitcnt vmcnt(0) lgkmcnt(0)
	s_waitcnt_vscnt null, 0x0
	buffer_gl1_inv
	buffer_gl0_inv
	s_barrier
.LBB4_10593:                            ;   in Loop: Header=BB4_10481 Depth=2
	s_or_b32 exec_lo, exec_lo, s23
	s_or_b32 exec_lo, exec_lo, s17
	s_and_saveexec_b32 s17, s15
	s_xor_b32 s17, exec_lo, s17
	s_cbranch_execnz .LBB4_10553
.LBB4_10594:                            ;   in Loop: Header=BB4_10481 Depth=2
	s_andn2_saveexec_b32 s16, s17
	s_cbranch_execz .LBB4_10613
.LBB4_10595:                            ;   in Loop: Header=BB4_10481 Depth=2
	s_and_saveexec_b32 s17, s29
	s_xor_b32 s17, exec_lo, s17
	s_cbranch_execz .LBB4_10610
; %bb.10596:                            ;   in Loop: Header=BB4_10481 Depth=2
	s_and_saveexec_b32 s23, s11
	s_cbranch_execz .LBB4_10609
; %bb.10597:                            ;   in Loop: Header=BB4_10481 Depth=2
	s_mov_b32 s62, exec_lo
	s_mov_b32 s61, exec_lo
	v_mbcnt_lo_u32_b32 v8, s62, 0
	;;#ASMSTART
	s_waitcnt lgkmcnt(0) vmcnt(0)
	;;#ASMEND
	v_cmpx_eq_u32_e32 0, v8
	s_cbranch_execz .LBB4_10599
; %bb.10598:                            ;   in Loop: Header=BB4_10481 Depth=2
	s_bcnt1_i32_b32 s62, s62
	v_mov_b32_e32 v9, v2
	v_mov_b32_e32 v8, s62
	s_waitcnt vmcnt(0) lgkmcnt(0)
	s_waitcnt_vscnt null, 0x0
	ds_add_u64 v0, v[8:9]
	s_trap 2
.LBB4_10599:                            ;   in Loop: Header=BB4_10481 Depth=2
	s_or_b32 exec_lo, exec_lo, s61
	s_trap 2
	ds_read_b64 v[8:9], v0
	s_waitcnt vmcnt(0) lgkmcnt(0)
	buffer_gl0_inv
	v_add_co_u32 v28, vcc_lo, v28, v87
	v_add_co_ci_u32_e64 v29, null, 0, v29, vcc_lo
	s_mov_b32 s61, exec_lo
	v_cmpx_lt_u64_e64 v[8:9], v[28:29]
	s_cbranch_execz .LBB4_10608
; %bb.10600:                            ;   in Loop: Header=BB4_10481 Depth=2
	s_mov_b32 s62, 0
	s_mov_b32 s73, 0
                                        ; implicit-def: $sgpr63
                                        ; implicit-def: $sgpr72
	s_inst_prefetch 0x1
	s_branch .LBB4_10602
	.p2align	6
.LBB4_10601:                            ;   in Loop: Header=BB4_10602 Depth=3
	s_or_b32 exec_lo, exec_lo, s75
	s_and_b32 s74, exec_lo, s76
	s_or_b32 s62, s74, s62
	s_andn2_b32 s63, s63, exec_lo
	s_and_b32 s74, s72, exec_lo
	s_or_b32 s63, s63, s74
	s_andn2_b32 exec_lo, exec_lo, s62
	s_cbranch_execz .LBB4_10606
.LBB4_10602:                            ;   Parent Loop BB4_47 Depth=1
                                        ;     Parent Loop BB4_10481 Depth=2
                                        ; =>    This Inner Loop Header: Depth=3
	s_add_i32 s73, s73, 1
	s_cmpk_lg_i32 s73, 0x2710
	s_cselect_b32 s74, -1, 0
	s_and_b32 vcc_lo, exec_lo, s74
	s_cbranch_vccz .LBB4_10604
; %bb.10603:                            ;   in Loop: Header=BB4_10602 Depth=3
	s_mov_b32 s76, -1
	s_or_b32 s72, s72, exec_lo
	s_and_saveexec_b32 s75, s74
	s_cbranch_execz .LBB4_10601
	s_branch .LBB4_10605
	.p2align	6
.LBB4_10604:                            ;   in Loop: Header=BB4_10602 Depth=3
	s_trap 2
	ds_read_b64 v[8:9], v0
	s_andn2_b32 s74, s74, exec_lo
	s_mov_b32 s73, 0
	s_waitcnt lgkmcnt(0)
	s_waitcnt_vscnt null, 0x0
	flat_load_dword v8, v[8:9] glc dlc
	s_waitcnt vmcnt(0) lgkmcnt(0)
	buffer_gl1_inv
	buffer_gl0_inv
	v_cmp_eq_u32_e32 vcc_lo, 0, v8
	s_and_b32 s75, vcc_lo, exec_lo
	s_or_b32 s74, s74, s75
	s_mov_b32 s76, -1
	s_or_b32 s72, s72, exec_lo
	s_and_saveexec_b32 s75, s74
	s_cbranch_execz .LBB4_10601
.LBB4_10605:                            ;   in Loop: Header=BB4_10602 Depth=3
	s_sleep 1
	s_trap 2
	ds_read_b64 v[8:9], v0
	s_waitcnt lgkmcnt(0)
	buffer_gl0_inv
	s_andn2_b32 s72, s72, exec_lo
	v_cmp_ge_u64_e32 vcc_lo, v[8:9], v[28:29]
	s_orn2_b32 s76, vcc_lo, exec_lo
	s_branch .LBB4_10601
.LBB4_10606:                            ;   in Loop: Header=BB4_10481 Depth=2
	s_inst_prefetch 0x2
	s_or_b32 exec_lo, exec_lo, s62
	s_and_saveexec_b32 s62, s63
	s_xor_b32 s62, exec_lo, s62
	s_cbranch_execz .LBB4_10608
; %bb.10607:                            ;   in Loop: Header=BB4_10481 Depth=2
	ds_write_b32 v0, v99
	s_trap 2
.LBB4_10608:                            ;   in Loop: Header=BB4_10481 Depth=2
	s_or_b32 exec_lo, exec_lo, s61
	;;#ASMSTART
	s_wakeup
	;;#ASMEND
.LBB4_10609:                            ;   in Loop: Header=BB4_10481 Depth=2
	s_or_b32 exec_lo, exec_lo, s23
.LBB4_10610:                            ;   in Loop: Header=BB4_10481 Depth=2
	s_andn2_saveexec_b32 s17, s17
	s_cbranch_execz .LBB4_10612
; %bb.10611:                            ;   in Loop: Header=BB4_10481 Depth=2
	;;#ASMSTART
	s_waitcnt lgkmcnt(0) vmcnt(0)
	;;#ASMEND
	s_barrier
.LBB4_10612:                            ;   in Loop: Header=BB4_10481 Depth=2
	s_or_b32 exec_lo, exec_lo, s17
.LBB4_10613:                            ;   in Loop: Header=BB4_10481 Depth=2
	s_or_b32 exec_lo, exec_lo, s16
	v_and_b32_e32 v8, 32, v84
	s_mov_b32 s16, exec_lo
	v_cmpx_ne_u32_e32 0, v8
	s_cbranch_execz .LBB4_10480
; %bb.10614:                            ;   in Loop: Header=BB4_10481 Depth=2
	v_add_co_u32 v48, vcc_lo, v48, 2
	v_add_co_ci_u32_e64 v49, null, 0, v49, vcc_lo
	s_waitcnt vmcnt(0) lgkmcnt(0)
	s_waitcnt_vscnt null, 0x0
	flat_store_dwordx2 v[22:23], v[48:49]
	s_branch .LBB4_10480
.LBB4_10615:                            ;   in Loop: Header=BB4_47 Depth=1
	s_or_b32 exec_lo, exec_lo, s19
.LBB4_10616:                            ;   in Loop: Header=BB4_47 Depth=1
	s_or_b32 exec_lo, exec_lo, s18
	v_cmp_gt_i32_e32 vcc_lo, 2, v10
	s_mov_b32 s17, exec_lo
	s_clause 0x7
	buffer_load_dword v11, off, s[0:3], s33 offset:228
	buffer_load_dword v12, off, s[0:3], s33 offset:232
	;; [unrolled: 1-line block ×8, first 2 shown]
	s_and_b32 s16, s17, vcc_lo
	s_waitcnt vmcnt(6)
	v_mov_b32_e32 v20, v12
	v_mov_b32_e32 v19, v11
	s_mov_b32 exec_lo, s16
	s_cbranch_execnz .LBB4_10617
; %bb.10749:                            ;   in Loop: Header=BB4_47 Depth=1
	s_getpc_b64 s[34:35]
.Lpost_getpc18:
	s_add_u32 s34, s34, (.LBB4_46-.Lpost_getpc18)&4294967295
	s_addc_u32 s35, s35, (.LBB4_46-.Lpost_getpc18)>>32
	s_setpc_b64 s[34:35]
.LBB4_10617:                            ;   in Loop: Header=BB4_47 Depth=1
	v_cmp_eq_u32_e64 s19, 0, v10
	s_mov_b32 s18, 0
	s_branch .LBB4_10619
.LBB4_10618:                            ;   in Loop: Header=BB4_10619 Depth=2
	s_or_b32 exec_lo, exec_lo, s16
	v_add_nc_u32_e32 v5, v4, v5
	s_mov_b32 s19, 0
	s_andn2_b32 exec_lo, exec_lo, s18
	s_cbranch_execnz .LBB4_10619
; %bb.10751:                            ;   in Loop: Header=BB4_47 Depth=1
	s_getpc_b64 s[34:35]
.Lpost_getpc19:
	s_add_u32 s34, s34, (.LBB4_45-.Lpost_getpc19)&4294967295
	s_addc_u32 s35, s35, (.LBB4_45-.Lpost_getpc19)>>32
	s_setpc_b64 s[34:35]
.LBB4_10619:                            ;   Parent Loop BB4_47 Depth=1
                                        ; =>  This Loop Header: Depth=2
                                        ;       Child Loop BB4_10625 Depth 3
                                        ;       Child Loop BB4_10649 Depth 3
	;; [unrolled: 1-line block ×3, first 2 shown]
	v_and_b32_e32 v1, 4, v84
	s_mov_b32 s21, exec_lo
	v_cmpx_ne_u32_e32 0, v1
	s_cbranch_execz .LBB4_10641
; %bb.10620:                            ;   in Loop: Header=BB4_10619 Depth=2
	v_add_co_u32 v8, vcc_lo, v48, 2
	v_add_co_ci_u32_e64 v9, null, 0, v49, vcc_lo
	s_mov_b32 s22, exec_lo
	s_waitcnt vmcnt(0) lgkmcnt(1)
	v_cmpx_lt_u64_e64 v[32:33], v[8:9]
	s_cbranch_execz .LBB4_10632
; %bb.10621:                            ;   in Loop: Header=BB4_10619 Depth=2
	v_and_b32_e32 v1, 64, v84
	s_mov_b32 s23, 0
	s_mov_b32 s72, 0
                                        ; implicit-def: $sgpr61
                                        ; implicit-def: $sgpr62
                                        ; implicit-def: $sgpr63
	v_cmp_eq_u32_e32 vcc_lo, 0, v1
	s_branch .LBB4_10625
.LBB4_10622:                            ;   in Loop: Header=BB4_10625 Depth=3
	s_waitcnt vmcnt(0) lgkmcnt(0)
	v_cmp_ge_u64_e64 s16, v[32:33], v[8:9]
	s_or_b32 s75, s75, exec_lo
	s_orn2_b32 s74, s16, exec_lo
.LBB4_10623:                            ;   in Loop: Header=BB4_10625 Depth=3
	s_or_b32 exec_lo, exec_lo, s77
	s_andn2_b32 s16, s63, exec_lo
	s_and_b32 s63, s75, exec_lo
	s_andn2_b32 s62, s62, exec_lo
	s_and_b32 s74, s74, exec_lo
	s_or_b32 s63, s16, s63
	s_or_b32 s62, s62, s74
.LBB4_10624:                            ;   in Loop: Header=BB4_10625 Depth=3
	s_or_b32 exec_lo, exec_lo, s73
	s_and_b32 s16, exec_lo, s62
	s_or_b32 s23, s16, s23
	s_andn2_b32 s16, s61, exec_lo
	s_and_b32 s61, s63, exec_lo
	s_or_b32 s61, s16, s61
	s_andn2_b32 exec_lo, exec_lo, s23
	s_cbranch_execz .LBB4_10629
.LBB4_10625:                            ;   Parent Loop BB4_47 Depth=1
                                        ;     Parent Loop BB4_10619 Depth=2
                                        ; =>    This Inner Loop Header: Depth=3
	s_sleep 1
	s_waitcnt vmcnt(0) lgkmcnt(0)
	flat_load_dwordx2 v[32:33], v[22:23] glc dlc
	s_or_b32 s63, s63, exec_lo
	s_or_b32 s62, s62, exec_lo
                                        ; implicit-def: $vgpr1
	s_and_saveexec_b32 s73, vcc_lo
	s_cbranch_execz .LBB4_10624
; %bb.10626:                            ;   in Loop: Header=BB4_10625 Depth=3
	s_cmpk_lt_i32 s72, 0x270f
	s_mov_b32 s74, -1
	s_cselect_b32 s76, -1, 0
	s_cmpk_gt_i32 s72, 0x270e
	s_cbranch_scc0 .LBB4_10628
; %bb.10627:                            ;   in Loop: Header=BB4_10625 Depth=3
	s_trap 2
	ds_read_b64 v[10:11], v0
	s_andn2_b32 s72, s76, exec_lo
	s_mov_b32 s75, 0
	s_waitcnt vmcnt(0) lgkmcnt(0)
	s_waitcnt_vscnt null, 0x0
	flat_load_dword v1, v[10:11] glc dlc
	s_waitcnt vmcnt(0) lgkmcnt(0)
	buffer_gl1_inv
	buffer_gl0_inv
	v_cmp_eq_u32_e64 s16, 0, v1
	s_and_b32 s16, s16, exec_lo
	s_or_b32 s76, s72, s16
	s_mov_b32 s72, 0
	s_and_saveexec_b32 s77, s76
	s_cbranch_execz .LBB4_10623
	s_branch .LBB4_10622
.LBB4_10628:                            ;   in Loop: Header=BB4_10625 Depth=3
	s_add_i32 s72, s72, 1
	s_mov_b32 s75, -1
                                        ; implicit-def: $vgpr1
	s_and_saveexec_b32 s77, s76
	s_cbranch_execz .LBB4_10623
	s_branch .LBB4_10622
.LBB4_10629:                            ;   in Loop: Header=BB4_10619 Depth=2
	s_or_b32 exec_lo, exec_lo, s23
	s_xor_b32 s16, s61, -1
	s_and_saveexec_b32 s23, s16
	s_xor_b32 s16, exec_lo, s23
	s_cbranch_execz .LBB4_10631
; %bb.10630:                            ;   in Loop: Header=BB4_10619 Depth=2
	v_or_b32_e32 v84, 64, v84
	s_waitcnt vmcnt(0) lgkmcnt(0)
	s_waitcnt_vscnt null, 0x0
	ds_write_b32 v0, v1
	s_trap 2
.LBB4_10631:                            ;   in Loop: Header=BB4_10619 Depth=2
	s_or_b32 exec_lo, exec_lo, s16
.LBB4_10632:                            ;   in Loop: Header=BB4_10619 Depth=2
	s_or_b32 exec_lo, exec_lo, s22
	v_and_b32_e32 v1, 0x100, v84
	s_mov_b32 s16, -1
	;;#ASMSTART
	s_wakeup
	;;#ASMEND
                                        ; implicit-def: $vgpr10_vgpr11
	v_cmp_ne_u32_e32 vcc_lo, 0, v1
	v_and_b32_e32 v1, 7, v48
	s_and_saveexec_b32 s22, vcc_lo
	s_cbranch_execz .LBB4_10636
; %bb.10633:                            ;   in Loop: Header=BB4_10619 Depth=2
	s_waitcnt vmcnt(5)
	v_mad_u64_u32 v[12:13], null, v1, 24, v[6:7]
	flat_load_dword v10, v[12:13]
	s_waitcnt vmcnt(0) lgkmcnt(0)
	v_cmp_eq_u32_e64 s16, 1, v10
	v_cmp_ne_u32_e32 vcc_lo, 1, v10
                                        ; implicit-def: $vgpr10_vgpr11
	s_and_saveexec_b32 s23, s16
	s_cbranch_execz .LBB4_10635
; %bb.10634:                            ;   in Loop: Header=BB4_10619 Depth=2
	flat_load_dword v10, v[12:13] offset:4 glc dlc
	s_waitcnt vmcnt(0) lgkmcnt(0)
	v_ashrrev_i32_e32 v11, 31, v10
.LBB4_10635:                            ;   in Loop: Header=BB4_10619 Depth=2
	s_or_b32 exec_lo, exec_lo, s23
	s_orn2_b32 s16, vcc_lo, exec_lo
.LBB4_10636:                            ;   in Loop: Header=BB4_10619 Depth=2
	s_or_b32 exec_lo, exec_lo, s22
	s_and_saveexec_b32 s22, s16
; %bb.10637:                            ;   in Loop: Header=BB4_10619 Depth=2
	v_mad_i64_i32 v[10:11], null, v1, v85, 0
; %bb.10638:                            ;   in Loop: Header=BB4_10619 Depth=2
	s_or_b32 exec_lo, exec_lo, s22
	v_add_co_u32 v10, vcc_lo, v24, v10
	v_and_b32_e32 v1, 0x2000, v84
	v_add_co_ci_u32_e64 v11, null, v25, v11, vcc_lo
	s_mov_b32 s16, exec_lo
	ds_write_b64 v0, v[10:11] offset:720
	v_cmpx_ne_u32_e32 0, v1
	s_cbranch_execz .LBB4_10640
; %bb.10639:                            ;   in Loop: Header=BB4_10619 Depth=2
	ds_read_b64 v[10:11], v0 offset:872
	s_waitcnt lgkmcnt(0)
	v_add_co_u32 v10, vcc_lo, v10, 1
	v_add_co_ci_u32_e64 v11, null, 0, v11, vcc_lo
	ds_write_b64 v0, v[10:11] offset:872
.LBB4_10640:                            ;   in Loop: Header=BB4_10619 Depth=2
	s_or_b32 exec_lo, exec_lo, s16
	v_mov_b32_e32 v49, v9
	v_mov_b32_e32 v48, v8
.LBB4_10641:                            ;   in Loop: Header=BB4_10619 Depth=2
	s_or_b32 exec_lo, exec_lo, s21
	s_xor_b32 s16, s19, -1
	s_and_b32 s16, exec_lo, s16
	s_or_b32 s18, s16, s18
	s_and_saveexec_b32 s16, s6
	s_cbranch_execz .LBB4_10660
; %bb.10642:                            ;   in Loop: Header=BB4_10619 Depth=2
	s_and_saveexec_b32 s19, s29
	s_xor_b32 s19, exec_lo, s19
	s_cbranch_execz .LBB4_10657
; %bb.10643:                            ;   in Loop: Header=BB4_10619 Depth=2
	s_and_saveexec_b32 s21, s11
	s_cbranch_execz .LBB4_10656
; %bb.10644:                            ;   in Loop: Header=BB4_10619 Depth=2
	s_mov_b32 s23, exec_lo
	s_mov_b32 s22, exec_lo
	v_mbcnt_lo_u32_b32 v1, s23, 0
	s_waitcnt vmcnt(0) lgkmcnt(0)
	s_waitcnt_vscnt null, 0x0
	buffer_gl1_inv
	buffer_gl0_inv
	v_cmpx_eq_u32_e32 0, v1
	s_cbranch_execz .LBB4_10646
; %bb.10645:                            ;   in Loop: Header=BB4_10619 Depth=2
	s_bcnt1_i32_b32 s23, s23
	v_mov_b32_e32 v9, v2
	v_mov_b32_e32 v8, s23
	ds_add_u64 v0, v[8:9]
	s_trap 2
.LBB4_10646:                            ;   in Loop: Header=BB4_10619 Depth=2
	s_or_b32 exec_lo, exec_lo, s22
	s_trap 2
	ds_read_b64 v[8:9], v0
	s_waitcnt lgkmcnt(0)
	buffer_gl0_inv
	v_add_co_u32 v28, vcc_lo, v28, v87
	v_add_co_ci_u32_e64 v29, null, 0, v29, vcc_lo
	s_mov_b32 s22, exec_lo
	v_cmpx_lt_u64_e64 v[8:9], v[28:29]
	s_cbranch_execz .LBB4_10655
; %bb.10647:                            ;   in Loop: Header=BB4_10619 Depth=2
	s_mov_b32 s23, 0
	s_mov_b32 s63, 0
                                        ; implicit-def: $sgpr61
                                        ; implicit-def: $sgpr62
	s_inst_prefetch 0x1
	s_branch .LBB4_10649
	.p2align	6
.LBB4_10648:                            ;   in Loop: Header=BB4_10649 Depth=3
	s_or_b32 exec_lo, exec_lo, s73
	s_and_b32 s72, exec_lo, s74
	s_or_b32 s23, s72, s23
	s_andn2_b32 s61, s61, exec_lo
	s_and_b32 s72, s62, exec_lo
	s_or_b32 s61, s61, s72
	s_andn2_b32 exec_lo, exec_lo, s23
	s_cbranch_execz .LBB4_10653
.LBB4_10649:                            ;   Parent Loop BB4_47 Depth=1
                                        ;     Parent Loop BB4_10619 Depth=2
                                        ; =>    This Inner Loop Header: Depth=3
	s_add_i32 s63, s63, 1
	s_cmpk_lg_i32 s63, 0x2710
	s_cselect_b32 s72, -1, 0
	s_and_b32 vcc_lo, exec_lo, s72
	s_cbranch_vccz .LBB4_10651
; %bb.10650:                            ;   in Loop: Header=BB4_10649 Depth=3
	s_mov_b32 s74, -1
	s_or_b32 s62, s62, exec_lo
	s_and_saveexec_b32 s73, s72
	s_cbranch_execz .LBB4_10648
	s_branch .LBB4_10652
	.p2align	6
.LBB4_10651:                            ;   in Loop: Header=BB4_10649 Depth=3
	s_trap 2
	ds_read_b64 v[8:9], v0
	s_andn2_b32 s72, s72, exec_lo
	s_mov_b32 s63, 0
	s_waitcnt lgkmcnt(0)
	flat_load_dword v1, v[8:9] glc dlc
	s_waitcnt vmcnt(0) lgkmcnt(0)
	buffer_gl1_inv
	buffer_gl0_inv
	v_cmp_eq_u32_e32 vcc_lo, 0, v1
	s_and_b32 s73, vcc_lo, exec_lo
	s_or_b32 s72, s72, s73
	s_mov_b32 s74, -1
	s_or_b32 s62, s62, exec_lo
	s_and_saveexec_b32 s73, s72
	s_cbranch_execz .LBB4_10648
.LBB4_10652:                            ;   in Loop: Header=BB4_10649 Depth=3
	s_sleep 1
	s_trap 2
	ds_read_b64 v[8:9], v0
	s_waitcnt lgkmcnt(0)
	buffer_gl0_inv
	s_andn2_b32 s62, s62, exec_lo
	v_cmp_ge_u64_e32 vcc_lo, v[8:9], v[28:29]
	s_orn2_b32 s74, vcc_lo, exec_lo
	s_branch .LBB4_10648
.LBB4_10653:                            ;   in Loop: Header=BB4_10619 Depth=2
	s_inst_prefetch 0x2
	s_or_b32 exec_lo, exec_lo, s23
	s_and_saveexec_b32 s23, s61
	s_xor_b32 s23, exec_lo, s23
	s_cbranch_execz .LBB4_10655
; %bb.10654:                            ;   in Loop: Header=BB4_10619 Depth=2
	ds_write_b32 v0, v99
	s_trap 2
.LBB4_10655:                            ;   in Loop: Header=BB4_10619 Depth=2
	s_or_b32 exec_lo, exec_lo, s22
	;;#ASMSTART
	s_wakeup
	;;#ASMEND
.LBB4_10656:                            ;   in Loop: Header=BB4_10619 Depth=2
	s_or_b32 exec_lo, exec_lo, s21
.LBB4_10657:                            ;   in Loop: Header=BB4_10619 Depth=2
	s_andn2_saveexec_b32 s19, s19
	s_cbranch_execz .LBB4_10659
; %bb.10658:                            ;   in Loop: Header=BB4_10619 Depth=2
	s_waitcnt vmcnt(0) lgkmcnt(0)
	s_waitcnt_vscnt null, 0x0
	buffer_gl1_inv
	buffer_gl0_inv
	s_barrier
.LBB4_10659:                            ;   in Loop: Header=BB4_10619 Depth=2
	s_or_b32 exec_lo, exec_lo, s19
.LBB4_10660:                            ;   in Loop: Header=BB4_10619 Depth=2
	s_or_b32 exec_lo, exec_lo, s16
	v_sub_nc_u32_e32 v1, v3, v5
	v_min_i32_e32 v4, v4, v1
	s_and_saveexec_b32 s16, s15
	s_xor_b32 s19, exec_lo, s16
	s_cbranch_execz .LBB4_10664
; %bb.10661:                            ;   in Loop: Header=BB4_10619 Depth=2
	s_trap 2
	ds_read_b32 v1, v0
	v_cmp_lt_i32_e32 vcc_lo, 0, v4
	s_waitcnt lgkmcnt(0)
	v_readfirstlane_b32 s16, v1
	v_and_b32_e32 v1, 16, v84
	s_cmp_eq_u32 s16, 0
	v_cmp_ne_u32_e64 s16, 0, v1
	s_cselect_b32 s21, -1, 0
	s_and_b32 s21, vcc_lo, s21
	s_and_b32 s21, s16, s21
	s_and_saveexec_b32 s16, s21
	s_cbranch_execz .LBB4_10663
; %bb.10662:                            ;   in Loop: Header=BB4_10619 Depth=2
	s_waitcnt vmcnt(0)
	s_waitcnt_vscnt null, 0x0
	buffer_gl1_inv
	buffer_gl0_inv
.LBB4_10663:                            ;   in Loop: Header=BB4_10619 Depth=2
	s_or_b32 exec_lo, exec_lo, s16
.LBB4_10664:                            ;   in Loop: Header=BB4_10619 Depth=2
	s_andn2_saveexec_b32 s16, s19
	s_cbranch_execz .LBB4_10683
; %bb.10665:                            ;   in Loop: Header=BB4_10619 Depth=2
	s_and_saveexec_b32 s19, s29
	s_xor_b32 s19, exec_lo, s19
	s_cbranch_execz .LBB4_10680
; %bb.10666:                            ;   in Loop: Header=BB4_10619 Depth=2
	s_and_saveexec_b32 s21, s11
	s_cbranch_execz .LBB4_10679
; %bb.10667:                            ;   in Loop: Header=BB4_10619 Depth=2
	s_mov_b32 s23, exec_lo
	s_mov_b32 s22, exec_lo
	v_mbcnt_lo_u32_b32 v1, s23, 0
	;;#ASMSTART
	s_waitcnt lgkmcnt(0) vmcnt(0)
	;;#ASMEND
	v_cmpx_eq_u32_e32 0, v1
	s_cbranch_execz .LBB4_10669
; %bb.10668:                            ;   in Loop: Header=BB4_10619 Depth=2
	s_bcnt1_i32_b32 s23, s23
	v_mov_b32_e32 v9, v2
	v_mov_b32_e32 v8, s23
	s_waitcnt vmcnt(0) lgkmcnt(0)
	s_waitcnt_vscnt null, 0x0
	ds_add_u64 v0, v[8:9]
	s_trap 2
.LBB4_10669:                            ;   in Loop: Header=BB4_10619 Depth=2
	s_or_b32 exec_lo, exec_lo, s22
	s_trap 2
	ds_read_b64 v[8:9], v0
	s_waitcnt vmcnt(0) lgkmcnt(0)
	buffer_gl0_inv
	v_add_co_u32 v28, vcc_lo, v28, v87
	v_add_co_ci_u32_e64 v29, null, 0, v29, vcc_lo
	s_mov_b32 s22, exec_lo
	v_cmpx_lt_u64_e64 v[8:9], v[28:29]
	s_cbranch_execz .LBB4_10678
; %bb.10670:                            ;   in Loop: Header=BB4_10619 Depth=2
	s_mov_b32 s23, 0
	s_mov_b32 s63, 0
                                        ; implicit-def: $sgpr61
                                        ; implicit-def: $sgpr62
	s_inst_prefetch 0x1
	s_branch .LBB4_10672
	.p2align	6
.LBB4_10671:                            ;   in Loop: Header=BB4_10672 Depth=3
	s_or_b32 exec_lo, exec_lo, s73
	s_and_b32 s72, exec_lo, s74
	s_or_b32 s23, s72, s23
	s_andn2_b32 s61, s61, exec_lo
	s_and_b32 s72, s62, exec_lo
	s_or_b32 s61, s61, s72
	s_andn2_b32 exec_lo, exec_lo, s23
	s_cbranch_execz .LBB4_10676
.LBB4_10672:                            ;   Parent Loop BB4_47 Depth=1
                                        ;     Parent Loop BB4_10619 Depth=2
                                        ; =>    This Inner Loop Header: Depth=3
	s_add_i32 s63, s63, 1
	s_cmpk_lg_i32 s63, 0x2710
	s_cselect_b32 s72, -1, 0
	s_and_b32 vcc_lo, exec_lo, s72
	s_cbranch_vccz .LBB4_10674
; %bb.10673:                            ;   in Loop: Header=BB4_10672 Depth=3
	s_mov_b32 s74, -1
	s_or_b32 s62, s62, exec_lo
	s_and_saveexec_b32 s73, s72
	s_cbranch_execz .LBB4_10671
	s_branch .LBB4_10675
	.p2align	6
.LBB4_10674:                            ;   in Loop: Header=BB4_10672 Depth=3
	s_trap 2
	ds_read_b64 v[8:9], v0
	s_andn2_b32 s72, s72, exec_lo
	s_mov_b32 s63, 0
	s_waitcnt lgkmcnt(0)
	s_waitcnt_vscnt null, 0x0
	flat_load_dword v1, v[8:9] glc dlc
	s_waitcnt vmcnt(0) lgkmcnt(0)
	buffer_gl1_inv
	buffer_gl0_inv
	v_cmp_eq_u32_e32 vcc_lo, 0, v1
	s_and_b32 s73, vcc_lo, exec_lo
	s_or_b32 s72, s72, s73
	s_mov_b32 s74, -1
	s_or_b32 s62, s62, exec_lo
	s_and_saveexec_b32 s73, s72
	s_cbranch_execz .LBB4_10671
.LBB4_10675:                            ;   in Loop: Header=BB4_10672 Depth=3
	s_sleep 1
	s_trap 2
	ds_read_b64 v[8:9], v0
	s_waitcnt lgkmcnt(0)
	buffer_gl0_inv
	s_andn2_b32 s62, s62, exec_lo
	v_cmp_ge_u64_e32 vcc_lo, v[8:9], v[28:29]
	s_orn2_b32 s74, vcc_lo, exec_lo
	s_branch .LBB4_10671
.LBB4_10676:                            ;   in Loop: Header=BB4_10619 Depth=2
	s_inst_prefetch 0x2
	s_or_b32 exec_lo, exec_lo, s23
	s_and_saveexec_b32 s23, s61
	s_xor_b32 s23, exec_lo, s23
	s_cbranch_execz .LBB4_10678
; %bb.10677:                            ;   in Loop: Header=BB4_10619 Depth=2
	ds_write_b32 v0, v99
	s_trap 2
.LBB4_10678:                            ;   in Loop: Header=BB4_10619 Depth=2
	s_or_b32 exec_lo, exec_lo, s22
	;;#ASMSTART
	s_wakeup
	;;#ASMEND
.LBB4_10679:                            ;   in Loop: Header=BB4_10619 Depth=2
	s_or_b32 exec_lo, exec_lo, s21
.LBB4_10680:                            ;   in Loop: Header=BB4_10619 Depth=2
	s_andn2_saveexec_b32 s19, s19
	s_cbranch_execz .LBB4_10682
; %bb.10681:                            ;   in Loop: Header=BB4_10619 Depth=2
	;;#ASMSTART
	s_waitcnt lgkmcnt(0) vmcnt(0)
	;;#ASMEND
	s_barrier
.LBB4_10682:                            ;   in Loop: Header=BB4_10619 Depth=2
	s_or_b32 exec_lo, exec_lo, s19
.LBB4_10683:                            ;   in Loop: Header=BB4_10619 Depth=2
	s_or_b32 exec_lo, exec_lo, s16
	v_and_b32_e32 v1, 32, v84
	s_mov_b32 s16, exec_lo
	v_cmpx_ne_u32_e32 0, v1
	s_cbranch_execz .LBB4_10618
; %bb.10684:                            ;   in Loop: Header=BB4_10619 Depth=2
	v_add_co_u32 v48, vcc_lo, v48, 2
	v_add_co_ci_u32_e64 v49, null, 0, v49, vcc_lo
	s_waitcnt vmcnt(0) lgkmcnt(0)
	s_waitcnt_vscnt null, 0x0
	flat_store_dwordx2 v[22:23], v[48:49]
	s_branch .LBB4_10618
.LBB4_10685:
	s_or_b32 exec_lo, exec_lo, s27
	s_clause 0x4
	buffer_load_dword v17, off, s[0:3], s33 offset:252
	buffer_load_dword v31, off, s[0:3], s33 offset:256
	;; [unrolled: 1-line block ×5, first 2 shown]
.LBB4_10686:
	s_or_b32 exec_lo, exec_lo, s26
	v_and_b32_e32 v0, 0x800, v84
	s_mov_b32 s5, exec_lo
	v_cmpx_eq_u32_e32 0, v0
	s_cbranch_execz .LBB4_10719
; %bb.10687:
	v_and_b32_e32 v0, 48, v84
	s_mov_b32 s4, exec_lo
	v_cmpx_ne_u32_e32 0, v0
	s_cbranch_execz .LBB4_10689
; %bb.10688:
	s_waitcnt vmcnt(0)
	flat_store_dwordx2 v[34:35], v[48:49] offset:104
.LBB4_10689:
	s_or_b32 exec_lo, exec_lo, s4
	v_and_b32_e32 v0, 0x88, v84
	s_mov_b32 s6, exec_lo
	v_cmpx_eq_u32_e32 0x88, v0
	s_cbranch_execz .LBB4_10699
; %bb.10690:
	v_add_nc_u32_e32 v0, 6, v48
	v_and_b32_e32 v4, 64, v84
	s_mov_b32 s7, 0
	v_and_b32_e32 v0, 7, v0
	v_cmp_eq_u32_e64 s4, 0, v4
	v_mad_u64_u32 v[2:3], null, v0, 24, v[6:7]
	flat_load_dwordx2 v[0:1], v[2:3] offset:8 glc dlc
	s_waitcnt vmcnt(0) lgkmcnt(0)
	v_cmp_ne_u64_e32 vcc_lo, -1, v[0:1]
	s_and_b32 s4, vcc_lo, s4
	s_and_b32 exec_lo, exec_lo, s4
	s_cbranch_execz .LBB4_10699
; %bb.10691:
	s_mov_b32 s11, 0
                                        ; implicit-def: $sgpr4
                                        ; implicit-def: $sgpr10
	s_inst_prefetch 0x1
	s_branch .LBB4_10694
	.p2align	6
.LBB4_10692:                            ;   in Loop: Header=BB4_10694 Depth=1
	flat_load_dwordx2 v[4:5], v[2:3] offset:8 glc dlc
	s_waitcnt vmcnt(0)
	s_andn2_b32 s10, s10, exec_lo
	s_waitcnt lgkmcnt(0)
	v_cmp_eq_u64_e32 vcc_lo, -1, v[4:5]
	s_orn2_b32 s13, vcc_lo, exec_lo
.LBB4_10693:                            ;   in Loop: Header=BB4_10694 Depth=1
	s_or_b32 exec_lo, exec_lo, s14
	s_and_b32 s12, exec_lo, s13
	s_or_b32 s7, s12, s7
	s_andn2_b32 s4, s4, exec_lo
	s_and_b32 s12, s10, exec_lo
	s_or_b32 s4, s4, s12
	s_andn2_b32 exec_lo, exec_lo, s7
	s_cbranch_execz .LBB4_10697
.LBB4_10694:                            ; =>This Inner Loop Header: Depth=1
	s_cmpk_lt_i32 s11, 0x270f
	s_cselect_b32 s12, -1, 0
	s_and_b32 vcc_lo, exec_lo, s12
	s_cbranch_vccnz .LBB4_10696
; %bb.10695:                            ;   in Loop: Header=BB4_10694 Depth=1
	s_trap 2
	ds_read_b64 v[0:1], v0
	s_andn2_b32 s12, s12, exec_lo
	s_mov_b32 s11, 0
	s_waitcnt lgkmcnt(0)
	s_waitcnt_vscnt null, 0x0
	flat_load_dword v0, v[0:1] glc dlc
	s_waitcnt vmcnt(0) lgkmcnt(0)
	buffer_gl1_inv
	buffer_gl0_inv
	v_cmp_eq_u32_e32 vcc_lo, 0, v0
	s_and_b32 s13, vcc_lo, exec_lo
	s_or_b32 s12, s12, s13
	s_mov_b32 s13, -1
	s_or_b32 s10, s10, exec_lo
	s_and_saveexec_b32 s14, s12
	s_cbranch_execz .LBB4_10693
	s_branch .LBB4_10692
	.p2align	6
.LBB4_10696:                            ;   in Loop: Header=BB4_10694 Depth=1
	s_add_i32 s11, s11, 1
                                        ; implicit-def: $vgpr0
	s_mov_b32 s13, -1
	s_or_b32 s10, s10, exec_lo
	s_and_saveexec_b32 s14, s12
	s_cbranch_execz .LBB4_10693
	s_branch .LBB4_10692
.LBB4_10697:
	s_inst_prefetch 0x2
	s_or_b32 exec_lo, exec_lo, s7
	s_and_saveexec_b32 s7, s4
	s_xor_b32 s7, exec_lo, s7
	s_cbranch_execz .LBB4_10699
; %bb.10698:
	s_waitcnt_vscnt null, 0x0
	ds_write_b32 v0, v0
	s_trap 2
.LBB4_10699:
	s_or_b32 exec_lo, exec_lo, s6
	v_and_b32_e32 v0, 0x2000, v84
	s_mov_b32 s4, exec_lo
	v_cmpx_ne_u32_e32 0, v0
	s_cbranch_execz .LBB4_10701
; %bb.10700:
	s_trap 2
	ds_read_b64 v[0:1], v0
	s_clause 0x1
	buffer_load_dword v2, off, s[0:3], s33 offset:272
	buffer_load_dword v3, off, s[0:3], s33 offset:276
	s_waitcnt vmcnt(0) lgkmcnt(0)
	flat_store_dwordx2 v[2:3], v[0:1] offset:16
.LBB4_10701:
	s_or_b32 exec_lo, exec_lo, s4
	s_waitcnt vmcnt(4)
	v_cmp_ne_u32_e32 vcc_lo, 32, v17
	s_and_b32 exec_lo, exec_lo, vcc_lo
	s_cbranch_execz .LBB4_10719
; %bb.10702:
	s_waitcnt vmcnt(0)
	v_cmp_ne_u32_sdwa s4, v17, v18 src0_sel:DWORD src1_sel:WORD_0
	s_and_saveexec_b32 s6, s4
	s_xor_b32 s4, exec_lo, s6
	s_cbranch_execz .LBB4_10717
; %bb.10703:
	v_and_b32_e32 v0, 31, v31
	s_mov_b32 s6, exec_lo
	v_cmpx_eq_u32_e32 0, v0
	s_cbranch_execz .LBB4_10716
; %bb.10704:
	s_mov_b32 s10, exec_lo
	s_mov_b32 s7, exec_lo
	v_mbcnt_lo_u32_b32 v0, s10, 0
	s_waitcnt lgkmcnt(0)
	s_waitcnt_vscnt null, 0x0
	buffer_gl1_inv
	buffer_gl0_inv
	v_cmpx_eq_u32_e32 0, v0
	s_cbranch_execz .LBB4_10706
; %bb.10705:
	s_bcnt1_i32_b32 s10, s10
	v_mov_b32_e32 v1, 0
	v_mov_b32_e32 v0, s10
	ds_add_u64 v0, v[0:1]
	s_trap 2
.LBB4_10706:
	s_or_b32 exec_lo, exec_lo, s7
	s_trap 2
	ds_read_b64 v[2:3], v0
	s_waitcnt lgkmcnt(0)
	buffer_gl0_inv
	v_lshrrev_b32_e32 v0, 5, v17
	s_mov_b32 s7, exec_lo
	v_add_co_u32 v0, vcc_lo, v28, v0
	v_add_co_ci_u32_e64 v1, null, 0, v29, vcc_lo
	v_cmpx_lt_u64_e64 v[2:3], v[0:1]
	s_cbranch_execz .LBB4_10715
; %bb.10707:
	s_mov_b32 s10, 0
	s_mov_b32 s13, 0
                                        ; implicit-def: $sgpr11
                                        ; implicit-def: $sgpr12
	s_inst_prefetch 0x1
	s_branch .LBB4_10709
	.p2align	6
.LBB4_10708:                            ;   in Loop: Header=BB4_10709 Depth=1
	s_or_b32 exec_lo, exec_lo, s15
	s_and_b32 s14, exec_lo, s16
	s_or_b32 s10, s14, s10
	s_andn2_b32 s11, s11, exec_lo
	s_and_b32 s14, s12, exec_lo
	s_or_b32 s11, s11, s14
	s_andn2_b32 exec_lo, exec_lo, s10
	s_cbranch_execz .LBB4_10713
.LBB4_10709:                            ; =>This Inner Loop Header: Depth=1
	s_add_i32 s13, s13, 1
	s_cmpk_lg_i32 s13, 0x2710
	s_cselect_b32 s14, -1, 0
	s_and_b32 vcc_lo, exec_lo, s14
	s_cbranch_vccz .LBB4_10711
; %bb.10710:                            ;   in Loop: Header=BB4_10709 Depth=1
	s_mov_b32 s16, -1
	s_or_b32 s12, s12, exec_lo
	s_and_saveexec_b32 s15, s14
	s_cbranch_execz .LBB4_10708
	s_branch .LBB4_10712
.LBB4_10711:                            ;   in Loop: Header=BB4_10709 Depth=1
	s_trap 2
	ds_read_b64 v[2:3], v0
	s_andn2_b32 s14, s14, exec_lo
	s_mov_b32 s13, 0
	s_waitcnt lgkmcnt(0)
	flat_load_dword v2, v[2:3] glc dlc
	s_waitcnt vmcnt(0) lgkmcnt(0)
	buffer_gl1_inv
	buffer_gl0_inv
	v_cmp_eq_u32_e32 vcc_lo, 0, v2
	s_and_b32 s15, vcc_lo, exec_lo
	s_or_b32 s14, s14, s15
	s_mov_b32 s16, -1
	s_or_b32 s12, s12, exec_lo
	s_and_saveexec_b32 s15, s14
	s_cbranch_execz .LBB4_10708
.LBB4_10712:                            ;   in Loop: Header=BB4_10709 Depth=1
	s_sleep 1
	s_trap 2
	ds_read_b64 v[2:3], v0
	s_waitcnt lgkmcnt(0)
	buffer_gl0_inv
	s_andn2_b32 s12, s12, exec_lo
	v_cmp_ge_u64_e32 vcc_lo, v[2:3], v[0:1]
	s_orn2_b32 s16, vcc_lo, exec_lo
	s_branch .LBB4_10708
.LBB4_10713:
	s_inst_prefetch 0x2
	s_or_b32 exec_lo, exec_lo, s10
	s_and_saveexec_b32 s10, s11
	s_xor_b32 s10, exec_lo, s10
	s_cbranch_execz .LBB4_10715
; %bb.10714:
	v_mov_b32_e32 v0, 1
	ds_write_b32 v0, v0
	s_trap 2
.LBB4_10715:
	s_or_b32 exec_lo, exec_lo, s7
	;;#ASMSTART
	s_wakeup
	;;#ASMEND
.LBB4_10716:
	s_or_b32 exec_lo, exec_lo, s6
.LBB4_10717:
	s_andn2_saveexec_b32 s4, s4
	s_cbranch_execz .LBB4_10719
; %bb.10718:
	s_waitcnt lgkmcnt(0)
	s_waitcnt_vscnt null, 0x0
	buffer_gl1_inv
	buffer_gl0_inv
	s_barrier
.LBB4_10719:
	s_or_b32 exec_lo, exec_lo, s5
.LBB4_10720:
	s_andn2_saveexec_b32 s25, s24
	s_cbranch_execz .LBB4_10722
; %bb.10721:
	s_getpc_b64 s[4:5]
	s_add_u32 s4, s4, __PRETTY_FUNCTION__._ZN10PrimitivesI12rccl_bfloat813FuncPreMulSumIS0_E12FanSymmetricILi1EELi0E11ProtoSimpleILi2ELi2ELi0ELi2ELi0ELi0EELi0ELb0ELi0ELi0ELi0EEC2EiiPKiS9_PKvPvmhhhP15ncclDevWorkCollP14ncclDevWorkP2pii@rel32@lo+4
	s_addc_u32 s5, s5, __PRETTY_FUNCTION__._ZN10PrimitivesI12rccl_bfloat813FuncPreMulSumIS0_E12FanSymmetricILi1EELi0E11ProtoSimpleILi2ELi2ELi0ELi2ELi0ELi0EELi0ELb0ELi0ELi0ELi0EEC2EiiPKiS9_PKvPvmhhhP15ncclDevWorkCollP14ncclDevWorkP2pii@rel32@hi+12
	v_mov_b32_e32 v0, s4
	v_mov_b32_e32 v1, s5
	s_getpc_b64 s[6:7]
	s_add_u32 s6, s6, __assert_fail@rel32@lo+4
	s_addc_u32 s7, s7, __assert_fail@rel32@hi+12
	s_swappc_b64 s[30:31], s[6:7]
	; divergent unreachable
.LBB4_10722:
	s_or_b32 exec_lo, exec_lo, s25
	s_clause 0x2e
	buffer_load_dword v126, off, s[0:3], s33
	buffer_load_dword v125, off, s[0:3], s33 offset:4
	buffer_load_dword v124, off, s[0:3], s33 offset:8
	;; [unrolled: 1-line block ×46, first 2 shown]
	v_readlane_b32 s30, v127, 0
	v_readlane_b32 s31, v127, 1
	s_mov_b32 s32, s33
	s_or_saveexec_b32 s4, -1
	buffer_load_dword v127, off, s[0:3], s33 offset:280 ; 4-byte Folded Reload
	s_mov_b32 exec_lo, s4
	s_mov_b32 s33, s88
	s_waitcnt vmcnt(0) lgkmcnt(0)
	s_setpc_b64 s[30:31]
.Lfunc_end4:
	.size	_ZN12_GLOBAL__N_17runRingI12rccl_bfloat813FuncPreMulSumIS1_E11ProtoSimpleILi2ELi2ELi0ELi2ELi0ELi0EELi0ELi0ELi2ELi0EEEviiP15ncclDevWorkColl, .Lfunc_end4-_ZN12_GLOBAL__N_17runRingI12rccl_bfloat813FuncPreMulSumIS1_E11ProtoSimpleILi2ELi2ELi0ELi2ELi0ELi0EELi0ELi0ELi2ELi0EEEviiP15ncclDevWorkColl
                                        ; -- End function
	.set .L_ZN12_GLOBAL__N_17runRingI12rccl_bfloat813FuncPreMulSumIS1_E11ProtoSimpleILi2ELi2ELi0ELi2ELi0ELi0EELi0ELi0ELi2ELi0EEEviiP15ncclDevWorkColl.num_vgpr, max(128, .L__assert_fail.num_vgpr)
	.set .L_ZN12_GLOBAL__N_17runRingI12rccl_bfloat813FuncPreMulSumIS1_E11ProtoSimpleILi2ELi2ELi0ELi2ELi0ELi0EELi0ELi0ELi2ELi0EEEviiP15ncclDevWorkColl.num_agpr, max(0, .L__assert_fail.num_agpr)
	.set .L_ZN12_GLOBAL__N_17runRingI12rccl_bfloat813FuncPreMulSumIS1_E11ProtoSimpleILi2ELi2ELi0ELi2ELi0ELi0EELi0ELi0ELi2ELi0EEEviiP15ncclDevWorkColl.numbered_sgpr, max(89, .L__assert_fail.numbered_sgpr)
	.set .L_ZN12_GLOBAL__N_17runRingI12rccl_bfloat813FuncPreMulSumIS1_E11ProtoSimpleILi2ELi2ELi0ELi2ELi0ELi0EELi0ELi0ELi2ELi0EEEviiP15ncclDevWorkColl.num_named_barrier, max(0, .L__assert_fail.num_named_barrier)
	.set .L_ZN12_GLOBAL__N_17runRingI12rccl_bfloat813FuncPreMulSumIS1_E11ProtoSimpleILi2ELi2ELi0ELi2ELi0ELi0EELi0ELi0ELi2ELi0EEEviiP15ncclDevWorkColl.private_seg_size, 288+max(.L__assert_fail.private_seg_size)
	.set .L_ZN12_GLOBAL__N_17runRingI12rccl_bfloat813FuncPreMulSumIS1_E11ProtoSimpleILi2ELi2ELi0ELi2ELi0ELi0EELi0ELi0ELi2ELi0EEEviiP15ncclDevWorkColl.uses_vcc, or(1, .L__assert_fail.uses_vcc)
	.set .L_ZN12_GLOBAL__N_17runRingI12rccl_bfloat813FuncPreMulSumIS1_E11ProtoSimpleILi2ELi2ELi0ELi2ELi0ELi0EELi0ELi0ELi2ELi0EEEviiP15ncclDevWorkColl.uses_flat_scratch, or(1, .L__assert_fail.uses_flat_scratch)
	.set .L_ZN12_GLOBAL__N_17runRingI12rccl_bfloat813FuncPreMulSumIS1_E11ProtoSimpleILi2ELi2ELi0ELi2ELi0ELi0EELi0ELi0ELi2ELi0EEEviiP15ncclDevWorkColl.has_dyn_sized_stack, or(0, .L__assert_fail.has_dyn_sized_stack)
	.set .L_ZN12_GLOBAL__N_17runRingI12rccl_bfloat813FuncPreMulSumIS1_E11ProtoSimpleILi2ELi2ELi0ELi2ELi0ELi0EELi0ELi0ELi2ELi0EEEviiP15ncclDevWorkColl.has_recursion, or(1, .L__assert_fail.has_recursion)
	.set .L_ZN12_GLOBAL__N_17runRingI12rccl_bfloat813FuncPreMulSumIS1_E11ProtoSimpleILi2ELi2ELi0ELi2ELi0ELi0EELi0ELi0ELi2ELi0EEEviiP15ncclDevWorkColl.has_indirect_call, or(0, .L__assert_fail.has_indirect_call)
	.section	.AMDGPU.csdata,"",@progbits
; Function info:
; codeLenInByte = 388824
; TotalNumSgprs: 91
; NumVgprs: 128
; ScratchSize: 352
; MemoryBound: 1
	.text
	.p2align	2                               ; -- Begin function _Z56ncclDevFunc_AllReduce_RING_SIMPLE_PreMulSum_f8e5m2_0_0_2v
	.type	_Z56ncclDevFunc_AllReduce_RING_SIMPLE_PreMulSum_f8e5m2_0_0_2v,@function
_Z56ncclDevFunc_AllReduce_RING_SIMPLE_PreMulSum_f8e5m2_0_0_2v: ; @_Z56ncclDevFunc_AllReduce_RING_SIMPLE_PreMulSum_f8e5m2_0_0_2v
; %bb.0:
	s_waitcnt vmcnt(0) expcnt(0) lgkmcnt(0)
	s_mov_b32 s94, s33
	s_mov_b32 s33, s32
	s_or_saveexec_b32 s4, -1
	buffer_store_dword v43, off, s[0:3], s33 offset:16 ; 4-byte Folded Spill
	s_mov_b32 exec_lo, s4
	s_addk_i32 s32, 0x400
	buffer_store_dword v40, off, s[0:3], s33 offset:12 ; 4-byte Folded Spill
	buffer_store_dword v41, off, s[0:3], s33 offset:8 ; 4-byte Folded Spill
	buffer_store_dword v42, off, s[0:3], s33 offset:4 ; 4-byte Folded Spill
	buffer_store_dword v127, off, s[0:3], s33 ; 4-byte Folded Spill
	v_writelane_b32 v43, s34, 0
	v_writelane_b32 v43, s35, 1
	;; [unrolled: 1-line block ×4, first 2 shown]
	s_trap 2
	ds_read_b32 v0, v0
	v_mov_b32_e32 v40, v31
	s_mov_b32 s89, s12
	s_mov_b64 s[90:91], s[8:9]
	s_mov_b32 s4, exec_lo
	v_and_b32_e32 v41, 0x3ff, v40
	s_waitcnt lgkmcnt(0)
	v_cmpx_lt_i32_e64 v41, v0
	s_cbranch_execz .LBB5_5
; %bb.1:
	s_load_dword s5, s[90:91], 0x0
	v_mov_b32_e32 v1, 0
	v_mov_b32_e32 v3, v41
                                        ; implicit-def: $vgpr4
	s_waitcnt lgkmcnt(0)
	s_cmp_lt_u32 s89, s5
	s_cselect_b32 s5, 12, 18
	s_add_u32 s6, s90, s5
	s_addc_u32 s7, s91, 0
	s_mov_b32 s5, 0
	global_load_ushort v1, v1, s[6:7]
	s_trap 2
	ds_read_b32 v2, v0
	s_mov_b32 s6, 0
	s_waitcnt vmcnt(0) lgkmcnt(0)
	v_mul_lo_u32 v2, v2, v1
	s_branch .LBB5_3
	.p2align	6
.LBB5_2:                                ;   in Loop: Header=BB5_3 Depth=1
	s_or_b32 exec_lo, exec_lo, s7
	v_add_nc_u32_e32 v3, v3, v1
	v_add_nc_u32_e32 v4, v4, v2
	v_cmp_ge_i32_e32 vcc_lo, v3, v0
	s_or_b32 s6, vcc_lo, s6
	s_andn2_b32 exec_lo, exec_lo, s6
	s_cbranch_execz .LBB5_5
.LBB5_3:                                ; =>This Inner Loop Header: Depth=1
	ds_read_b32 v5, v4
	s_mov_b32 s7, exec_lo
	s_waitcnt lgkmcnt(0)
	v_and_b32_e32 v5, 0x1000000, v5
	v_cmpx_ne_u32_e32 0, v5
	s_cbranch_execz .LBB5_2
; %bb.4:                                ;   in Loop: Header=BB5_3 Depth=1
	ds_read_b64 v[5:6], v4 offset:104
	s_waitcnt lgkmcnt(0)
	flat_load_ubyte v5, v[5:6]
	v_mov_b32_e32 v6, s5
	s_waitcnt vmcnt(0) lgkmcnt(0)
	v_and_b32_e32 v5, 0xffff, v5
	ds_write_b64 v4, v[5:6] offset:104
	s_branch .LBB5_2
.LBB5_5:
	s_or_b32 exec_lo, exec_lo, s4
	s_waitcnt lgkmcnt(0)
	s_waitcnt_vscnt null, 0x0
	s_barrier
	buffer_gl0_inv
	s_trap 2
	ds_read_b32 v0, v0
	s_waitcnt lgkmcnt(0)
	v_cmp_gt_i32_e32 vcc_lo, 1, v0
	s_cbranch_vccnz .LBB5_13
; %bb.6:
	v_mov_b32_e32 v42, 5
	s_mov_b32 s92, 0
	s_inst_prefetch 0x1
	s_branch .LBB5_8
	.p2align	6
.LBB5_7:                                ;   in Loop: Header=BB5_8 Depth=1
	s_or_b32 exec_lo, exec_lo, s93
	s_trap 2
	ds_read_b32 v0, v0
	s_add_i32 s92, s92, 1
	s_waitcnt lgkmcnt(0)
	v_cmp_lt_i32_e32 vcc_lo, s92, v0
	s_cbranch_vccz .LBB5_13
.LBB5_8:                                ; =>This Inner Loop Header: Depth=1
	s_trap 2
	ds_read_b32 v0, v0
	s_cmp_eq_u32 s92, 0
	s_cbranch_scc1 .LBB5_11
; %bb.9:                                ;   in Loop: Header=BB5_8 Depth=1
	s_trap 2
	s_waitcnt lgkmcnt(0)
	ds_read_b32 v1, v0
	s_waitcnt lgkmcnt(0)
	v_xor_b32_e32 v1, v1, v0
	v_and_b32_e32 v1, 0xff0000, v1
	v_cmp_eq_u32_e32 vcc_lo, 0, v1
	s_cbranch_vccnz .LBB5_11
; %bb.10:                               ;   in Loop: Header=BB5_8 Depth=1
	s_barrier
	buffer_gl0_inv
	ds_read_b32 v0, v0
.LBB5_11:                               ;   in Loop: Header=BB5_8 Depth=1
	s_waitcnt lgkmcnt(0)
	v_lshlrev_b32_sdwa v1, v42, v0 dst_sel:DWORD dst_unused:UNUSED_PAD src0_sel:DWORD src1_sel:BYTE_2
	s_mov_b32 s93, exec_lo
	v_cmpx_lt_u32_e64 v41, v1
	s_cbranch_execz .LBB5_7
; %bb.12:                               ;   in Loop: Header=BB5_8 Depth=1
	s_mov_b64 s[4:5], src_shared_base
	v_mov_b32_e32 v31, v40
	v_mov_b32_e32 v0, v41
	;; [unrolled: 1-line block ×3, first 2 shown]
	s_getpc_b64 s[6:7]
	s_add_u32 s6, s6, _ZN12_GLOBAL__N_17runRingI12rccl_bfloat813FuncPreMulSumIS1_E11ProtoSimpleILi2ELi2ELi0ELi2ELi0ELi0EELi0ELi0ELi2ELi0EEEviiP15ncclDevWorkColl@rel32@lo+4
	s_addc_u32 s7, s7, _ZN12_GLOBAL__N_17runRingI12rccl_bfloat813FuncPreMulSumIS1_E11ProtoSimpleILi2ELi2ELi0ELi2ELi0ELi0EELi0ELi0ELi2ELi0EEEviiP15ncclDevWorkColl@rel32@hi+12
	s_mov_b64 s[8:9], s[90:91]
	s_mov_b32 s12, s89
	s_swappc_b64 s[30:31], s[6:7]
	s_branch .LBB5_7
.LBB5_13:
	s_inst_prefetch 0x2
	s_clause 0x3
	buffer_load_dword v127, off, s[0:3], s33
	buffer_load_dword v42, off, s[0:3], s33 offset:4
	buffer_load_dword v41, off, s[0:3], s33 offset:8
	;; [unrolled: 1-line block ×3, first 2 shown]
	v_readlane_b32 s30, v43, 2
	v_readlane_b32 s31, v43, 3
	;; [unrolled: 1-line block ×4, first 2 shown]
	s_mov_b32 s32, s33
	s_or_saveexec_b32 s4, -1
	buffer_load_dword v43, off, s[0:3], s33 offset:16 ; 4-byte Folded Reload
	s_mov_b32 exec_lo, s4
	s_mov_b32 s33, s94
	s_waitcnt vmcnt(0)
	s_setpc_b64 s[30:31]
.Lfunc_end5:
	.size	_Z56ncclDevFunc_AllReduce_RING_SIMPLE_PreMulSum_f8e5m2_0_0_2v, .Lfunc_end5-_Z56ncclDevFunc_AllReduce_RING_SIMPLE_PreMulSum_f8e5m2_0_0_2v
                                        ; -- End function
	.set .L_Z56ncclDevFunc_AllReduce_RING_SIMPLE_PreMulSum_f8e5m2_0_0_2v.num_vgpr, max(128, .L_ZN12_GLOBAL__N_17runRingI12rccl_bfloat813FuncPreMulSumIS1_E11ProtoSimpleILi2ELi2ELi0ELi2ELi0ELi0EELi0ELi0ELi2ELi0EEEviiP15ncclDevWorkColl.num_vgpr)
	.set .L_Z56ncclDevFunc_AllReduce_RING_SIMPLE_PreMulSum_f8e5m2_0_0_2v.num_agpr, max(0, .L_ZN12_GLOBAL__N_17runRingI12rccl_bfloat813FuncPreMulSumIS1_E11ProtoSimpleILi2ELi2ELi0ELi2ELi0ELi0EELi0ELi0ELi2ELi0EEEviiP15ncclDevWorkColl.num_agpr)
	.set .L_Z56ncclDevFunc_AllReduce_RING_SIMPLE_PreMulSum_f8e5m2_0_0_2v.numbered_sgpr, max(95, .L_ZN12_GLOBAL__N_17runRingI12rccl_bfloat813FuncPreMulSumIS1_E11ProtoSimpleILi2ELi2ELi0ELi2ELi0ELi0EELi0ELi0ELi2ELi0EEEviiP15ncclDevWorkColl.numbered_sgpr)
	.set .L_Z56ncclDevFunc_AllReduce_RING_SIMPLE_PreMulSum_f8e5m2_0_0_2v.num_named_barrier, max(0, .L_ZN12_GLOBAL__N_17runRingI12rccl_bfloat813FuncPreMulSumIS1_E11ProtoSimpleILi2ELi2ELi0ELi2ELi0ELi0EELi0ELi0ELi2ELi0EEEviiP15ncclDevWorkColl.num_named_barrier)
	.set .L_Z56ncclDevFunc_AllReduce_RING_SIMPLE_PreMulSum_f8e5m2_0_0_2v.private_seg_size, 32+max(.L_ZN12_GLOBAL__N_17runRingI12rccl_bfloat813FuncPreMulSumIS1_E11ProtoSimpleILi2ELi2ELi0ELi2ELi0ELi0EELi0ELi0ELi2ELi0EEEviiP15ncclDevWorkColl.private_seg_size)
	.set .L_Z56ncclDevFunc_AllReduce_RING_SIMPLE_PreMulSum_f8e5m2_0_0_2v.uses_vcc, or(1, .L_ZN12_GLOBAL__N_17runRingI12rccl_bfloat813FuncPreMulSumIS1_E11ProtoSimpleILi2ELi2ELi0ELi2ELi0ELi0EELi0ELi0ELi2ELi0EEEviiP15ncclDevWorkColl.uses_vcc)
	.set .L_Z56ncclDevFunc_AllReduce_RING_SIMPLE_PreMulSum_f8e5m2_0_0_2v.uses_flat_scratch, or(0, .L_ZN12_GLOBAL__N_17runRingI12rccl_bfloat813FuncPreMulSumIS1_E11ProtoSimpleILi2ELi2ELi0ELi2ELi0ELi0EELi0ELi0ELi2ELi0EEEviiP15ncclDevWorkColl.uses_flat_scratch)
	.set .L_Z56ncclDevFunc_AllReduce_RING_SIMPLE_PreMulSum_f8e5m2_0_0_2v.has_dyn_sized_stack, or(0, .L_ZN12_GLOBAL__N_17runRingI12rccl_bfloat813FuncPreMulSumIS1_E11ProtoSimpleILi2ELi2ELi0ELi2ELi0ELi0EELi0ELi0ELi2ELi0EEEviiP15ncclDevWorkColl.has_dyn_sized_stack)
	.set .L_Z56ncclDevFunc_AllReduce_RING_SIMPLE_PreMulSum_f8e5m2_0_0_2v.has_recursion, or(1, .L_ZN12_GLOBAL__N_17runRingI12rccl_bfloat813FuncPreMulSumIS1_E11ProtoSimpleILi2ELi2ELi0ELi2ELi0ELi0EELi0ELi0ELi2ELi0EEEviiP15ncclDevWorkColl.has_recursion)
	.set .L_Z56ncclDevFunc_AllReduce_RING_SIMPLE_PreMulSum_f8e5m2_0_0_2v.has_indirect_call, or(0, .L_ZN12_GLOBAL__N_17runRingI12rccl_bfloat813FuncPreMulSumIS1_E11ProtoSimpleILi2ELi2ELi0ELi2ELi0ELi0EELi0ELi0ELi2ELi0EEEviiP15ncclDevWorkColl.has_indirect_call)
	.section	.AMDGPU.csdata,"",@progbits
; Function info:
; codeLenInByte = 744
; TotalNumSgprs: 97
; NumVgprs: 128
; ScratchSize: 384
; MemoryBound: 0
	.text
	.p2align	2                               ; -- Begin function _ZN12_GLOBAL__N_17runRingI12rccl_bfloat813FuncPreMulSumIS1_E11ProtoSimpleILi2ELi2ELi0ELi4ELi0ELi0EELi0ELi0ELi4ELi0EEEviiP15ncclDevWorkColl
	.type	_ZN12_GLOBAL__N_17runRingI12rccl_bfloat813FuncPreMulSumIS1_E11ProtoSimpleILi2ELi2ELi0ELi4ELi0ELi0EELi0ELi0ELi4ELi0EEEviiP15ncclDevWorkColl,@function
_ZN12_GLOBAL__N_17runRingI12rccl_bfloat813FuncPreMulSumIS1_E11ProtoSimpleILi2ELi2ELi0ELi4ELi0ELi0EELi0ELi0ELi4ELi0EEEviiP15ncclDevWorkColl: ; @_ZN12_GLOBAL__N_17runRingI12rccl_bfloat813FuncPreMulSumIS1_E11ProtoSimpleILi2ELi2ELi0ELi4ELi0ELi0EELi0ELi0ELi4ELi0EEEviiP15ncclDevWorkColl
; %bb.0:
	s_waitcnt vmcnt(0) expcnt(0) lgkmcnt(0)
	s_mov_b32 s88, s33
	s_mov_b32 s33, s32
	s_or_saveexec_b32 s4, -1
	buffer_store_dword v127, off, s[0:3], s33 offset:540 ; 4-byte Folded Spill
	s_mov_b32 exec_lo, s4
	s_addk_i32 s32, 0x4600
	buffer_store_dword v40, off, s[0:3], s33 offset:184 ; 4-byte Folded Spill
	buffer_store_dword v41, off, s[0:3], s33 offset:180 ; 4-byte Folded Spill
	;; [unrolled: 1-line block ×46, first 2 shown]
	buffer_store_dword v126, off, s[0:3], s33 ; 4-byte Folded Spill
	v_writelane_b32 v127, s30, 0
	v_writelane_b32 v127, s31, 1
	v_mov_b32_e32 v19, v1
	buffer_store_dword v0, off, s[0:3], s33 offset:204 ; 4-byte Folded Spill
	s_trap 2
	flat_load_dword v1, v[2:3]
	ds_read_b32 v4, v0
                                        ; implicit-def: $vgpr5_vgpr6
                                        ; kill: killed $vgpr5_vgpr6
                                        ; implicit-def: $vgpr5_vgpr6
                                        ; implicit-def: $vgpr14_vgpr15
	buffer_store_dword v5, off, s[0:3], s33 offset:480 ; 4-byte Folded Spill
	buffer_store_dword v6, off, s[0:3], s33 offset:484 ; 4-byte Folded Spill
	;; [unrolled: 1-line block ×4, first 2 shown]
	s_waitcnt lgkmcnt(0)
	v_readfirstlane_b32 s25, v4
	s_waitcnt vmcnt(0)
	v_cmp_ne_u32_sdwa s4, v4, v1 src0_sel:DWORD src1_sel:BYTE_0
	s_and_saveexec_b32 s5, s4
	s_xor_b32 s4, exec_lo, s5
	s_cbranch_execz .LBB6_6
; %bb.1:
	v_not_b32_sdwa v0, v1 dst_sel:DWORD dst_unused:UNUSED_PAD src0_sel:BYTE_0
	v_cmp_ne_u32_sdwa s5, v4, v1 src0_sel:DWORD src1_sel:BYTE_1
                                        ; implicit-def: $vgpr5_vgpr6
                                        ; kill: killed $vgpr5_vgpr6
                                        ; implicit-def: $vgpr5_vgpr6
                                        ; implicit-def: $vgpr14_vgpr15
	buffer_store_dword v5, off, s[0:3], s33 offset:480 ; 4-byte Folded Spill
	buffer_store_dword v6, off, s[0:3], s33 offset:484 ; 4-byte Folded Spill
	buffer_store_dword v7, off, s[0:3], s33 offset:488 ; 4-byte Folded Spill
	buffer_store_dword v8, off, s[0:3], s33 offset:492 ; 4-byte Folded Spill
	s_and_saveexec_b32 s6, s5
	s_xor_b32 s5, exec_lo, s6
	s_cbranch_execz .LBB6_3
; %bb.2:
	s_clause 0x1
	flat_load_dwordx4 v[5:8], v[2:3] offset:72
	flat_load_dwordx2 v[9:10], v[2:3] offset:96
	v_add_nc_u32_e32 v0, v4, v0
	v_ashrrev_i32_e32 v1, 31, v0
	s_waitcnt vmcnt(1) lgkmcnt(1)
	v_mul_lo_u32 v1, v7, v1
	v_mad_u64_u32 v[4:5], null, v7, v0, v[5:6]
	v_mul_lo_u32 v0, v8, v0
	s_waitcnt vmcnt(0) lgkmcnt(0)
	v_lshrrev_b64 v[14:15], 12, v[9:10]
	v_add3_u32 v5, v0, v5, v1
	v_mov_b32_e32 v0, v7
	v_mov_b32_e32 v1, v8
	buffer_store_dword v4, off, s[0:3], s33 offset:496 ; 4-byte Folded Spill
	buffer_store_dword v5, off, s[0:3], s33 offset:500 ; 4-byte Folded Spill
	;; [unrolled: 1-line block ×6, first 2 shown]
                                        ; implicit-def: $vgpr1
                                        ; implicit-def: $vgpr0
.LBB6_3:
	s_andn2_saveexec_b32 s5, s5
	s_cbranch_execz .LBB6_5
; %bb.4:
	s_clause 0x1
	flat_load_dwordx4 v[4:7], v[2:3] offset:72
	flat_load_dwordx4 v[8:11], v[2:3] offset:88
	v_add_nc_u32_sdwa v0, v1, v0 dst_sel:DWORD dst_unused:UNUSED_PAD src0_sel:BYTE_1 src1_sel:DWORD
	v_ashrrev_i32_e32 v1, 31, v0
	s_waitcnt vmcnt(1) lgkmcnt(1)
	v_mul_lo_u32 v1, v6, v1
	v_mad_u64_u32 v[4:5], null, v6, v0, v[4:5]
	v_mul_lo_u32 v0, v7, v0
	s_waitcnt vmcnt(0) lgkmcnt(0)
	v_lshrrev_b32_e32 v14, 1, v11
	v_add3_u32 v5, v0, v5, v1
	v_mov_b32_e32 v0, v8
	v_mov_b32_e32 v1, v9
	buffer_store_dword v4, off, s[0:3], s33 offset:496 ; 4-byte Folded Spill
	buffer_store_dword v5, off, s[0:3], s33 offset:500 ; 4-byte Folded Spill
	;; [unrolled: 1-line block ×6, first 2 shown]
.LBB6_5:
	s_or_b32 exec_lo, exec_lo, s5
.LBB6_6:
	s_andn2_saveexec_b32 s4, s4
	s_cbranch_execz .LBB6_8
; %bb.7:
	s_clause 0x1
	flat_load_dwordx2 v[0:1], v[2:3] offset:96
	flat_load_dwordx2 v[4:5], v[2:3] offset:72
	s_waitcnt vmcnt(0) lgkmcnt(0)
	buffer_store_dword v4, off, s[0:3], s33 offset:480 ; 4-byte Folded Spill
	buffer_store_dword v5, off, s[0:3], s33 offset:484 ; 4-byte Folded Spill
	;; [unrolled: 1-line block ×4, first 2 shown]
	v_lshlrev_b64 v[14:15], 9, v[0:1]
	v_mov_b32_e32 v0, 0
	v_mov_b32_e32 v1, 0
	buffer_store_dword v0, off, s[0:3], s33 offset:496 ; 4-byte Folded Spill
	buffer_store_dword v1, off, s[0:3], s33 offset:500 ; 4-byte Folded Spill
.LBB6_8:
	s_or_b32 exec_lo, exec_lo, s4
	s_trap 2
	ds_read_b64 v[0:1], v0
	s_mov_b32 s5, exec_lo
	s_waitcnt lgkmcnt(0)
	v_cmp_ne_u32_e32 vcc_lo, -1, v0
	v_cndmask_b32_e64 v0, 0, 1, vcc_lo
	v_cmp_ne_u32_e32 vcc_lo, -1, v1
	v_add_co_ci_u32_e64 v1, null, 0, v0, vcc_lo
	v_lshlrev_b32_e32 v4, 1, v1
	v_cmpx_le_u32_e64 v4, v19
	s_xor_b32 s24, exec_lo, s5
	s_cbranch_execnz .LBB6_9
; %bb.17777:
	s_getpc_b64 s[34:35]
.Lpost_getpc26:
	s_add_u32 s34, s34, (.LBB6_17762-.Lpost_getpc26)&4294967295
	s_addc_u32 s35, s35, (.LBB6_17762-.Lpost_getpc26)>>32
	s_setpc_b64 s[34:35]
.LBB6_9:
	s_clause 0x3
	flat_load_dwordx4 v[10:13], v[2:3] offset:16
	flat_load_dwordx2 v[15:16], v[2:3] offset:104
	flat_load_ushort v7, v[2:3] offset:8
	flat_load_dword v6, v[2:3] offset:4
	s_trap 2
	s_load_dword s4, s[8:9], 0x0
	v_mov_b32_e32 v4, 0
	v_mov_b32_e32 v100, 4
	s_waitcnt lgkmcnt(0)
	s_cmp_lt_u32 s12, s4
	s_cselect_b32 s4, 12, 18
	s_add_u32 s4, s8, s4
	s_addc_u32 s5, s9, 0
	global_load_ushort v20, v4, s[4:5]
	ds_read_b32 v4, v0
	s_mov_b32 s5, exec_lo
	s_waitcnt lgkmcnt(0)
	v_readfirstlane_b32 s15, v4
	buffer_load_dword v4, off, s[0:3], s33 offset:204 ; 4-byte Folded Reload
	s_waitcnt vmcnt(0)
	v_cmpx_ge_u32_e64 v4, v0
	s_cbranch_execz .LBB6_19
; %bb.10:
	buffer_load_dword v4, off, s[0:3], s33 offset:204 ; 4-byte Folded Reload
                                        ; implicit-def: $vgpr100
	s_waitcnt vmcnt(0)
	v_cmp_ge_u32_e64 s4, v4, v1
	s_and_saveexec_b32 s6, s4
	s_xor_b32 s4, exec_lo, s6
	s_cbranch_execz .LBB6_16
; %bb.11:
	buffer_load_dword v5, off, s[0:3], s33 offset:204 ; 4-byte Folded Reload
	v_cndmask_b32_e64 v4, 0, 1, vcc_lo
	s_mov_b32 s6, exec_lo
	v_sub_nc_u32_e32 v4, v19, v4
	s_waitcnt vmcnt(0)
	v_cmpx_ge_u32_e64 v5, v4
	s_xor_b32 s6, exec_lo, s6
; %bb.12:
                                        ; implicit-def: $vgpr1
; %bb.13:
	s_or_saveexec_b32 s6, s6
	v_mov_b32_e32 v100, 16
	s_xor_b32 exec_lo, exec_lo, s6
	s_cbranch_execz .LBB6_15
; %bb.14:
	buffer_load_dword v4, off, s[0:3], s33 offset:204 ; 4-byte Folded Reload
	v_sub_nc_u32_e32 v1, v19, v1
	s_waitcnt vmcnt(0)
	v_cmp_lt_i32_e32 vcc_lo, v4, v1
	v_cndmask_b32_e64 v100, 32, 0, vcc_lo
.LBB6_15:
	s_or_b32 exec_lo, exec_lo, s6
.LBB6_16:
	s_andn2_saveexec_b32 s4, s4
; %bb.17:
	v_mov_b32_e32 v100, 8
; %bb.18:
	s_or_b32 exec_lo, exec_lo, s4
.LBB6_19:
	s_or_b32 exec_lo, exec_lo, s5
	v_and_b32_e32 v1, 36, v100
	v_mov_b32_e32 v8, -1
	v_cmp_ne_u32_e32 vcc_lo, 0, v1
	s_and_saveexec_b32 s4, vcc_lo
	s_cbranch_execz .LBB6_21
; %bb.20:
	s_trap 2
	ds_read_b32 v8, v0
.LBB6_21:
	s_or_b32 exec_lo, exec_lo, s4
	v_and_b32_e32 v1, 24, v100
	s_mov_b32 s5, exec_lo
	v_cmpx_ne_u32_e32 0, v1
	s_cbranch_execz .LBB6_23
; %bb.22:
	s_trap 2
	s_waitcnt lgkmcnt(0)
	ds_read_b32 v8, v0
.LBB6_23:
	s_or_b32 exec_lo, exec_lo, s5
	v_lshrrev_b64 v[4:5], 31, v[6:7]
	v_mov_b32_e32 v21, 0
	v_mov_b32_e32 v112, 0
	;; [unrolled: 1-line block ×4, first 2 shown]
                                        ; implicit-def: $vgpr54
                                        ; implicit-def: $vgpr64_vgpr65
                                        ; implicit-def: $vgpr34_vgpr35
                                        ; implicit-def: $vgpr48_vgpr49
                                        ; implicit-def: $vgpr32_vgpr33
	v_and_b32_e32 v1, 3, v4
                                        ; implicit-def: $vgpr4_vgpr5
                                        ; kill: killed $vgpr4_vgpr5
	s_and_saveexec_b32 s4, vcc_lo
	s_cbranch_execz .LBB6_33
; %bb.24:
	s_trap 2
	ds_read_b64 v[4:5], v0
	s_waitcnt lgkmcnt(1)
	v_ashrrev_i32_e32 v9, 31, v8
	v_lshlrev_b64 v[6:7], 3, v[8:9]
	s_waitcnt lgkmcnt(0)
	v_add_co_u32 v4, vcc_lo, v4, v6
	v_add_co_ci_u32_e64 v5, null, v5, v7, vcc_lo
	v_and_b32_e32 v6, 0xffff, v1
	flat_load_dwordx2 v[4:5], v[4:5]
	s_waitcnt vmcnt(0) lgkmcnt(0)
	v_mad_u64_u32 v[17:18], null, 0xa8, v6, v[4:5]
	flat_load_dword v4, v[17:18] offset:640
	s_waitcnt vmcnt(0) lgkmcnt(0)
	v_cmp_eq_u32_e32 vcc_lo, 1, v4
                                        ; implicit-def: $vgpr4_vgpr5
                                        ; kill: killed $vgpr4_vgpr5
	s_and_saveexec_b32 s5, vcc_lo
	s_cbranch_execz .LBB6_26
; %bb.25:
	flat_load_dwordx2 v[6:7], v[17:18] offset:648
	v_or_b32_e32 v100, 0x2000, v100
	s_waitcnt vmcnt(0) lgkmcnt(0)
	flat_load_dwordx2 v[4:5], v[6:7]
	s_trap 2
	s_waitcnt vmcnt(0) lgkmcnt(0)
	ds_write_b64 v0, v[4:5]
	flat_load_dwordx2 v[4:5], v[6:7] offset:8
	s_waitcnt vmcnt(0) lgkmcnt(0)
	ds_write_b64 v0, v[4:5]
	buffer_store_dword v6, off, s[0:3], s33 offset:532 ; 4-byte Folded Spill
	buffer_store_dword v7, off, s[0:3], s33 offset:536 ; 4-byte Folded Spill
	flat_load_dwordx2 v[4:5], v[6:7] offset:16
	s_waitcnt vmcnt(0) lgkmcnt(0)
	ds_write_b64 v0, v[4:5]
.LBB6_26:
	s_or_b32 exec_lo, exec_lo, s5
	flat_load_dwordx2 v[4:5], v[17:18] offset:608
	v_and_b32_e32 v6, 32, v100
	s_mov_b32 s5, exec_lo
                                        ; implicit-def: $vgpr32_vgpr33
	s_waitcnt vmcnt(0) lgkmcnt(0)
	v_add_co_u32 v4, vcc_lo, v4, 3
	v_add_co_ci_u32_e64 v65, null, 0, v5, vcc_lo
	v_and_b32_e32 v64, -4, v4
	v_cmpx_ne_u32_e32 0, v6
	s_cbranch_execz .LBB6_28
; %bb.27:
	flat_load_dwordx2 v[32:33], v[17:18] offset:560
	s_waitcnt vmcnt(0) lgkmcnt(0)
	s_waitcnt_vscnt null, 0x0
	flat_store_dwordx2 v[32:33], v[64:65]
.LBB6_28:
	s_or_b32 exec_lo, exec_lo, s5
	v_add_co_u32 v21, vcc_lo, 0x1f8, v17
	v_mov_b32_e32 v112, 0
	v_and_b32_e32 v4, 4, v100
	v_add_co_ci_u32_e64 v22, null, 0, v18, vcc_lo
	v_mov_b32_e32 v113, 0
	s_mov_b32 s5, exec_lo
                                        ; implicit-def: $vgpr54
                                        ; implicit-def: $vgpr34_vgpr35
                                        ; implicit-def: $vgpr48_vgpr49
	v_cmpx_ne_u32_e32 0, v4
	s_cbranch_execz .LBB6_32
; %bb.29:
	v_and_b32_e32 v4, 0x800, v100
	s_mov_b32 s6, exec_lo
	v_cmpx_eq_u32_e32 0, v4
	s_cbranch_execz .LBB6_31
; %bb.30:
	s_trap 2
	ds_write_b64 v0, v[21:22]
.LBB6_31:
	s_or_b32 exec_lo, exec_lo, s6
	flat_load_dwordx2 v[32:33], v[17:18] offset:552
	v_or_b32_e32 v4, 0x100, v100
	s_waitcnt vmcnt(0) lgkmcnt(0)
	flat_load_dwordx2 v[48:49], v[32:33] glc dlc
	s_clause 0x2
	flat_load_dwordx2 v[112:113], v[17:18] offset:600
	flat_load_dword v54, v[17:18] offset:576
	flat_load_dwordx2 v[34:35], v[17:18] offset:520
	s_waitcnt vmcnt(2) lgkmcnt(2)
	v_cmp_eq_u64_e32 vcc_lo, 0, v[112:113]
	v_cndmask_b32_e32 v100, v4, v100, vcc_lo
.LBB6_32:
	s_or_b32 exec_lo, exec_lo, s5
.LBB6_33:
	s_or_b32 exec_lo, exec_lo, s4
	v_and_b32_e32 v4, 24, v100
	s_mov_b32 s4, exec_lo
                                        ; implicit-def: $vgpr70_vgpr71
	v_cmpx_ne_u32_e32 0, v4
	s_cbranch_execz .LBB6_41
; %bb.34:
	s_trap 2
	ds_read_b64 v[4:5], v0
	s_waitcnt lgkmcnt(1)
	v_ashrrev_i32_e32 v9, 31, v8
	v_and_b32_e32 v1, 0xffff, v1
	s_mov_b32 s5, exec_lo
                                        ; implicit-def: $vgpr70_vgpr71
	v_lshlrev_b64 v[6:7], 3, v[8:9]
	s_waitcnt lgkmcnt(0)
	v_add_co_u32 v4, vcc_lo, v4, v6
	v_add_co_ci_u32_e64 v5, null, v5, v7, vcc_lo
	flat_load_dwordx2 v[4:5], v[4:5]
	s_waitcnt vmcnt(0) lgkmcnt(0)
	v_mad_u64_u32 v[21:22], null, 0xa8, v1, v[4:5]
	v_or_b32_e32 v1, 0x100, v100
	flat_load_dwordx4 v[112:115], v[21:22] offset:96
	s_waitcnt vmcnt(0) lgkmcnt(0)
	v_cmp_eq_u64_e32 vcc_lo, 0, v[112:113]
	v_cndmask_b32_e32 v100, v1, v100, vcc_lo
	v_and_b32_e32 v1, 16, v100
	v_cmpx_ne_u32_e32 0, v1
	s_cbranch_execz .LBB6_36
; %bb.35:
	s_clause 0x2
	flat_load_dwordx2 v[32:33], v[21:22] offset:48
	flat_load_dwordx2 v[70:71], v[21:22] offset:120
	;; [unrolled: 1-line block ×3, first 2 shown]
.LBB6_36:
	s_or_b32 exec_lo, exec_lo, s5
	v_add_co_u32 v1, vcc_lo, v114, 3
	v_and_b32_e32 v4, 8, v100
	v_add_co_ci_u32_e64 v65, null, 0, v115, vcc_lo
	v_and_b32_e32 v64, -4, v1
	s_mov_b32 s5, exec_lo
	v_cmpx_ne_u32_e32 0, v4
	s_cbranch_execz .LBB6_40
; %bb.37:
	v_and_b32_e32 v1, 0x800, v100
	s_mov_b32 s6, exec_lo
	v_cmpx_eq_u32_e32 0, v1
	s_cbranch_execz .LBB6_39
; %bb.38:
	s_trap 2
	ds_write_b64 v0, v[21:22]
.LBB6_39:
	s_or_b32 exec_lo, exec_lo, s6
	s_waitcnt vmcnt(2) lgkmcnt(2)
	flat_load_dwordx2 v[32:33], v[21:22] offset:56
	s_waitcnt vmcnt(0) lgkmcnt(0)
	flat_load_dwordx2 v[48:49], v[32:33] glc dlc
	s_clause 0x1
	flat_load_dword v54, v[21:22] offset:72
	flat_load_dwordx2 v[34:35], v[21:22] offset:16
.LBB6_40:
	s_or_b32 exec_lo, exec_lo, s5
.LBB6_41:
	s_or_b32 exec_lo, exec_lo, s4
	buffer_load_dword v1, off, s[0:3], s33 offset:204 ; 4-byte Folded Reload
	s_waitcnt vmcnt(0)
	v_cmp_eq_u32_e64 s4, 0, v1
	s_and_saveexec_b32 s5, s4
	s_cbranch_execz .LBB6_43
; %bb.42:
	flat_load_dwordx2 v[4:5], v[2:3] offset:32
	v_mov_b32_e32 v6, v12
	v_mov_b32_e32 v7, v13
	s_waitcnt lgkmcnt(1)
	v_mov_b32_e32 v8, v10
	v_mov_b32_e32 v9, v11
	ds_write2_b64 v0, v[6:7], v[8:9] offset1:1
	s_trap 2
	s_waitcnt vmcnt(0) lgkmcnt(1)
	ds_write_b64 v0, v[4:5]
	ds_write_b64 v0, v[15:16]
.LBB6_43:
	s_or_b32 exec_lo, exec_lo, s5
	s_clause 0x3
	buffer_load_dword v4, off, s[0:3], s33 offset:480
	buffer_load_dword v5, off, s[0:3], s33 offset:484
	;; [unrolled: 1-line block ×4, first 2 shown]
	v_mov_b32_e32 v38, 0
	v_mov_b32_e32 v39, 0
	s_mov_b32 s26, exec_lo
	s_waitcnt vmcnt(2)
	v_cmpx_lt_i64_e32 0, v[4:5]
	s_cbranch_execnz .LBB6_44
; %bb.17779:
	s_getpc_b64 s[34:35]
.Lpost_getpc27:
	s_add_u32 s34, s34, (.LBB6_17728-.Lpost_getpc27)&4294967295
	s_addc_u32 s35, s35, (.LBB6_17728-.Lpost_getpc27)>>32
	s_setpc_b64 s[34:35]
.LBB6_44:
	buffer_store_dword v21, off, s[0:3], s33 offset:524 ; 4-byte Folded Spill
	buffer_store_dword v22, off, s[0:3], s33 offset:528 ; 4-byte Folded Spill
	buffer_load_dword v4, off, s[0:3], s33 offset:204 ; 4-byte Folded Reload
	flat_load_dword v1, v[2:3] offset:4
	v_mov_b32_e32 v2, 0
	s_waitcnt vmcnt(3)
	v_and_b32_e32 v6, 0x3ffffe00, v14
	s_waitcnt lgkmcnt(2)
	v_ashrrev_i32_e32 v5, 31, v54
	buffer_store_dword v31, off, s[0:3], s33 offset:516 ; 4-byte Folded Spill
	buffer_store_dword v20, off, s[0:3], s33 offset:520 ; 4-byte Folded Spill
	s_waitcnt vmcnt(2)
	v_mov_b32_e32 v7, v2
	buffer_store_dword v19, off, s[0:3], s33 offset:512 ; 4-byte Folded Spill
	buffer_store_dword v5, off, s[0:3], s33 offset:200 ; 4-byte Folded Spill
	;; [unrolled: 1-line block ×4, first 2 shown]
	s_ashr_i32 s28, s25, 31
	v_and_b32_e32 v3, 31, v31
	s_add_u32 s40, s25, -1
	s_addc_u32 s41, s28, -1
	s_add_i32 s42, s25, s25
	s_not_b32 s11, s25
	s_cmp_gt_i32 s25, 0
	v_and_b32_e32 v114, 0x1fe0, v19
	s_cselect_b32 s16, s11, -1
	v_cmp_eq_u32_e64 s11, 0, v3
	s_ashr_i32 s17, s15, 31
	v_lshrrev_b32_e32 v103, 5, v19
	s_add_i32 s43, s16, s42
	s_lshr_b32 s16, s17, 25
	s_ashr_i32 s44, s43, 31
	s_add_i32 s15, s15, s16
	v_cmp_eq_u64_e64 s7, 0, v[70:71]
	s_ashr_i32 s45, s15, 7
	s_cmp_gt_i32 s25, 2
	v_cmp_ne_u64_e64 s10, 0, v[70:71]
	s_cselect_b32 s46, -1, 0
	s_add_i32 s17, s25, 1
	v_mov_b32_e32 v38, 0
	v_cmp_eq_u32_e64 s5, 32, v19
	v_cmp_ne_u32_e64 s6, 32, v19
	v_cmp_ne_u32_sdwa s29, v19, v20 src0_sel:DWORD src1_sel:WORD_0
	v_mov_b32_e32 v116, 0x7f
	v_mov_b32_e32 v117, 0x80
	;; [unrolled: 1-line block ×6, first 2 shown]
	v_lshlrev_b32_e32 v46, 10, v103
	v_lshlrev_b32_e32 v47, 11, v103
	s_mov_b32 s27, 0
	s_waitcnt vmcnt(1)
	v_and_b32_e32 v5, 31, v4
	v_cmp_ge_u32_e32 vcc_lo, v4, v19
	v_lshrrev_b32_e32 v4, 5, v4
	v_lshlrev_b32_e32 v3, 4, v5
	v_cmp_lt_u32_e64 s13, v5, v0
	v_cmp_le_u32_e64 s14, v5, v0
	v_cmp_eq_u32_e64 s12, 0, v5
	buffer_store_dword v5, off, s[0:3], s33 offset:420 ; 4-byte Folded Spill
	v_lshl_or_b32 v0, v4, 11, v3
	v_subrev_nc_u32_e32 v5, 32, v114
	v_mad_i64_i32 v[9:10], null, v6, s25, 0
	v_lshlrev_b32_e32 v6, 9, v103
	buffer_store_dword v0, off, s[0:3], s33 offset:440 ; 4-byte Folded Spill
	s_waitcnt vmcnt(0) lgkmcnt(0)
	v_and_b32_e32 v0, 1, v1
	v_ashrrev_i32_e32 v7, 31, v5
	v_lshl_or_b32 v1, v4, 12, v3
	v_add_nc_u32_e32 v6, 0xfffffe00, v6
	buffer_store_dword v4, off, s[0:3], s33 offset:332 ; 4-byte Folded Spill
	v_cmp_eq_u32_e64 s15, 1, v0
	v_add_co_u32 v0, s16, v5, 32
	buffer_store_dword v1, off, s[0:3], s33 offset:336 ; 4-byte Folded Spill
	buffer_store_dword v0, off, s[0:3], s33 offset:192 ; 4-byte Folded Spill
	;; [unrolled: 1-line block ×3, first 2 shown]
	v_add_co_ci_u32_e64 v0, null, 0, v7, s16
	v_ashrrev_i32_e32 v1, 31, v6
	buffer_store_dword v6, off, s[0:3], s33 offset:208 ; 4-byte Folded Spill
	s_xor_b32 s47, s15, -1
	buffer_store_dword v0, off, s[0:3], s33 offset:196 ; 4-byte Folded Spill
	v_add_co_u32 v0, s16, 0x200, v6
	buffer_store_dword v0, off, s[0:3], s33 offset:216 ; 4-byte Folded Spill
	buffer_store_dword v1, off, s[0:3], s33 offset:212 ; 4-byte Folded Spill
	v_add_co_ci_u32_e64 v0, null, 0, v1, s16
	s_cmp_ge_i32 s17, s25
	s_cselect_b32 s16, s25, 0
	buffer_store_dword v0, off, s[0:3], s33 offset:220 ; 4-byte Folded Spill
	s_trap 2
	s_clause 0x3
	buffer_load_dword v3, off, s[0:3], s33 offset:480
	buffer_load_dword v4, off, s[0:3], s33 offset:484
	buffer_load_dword v5, off, s[0:3], s33 offset:488
	buffer_load_dword v6, off, s[0:3], s33 offset:492
	s_sub_i32 s58, s17, s16
	s_add_i32 s56, s25, -2
	s_xor_b32 s57, vcc_lo, -1
	s_ashr_i32 s20, s28, 31
	s_ashr_i32 s59, s58, 31
	s_sub_i32 s60, 0, s25
	buffer_store_dword v9, off, s[0:3], s33 offset:504 ; 4-byte Folded Spill
	buffer_store_dword v10, off, s[0:3], s33 offset:508 ; 4-byte Folded Spill
	buffer_store_dword v112, off, s[0:3], s33 offset:224 ; 4-byte Folded Spill
	buffer_store_dword v113, off, s[0:3], s33 offset:228 ; 4-byte Folded Spill
	buffer_store_dword v114, off, s[0:3], s33 offset:232 ; 4-byte Folded Spill
	buffer_store_dword v115, off, s[0:3], s33 offset:236 ; 4-byte Folded Spill
	buffer_store_dword v54, off, s[0:3], s33 offset:256 ; 4-byte Folded Spill
	buffer_store_dword v70, off, s[0:3], s33 offset:240 ; 4-byte Folded Spill
	buffer_store_dword v71, off, s[0:3], s33 offset:244 ; 4-byte Folded Spill
	s_waitcnt vmcnt(2)
	v_mov_b32_e32 v0, v3
	v_mov_b32_e32 v1, v4
	;; [unrolled: 1-line block ×4, first 2 shown]
	s_branch .LBB6_47
.LBB6_45:                               ;   in Loop: Header=BB6_47 Depth=1
	s_or_b32 exec_lo, exec_lo, s18
.LBB6_46:                               ;   in Loop: Header=BB6_47 Depth=1
	s_or_b32 exec_lo, exec_lo, s17
	s_clause 0x7
	buffer_load_dword v7, off, s[0:3], s33 offset:468
	buffer_load_dword v8, off, s[0:3], s33 offset:472
	;; [unrolled: 1-line block ×8, first 2 shown]
	s_waitcnt vmcnt(2)
	v_mov_b32_e32 v0, v3
	v_add_co_u32 v7, vcc_lo, v7, v9
	v_add_co_ci_u32_e64 v8, null, v8, v10, vcc_lo
	v_mov_b32_e32 v1, v4
	v_mov_b32_e32 v3, v7
	;; [unrolled: 1-line block ×3, first 2 shown]
	v_cmp_ge_i64_e32 vcc_lo, v[3:4], v[0:1]
	s_or_b32 s27, vcc_lo, s27
	s_andn2_b32 exec_lo, exec_lo, s27
	s_cbranch_execnz .LBB6_47
; %bb.17781:
	s_getpc_b64 s[34:35]
.Lpost_getpc28:
	s_add_u32 s34, s34, (.LBB6_17727-.Lpost_getpc28)&4294967295
	s_addc_u32 s35, s35, (.LBB6_17727-.Lpost_getpc28)>>32
	s_setpc_b64 s[34:35]
.LBB6_47:                               ; =>This Loop Header: Depth=1
                                        ;     Child Loop BB6_57 Depth 2
                                        ;       Child Loop BB6_65 Depth 3
                                        ;       Child Loop BB6_89 Depth 3
	;; [unrolled: 1-line block ×9, first 2 shown]
                                        ;     Child Loop BB6_3063 Depth 2
                                        ;       Child Loop BB6_3069 Depth 3
                                        ;       Child Loop BB6_3093 Depth 3
	;; [unrolled: 1-line block ×3, first 2 shown]
                                        ;     Child Loop BB6_3135 Depth 2
                                        ;       Child Loop BB6_3138 Depth 3
                                        ;         Child Loop BB6_3146 Depth 4
                                        ;         Child Loop BB6_3174 Depth 4
	;; [unrolled: 1-line block ×9, first 2 shown]
                                        ;       Child Loop BB6_7834 Depth 3
                                        ;         Child Loop BB6_7840 Depth 4
                                        ;         Child Loop BB6_7868 Depth 4
	;; [unrolled: 1-line block ×3, first 2 shown]
                                        ;     Child Loop BB6_7909 Depth 2
                                        ;       Child Loop BB6_7917 Depth 3
                                        ;       Child Loop BB6_7945 Depth 3
	;; [unrolled: 1-line block ×5, first 2 shown]
                                        ;         Child Loop BB6_11117 Depth 4
                                        ;       Child Loop BB6_11223 Depth 3
                                        ;       Child Loop BB6_12513 Depth 3
                                        ;         Child Loop BB6_12556 Depth 4
                                        ;       Child Loop BB6_12577 Depth 3
                                        ;       Child Loop BB6_15150 Depth 3
	;; [unrolled: 1-line block ×6, first 2 shown]
                                        ;     Child Loop BB6_17190 Depth 2
                                        ;       Child Loop BB6_17196 Depth 3
                                        ;       Child Loop BB6_17224 Depth 3
	;; [unrolled: 1-line block ×3, first 2 shown]
                                        ;     Child Loop BB6_17265 Depth 2
                                        ;       Child Loop BB6_17268 Depth 3
                                        ;         Child Loop BB6_17276 Depth 4
                                        ;         Child Loop BB6_17304 Depth 4
	;; [unrolled: 1-line block ×5, first 2 shown]
                                        ;           Child Loop BB6_17356 Depth 5
                                        ;         Child Loop BB6_17363 Depth 4
                                        ;         Child Loop BB6_17368 Depth 4
                                        ;           Child Loop BB6_17369 Depth 5
                                        ;         Child Loop BB6_17381 Depth 4
                                        ;         Child Loop BB6_17386 Depth 4
	;; [unrolled: 1-line block ×6, first 2 shown]
                                        ;       Child Loop BB6_17445 Depth 3
                                        ;         Child Loop BB6_17451 Depth 4
                                        ;         Child Loop BB6_17479 Depth 4
                                        ;         Child Loop BB6_17502 Depth 4
                                        ;     Child Loop BB6_17523 Depth 2
                                        ;       Child Loop BB6_17531 Depth 3
                                        ;       Child Loop BB6_17555 Depth 3
	;; [unrolled: 1-line block ×9, first 2 shown]
                                        ;     Child Loop BB6_17661 Depth 2
                                        ;       Child Loop BB6_17667 Depth 3
                                        ;       Child Loop BB6_17691 Depth 3
                                        ;       Child Loop BB6_17714 Depth 3
	buffer_store_dword v3, off, s[0:3], s33 offset:468 ; 4-byte Folded Spill
	buffer_store_dword v4, off, s[0:3], s33 offset:472 ; 4-byte Folded Spill
	s_mov_b32 s17, exec_lo
	v_sub_co_u32 v0, vcc_lo, v0, v3
	v_sub_co_ci_u32_e64 v1, null, v1, v4, vcc_lo
	buffer_store_dword v0, off, s[0:3], s33 offset:424 ; 4-byte Folded Spill
	buffer_store_dword v1, off, s[0:3], s33 offset:428 ; 4-byte Folded Spill
	v_cmpx_lt_i64_e64 v[0:1], v[9:10]
	s_cbranch_execz .LBB6_53
; %bb.48:                               ;   in Loop: Header=BB6_47 Depth=1
	s_clause 0x1
	buffer_load_dword v0, off, s[0:3], s33 offset:424
	buffer_load_dword v1, off, s[0:3], s33 offset:428
                                        ; implicit-def: $vgpr8_vgpr9
	s_mov_b32 s16, exec_lo
	s_waitcnt vmcnt(1)
	v_add_co_u32 v0, vcc_lo, s40, v0
	s_waitcnt vmcnt(0)
	v_add_co_ci_u32_e64 v1, null, s41, v1, vcc_lo
	v_or_b32_e32 v3, s28, v1
	v_cmpx_ne_u64_e32 0, v[2:3]
	s_xor_b32 s22, exec_lo, s16
	s_cbranch_execz .LBB6_50
; %bb.49:                               ;   in Loop: Header=BB6_47 Depth=1
	s_add_u32 s18, s25, s20
	s_mov_b32 s21, s20
	s_addc_u32 s19, s28, s20
	v_ashrrev_i32_e32 v7, 31, v1
	s_xor_b64 s[18:19], s[18:19], s[20:21]
	v_cvt_f32_u32_e32 v3, s18
	v_cvt_f32_u32_e32 v4, s19
	s_sub_u32 s16, 0, s18
	s_subb_u32 s61, 0, s19
	v_add_co_u32 v0, vcc_lo, v0, v7
	v_fmac_f32_e32 v3, 0x4f800000, v4
	v_add_co_ci_u32_e64 v1, null, v1, v7, vcc_lo
	v_xor_b32_e32 v8, v0, v7
	v_rcp_f32_e32 v3, v3
	v_xor_b32_e32 v9, v1, v7
	v_mul_f32_e32 v3, 0x5f7ffffc, v3
	v_mul_f32_e32 v4, 0x2f800000, v3
	v_trunc_f32_e32 v4, v4
	v_fmac_f32_e32 v3, 0xcf800000, v4
	v_cvt_u32_f32_e32 v4, v4
	v_cvt_u32_f32_e32 v3, v3
	v_readfirstlane_b32 s21, v4
	v_readfirstlane_b32 s23, v3
	s_mul_i32 s62, s16, s21
	s_mul_hi_u32 s72, s16, s23
	s_mul_i32 s63, s61, s23
	s_add_i32 s62, s72, s62
	s_mul_i32 s73, s16, s23
	s_add_i32 s62, s62, s63
	s_mul_hi_u32 s72, s23, s73
	s_mul_i32 s75, s23, s62
	s_mul_hi_u32 s74, s21, s73
	s_mul_i32 s63, s21, s73
	s_mul_hi_u32 s73, s23, s62
	s_add_u32 s72, s72, s75
	s_addc_u32 s73, 0, s73
	s_mul_hi_u32 s76, s21, s62
	s_add_u32 s63, s72, s63
	s_mul_i32 s62, s21, s62
	s_addc_u32 s63, s73, s74
	s_addc_u32 s72, s76, 0
	s_add_u32 s62, s63, s62
	s_addc_u32 s63, 0, s72
	s_add_u32 s23, s23, s62
	s_cselect_b32 s62, -1, 0
	s_mul_hi_u32 s72, s16, s23
	s_cmp_lg_u32 s62, 0
	s_mul_i32 s62, s16, s23
	s_addc_u32 s21, s21, s63
	s_mul_i32 s61, s61, s23
	s_mul_i32 s16, s16, s21
	s_mul_hi_u32 s63, s23, s62
	s_add_i32 s16, s72, s16
	s_mul_hi_u32 s72, s21, s62
	s_add_i32 s16, s16, s61
	s_mul_i32 s61, s21, s62
	s_mul_i32 s74, s23, s16
	s_mul_hi_u32 s73, s23, s16
	s_add_u32 s63, s63, s74
	s_addc_u32 s73, 0, s73
	s_mul_hi_u32 s62, s21, s16
	s_add_u32 s61, s63, s61
	s_mul_i32 s16, s21, s16
	s_addc_u32 s61, s73, s72
	s_addc_u32 s62, s62, 0
	s_add_u32 s16, s61, s16
	s_addc_u32 s61, 0, s62
	s_add_u32 s16, s23, s16
	s_cselect_b32 s23, -1, 0
	v_mul_hi_u32 v10, v8, s16
	s_cmp_lg_u32 s23, 0
	v_mad_u64_u32 v[3:4], null, v9, s16, 0
	s_addc_u32 s21, s21, s61
	v_mad_u64_u32 v[0:1], null, v8, s21, 0
	v_mad_u64_u32 v[5:6], null, v9, s21, 0
	v_add_co_u32 v0, vcc_lo, v10, v0
	v_add_co_ci_u32_e64 v1, null, 0, v1, vcc_lo
	v_add_co_u32 v0, vcc_lo, v0, v3
	v_add_co_ci_u32_e32 v0, vcc_lo, v1, v4, vcc_lo
	v_add_co_ci_u32_e32 v1, vcc_lo, 0, v6, vcc_lo
	v_add_co_u32 v3, vcc_lo, v0, v5
	v_add_co_ci_u32_e64 v4, null, 0, v1, vcc_lo
	v_mul_lo_u32 v5, s19, v3
	v_mad_u64_u32 v[0:1], null, s18, v3, 0
	v_mul_lo_u32 v6, s18, v4
	v_sub_co_u32 v0, vcc_lo, v8, v0
	v_add3_u32 v1, v1, v6, v5
	v_add_co_u32 v6, s16, v3, 2
	v_add_co_ci_u32_e64 v8, null, 0, v4, s16
	v_sub_nc_u32_e32 v5, v9, v1
	v_sub_co_u32 v10, s16, v0, s18
	v_sub_co_ci_u32_e64 v1, null, v9, v1, vcc_lo
	v_subrev_co_ci_u32_e64 v5, null, s19, v5, vcc_lo
	v_cmp_le_u32_e32 vcc_lo, s18, v10
	v_subrev_co_ci_u32_e64 v5, null, 0, v5, s16
	v_cndmask_b32_e64 v9, 0, -1, vcc_lo
	v_cmp_le_u32_e32 vcc_lo, s19, v5
	v_cndmask_b32_e64 v10, 0, -1, vcc_lo
	v_cmp_le_u32_e32 vcc_lo, s18, v0
	;; [unrolled: 2-line block ×3, first 2 shown]
	v_cndmask_b32_e64 v11, 0, -1, vcc_lo
	v_cmp_eq_u32_e32 vcc_lo, s19, v5
	v_cndmask_b32_e32 v5, v10, v9, vcc_lo
	v_add_co_u32 v9, vcc_lo, v3, 1
	v_add_co_ci_u32_e64 v10, null, 0, v4, vcc_lo
	v_cmp_eq_u32_e32 vcc_lo, s19, v1
	v_cndmask_b32_e32 v0, v11, v0, vcc_lo
	v_cmp_ne_u32_e32 vcc_lo, 0, v5
	v_xor_b32_e32 v5, s20, v7
	v_cmp_ne_u32_e64 s16, 0, v0
	v_cndmask_b32_e32 v0, v9, v6, vcc_lo
	v_cndmask_b32_e32 v1, v10, v8, vcc_lo
	v_cndmask_b32_e64 v0, v3, v0, s16
	v_cndmask_b32_e64 v1, v4, v1, s16
	v_xor_b32_e32 v0, v0, v5
	v_xor_b32_e32 v1, v1, v5
	v_sub_co_u32 v8, vcc_lo, v0, v5
	v_sub_co_ci_u32_e64 v9, null, v1, v5, vcc_lo
                                        ; implicit-def: $vgpr0
.LBB6_50:                               ;   in Loop: Header=BB6_47 Depth=1
	s_andn2_saveexec_b32 s16, s22
	s_cbranch_execz .LBB6_52
; %bb.51:                               ;   in Loop: Header=BB6_47 Depth=1
	v_cvt_f32_u32_e32 v1, s25
	v_mov_b32_e32 v9, v2
	v_rcp_iflag_f32_e32 v1, v1
	v_mul_f32_e32 v1, 0x4f7ffffe, v1
	v_cvt_u32_f32_e32 v1, v1
	v_mul_lo_u32 v3, s60, v1
	v_mul_hi_u32 v3, v1, v3
	v_add_nc_u32_e32 v1, v1, v3
	v_mul_hi_u32 v1, v0, v1
	v_mul_lo_u32 v3, v1, s25
	v_sub_nc_u32_e32 v0, v0, v3
	v_add_nc_u32_e32 v3, 1, v1
	v_subrev_nc_u32_e32 v4, s25, v0
	v_cmp_le_u32_e32 vcc_lo, s25, v0
	v_cndmask_b32_e32 v0, v0, v4, vcc_lo
	v_cndmask_b32_e32 v1, v1, v3, vcc_lo
	v_cmp_le_u32_e32 vcc_lo, s25, v0
	v_add_nc_u32_e32 v3, 1, v1
	v_cndmask_b32_e32 v8, v1, v3, vcc_lo
.LBB6_52:                               ;   in Loop: Header=BB6_47 Depth=1
	s_or_b32 exec_lo, exec_lo, s16
	v_add_co_u32 v0, vcc_lo, v8, 15
	v_add_co_ci_u32_e64 v1, null, 0, v9, vcc_lo
	v_and_b32_e32 v0, -16, v0
	buffer_store_dword v0, off, s[0:3], s33 offset:432 ; 4-byte Folded Spill
	buffer_store_dword v1, off, s[0:3], s33 offset:436 ; 4-byte Folded Spill
.LBB6_53:                               ;   in Loop: Header=BB6_47 Depth=1
	s_or_b32 exec_lo, exec_lo, s17
	s_clause 0x1
	buffer_load_dword v3, off, s[0:3], s33 offset:432
	buffer_load_dword v4, off, s[0:3], s33 offset:436
	v_mov_b32_e32 v71, 0
	s_waitcnt vmcnt(1)
	v_mul_lo_u32 v1, v3, s44
	s_waitcnt vmcnt(0)
	v_mul_lo_u32 v0, v4, s43
	v_mad_u64_u32 v[5:6], null, v3, s43, 0
	v_add3_u32 v6, v6, v1, v0
	s_clause 0x1
	buffer_load_dword v0, off, s[0:3], s33 offset:424
	buffer_load_dword v1, off, s[0:3], s33 offset:428
	s_waitcnt vmcnt(1)
	v_sub_co_u32 v0, vcc_lo, v0, v5
	buffer_store_dword v5, off, s[0:3], s33 offset:460 ; 4-byte Folded Spill
	buffer_store_dword v6, off, s[0:3], s33 offset:464 ; 4-byte Folded Spill
	s_waitcnt vmcnt(0)
	v_sub_co_ci_u32_e64 v1, null, v1, v6, vcc_lo
	v_cmp_lt_i64_e32 vcc_lo, v[3:4], v[0:1]
	s_clause 0x3
	buffer_load_dword v4, off, s[0:3], s33 offset:496
	buffer_load_dword v5, off, s[0:3], s33 offset:500
	;; [unrolled: 1-line block ×4, first 2 shown]
	v_cndmask_b32_e32 v1, v0, v3, vcc_lo
	v_max_i32_e32 v12, 0, v1
	v_add_nc_u32_e32 v0, 31, v12
	v_lshrrev_b32_e32 v0, 1, v0
	v_and_b32_e32 v3, 0x3ffffff0, v0
	v_max_i32_e32 v18, s45, v3
	s_waitcnt vmcnt(1)
	v_add_co_u32 v0, vcc_lo, v6, v4
	buffer_store_dword v0, off, s[0:3], s33 offset:248 ; 4-byte Folded Spill
	s_waitcnt vmcnt(0)
	v_add_co_ci_u32_e64 v0, null, v7, v5, vcc_lo
	v_cmp_lt_i32_e32 vcc_lo, 0, v1
	buffer_store_dword v0, off, s[0:3], s33 offset:252 ; 4-byte Folded Spill
	v_mov_b32_e32 v0, 0
	s_and_b32 s16, s57, vcc_lo
	s_and_saveexec_b32 s18, s16
	s_cbranch_execz .LBB6_3059
; %bb.54:                               ;   in Loop: Header=BB6_47 Depth=1
	v_mov_b32_e32 v71, 0
	s_mov_b32 s22, 1
	s_mov_b32 s21, -1
	s_mov_b32 s19, 0
	buffer_store_dword v12, off, s[0:3], s33 offset:456 ; 4-byte Folded Spill
	s_branch .LBB6_57
.LBB6_55:                               ;   in Loop: Header=BB6_57 Depth=2
	s_or_b32 exec_lo, exec_lo, s17
	v_add_co_u32 v64, vcc_lo, v64, 2
	v_add_co_ci_u32_e64 v65, null, 0, v65, vcc_lo
	s_waitcnt vmcnt(0) lgkmcnt(0)
	s_waitcnt_vscnt null, 0x0
	flat_store_dwordx2 v[32:33], v[64:65]
.LBB6_56:                               ;   in Loop: Header=BB6_57 Depth=2
	s_or_b32 exec_lo, exec_lo, s16
	s_waitcnt vmcnt(1)
	v_add_nc_u32_e32 v71, v18, v71
	s_xor_b32 s16, s21, -1
	v_mov_b32_e32 v0, s22
	s_mov_b32 s21, 0
	s_mov_b32 s22, 2
	v_cmp_ge_i32_e32 vcc_lo, v71, v12
	s_or_b32 s16, s16, vcc_lo
	s_and_b32 s16, exec_lo, s16
	s_or_b32 s19, s16, s19
	s_andn2_b32 exec_lo, exec_lo, s19
	s_cbranch_execz .LBB6_3058
.LBB6_57:                               ;   Parent Loop BB6_47 Depth=1
                                        ; =>  This Loop Header: Depth=2
                                        ;       Child Loop BB6_65 Depth 3
                                        ;       Child Loop BB6_89 Depth 3
	;; [unrolled: 1-line block ×9, first 2 shown]
	s_and_saveexec_b32 s16, s4
	s_cbranch_execz .LBB6_59
; %bb.58:                               ;   in Loop: Header=BB6_57 Depth=2
	s_trap 2
	buffer_load_dword v3, off, s[0:3], s33 offset:248 ; 4-byte Folded Reload
	ds_read_b64 v[0:1], v0
	s_waitcnt vmcnt(0) lgkmcnt(0)
	v_add_co_u32 v0, vcc_lo, v0, v3
	s_clause 0x2
	buffer_load_dword v3, off, s[0:3], s33 offset:252
	buffer_load_dword v4, off, s[0:3], s33 offset:460
	;; [unrolled: 1-line block ×3, first 2 shown]
	s_waitcnt vmcnt(2)
	v_add_co_ci_u32_e64 v1, null, v1, v3, vcc_lo
	s_waitcnt vmcnt(1)
	v_add_co_u32 v0, vcc_lo, v0, v4
	v_ashrrev_i32_e32 v3, 31, v71
	s_waitcnt vmcnt(0)
	v_add_co_ci_u32_e64 v1, null, v1, v5, vcc_lo
	v_add_co_u32 v0, vcc_lo, v0, v71
	v_add_co_ci_u32_e64 v1, null, v1, v3, vcc_lo
	v_mov_b32_e32 v3, v2
	ds_write_b64 v0, v[0:1]
	ds_write_b64 v0, v[2:3]
.LBB6_59:                               ;   in Loop: Header=BB6_57 Depth=2
	s_or_b32 exec_lo, exec_lo, s16
	v_sub_nc_u32_e32 v0, v12, v71
	v_and_b32_e32 v1, 8, v100
	s_mov_b32 s17, exec_lo
	v_min_i32_e32 v18, v18, v0
	v_cmpx_ne_u32_e32 0, v1
	s_cbranch_execz .LBB6_81
; %bb.60:                               ;   in Loop: Header=BB6_57 Depth=2
	s_waitcnt vmcnt(0) lgkmcnt(1)
	v_add_co_u32 v0, vcc_lo, v48, 8
	v_add_co_ci_u32_e64 v1, null, 0, v49, vcc_lo
	v_add_co_u32 v8, vcc_lo, v64, 2
	v_add_co_ci_u32_e64 v9, null, 0, v65, vcc_lo
	s_mov_b32 s23, exec_lo
	v_cmpx_lt_u64_e64 v[0:1], v[8:9]
	s_cbranch_execz .LBB6_72
; %bb.61:                               ;   in Loop: Header=BB6_57 Depth=2
	v_and_b32_e32 v0, 64, v100
	s_mov_b32 s61, 0
	s_mov_b32 s73, 0
                                        ; implicit-def: $sgpr62
                                        ; implicit-def: $sgpr63
                                        ; implicit-def: $sgpr72
	v_cmp_eq_u32_e32 vcc_lo, 0, v0
	s_branch .LBB6_65
.LBB6_62:                               ;   in Loop: Header=BB6_65 Depth=3
	s_waitcnt vmcnt(0) lgkmcnt(0)
	v_add_co_u32 v3, s16, v48, 8
	v_add_co_ci_u32_e64 v4, null, 0, v49, s16
	s_or_b32 s76, s76, exec_lo
	v_cmp_ge_u64_e64 s16, v[3:4], v[8:9]
	s_orn2_b32 s75, s16, exec_lo
.LBB6_63:                               ;   in Loop: Header=BB6_65 Depth=3
	s_or_b32 exec_lo, exec_lo, s78
	s_andn2_b32 s16, s72, exec_lo
	s_and_b32 s72, s76, exec_lo
	s_andn2_b32 s63, s63, exec_lo
	s_and_b32 s75, s75, exec_lo
	s_or_b32 s72, s16, s72
	s_or_b32 s63, s63, s75
.LBB6_64:                               ;   in Loop: Header=BB6_65 Depth=3
	s_or_b32 exec_lo, exec_lo, s74
	s_and_b32 s16, exec_lo, s63
	s_or_b32 s61, s16, s61
	s_andn2_b32 s16, s62, exec_lo
	s_and_b32 s62, s72, exec_lo
	s_or_b32 s62, s16, s62
	s_andn2_b32 exec_lo, exec_lo, s61
	s_cbranch_execz .LBB6_69
.LBB6_65:                               ;   Parent Loop BB6_47 Depth=1
                                        ;     Parent Loop BB6_57 Depth=2
                                        ; =>    This Inner Loop Header: Depth=3
	s_sleep 1
	s_waitcnt vmcnt(0) lgkmcnt(0)
	flat_load_dwordx2 v[48:49], v[32:33] glc dlc
	s_or_b32 s72, s72, exec_lo
	s_or_b32 s63, s63, exec_lo
                                        ; implicit-def: $vgpr0
	s_and_saveexec_b32 s74, vcc_lo
	s_cbranch_execz .LBB6_64
; %bb.66:                               ;   in Loop: Header=BB6_65 Depth=3
	s_cmpk_lt_i32 s73, 0x270f
	s_mov_b32 s75, -1
	s_cselect_b32 s77, -1, 0
	s_cmpk_gt_i32 s73, 0x270e
	s_cbranch_scc0 .LBB6_68
; %bb.67:                               ;   in Loop: Header=BB6_65 Depth=3
	s_trap 2
	ds_read_b64 v[0:1], v0
	s_andn2_b32 s73, s77, exec_lo
	s_mov_b32 s76, 0
	s_waitcnt vmcnt(0) lgkmcnt(0)
	s_waitcnt_vscnt null, 0x0
	flat_load_dword v0, v[0:1] glc dlc
	s_waitcnt vmcnt(0) lgkmcnt(0)
	buffer_gl1_inv
	buffer_gl0_inv
	v_cmp_eq_u32_e64 s16, 0, v0
	s_and_b32 s16, s16, exec_lo
	s_or_b32 s77, s73, s16
	s_mov_b32 s73, 0
	s_and_saveexec_b32 s78, s77
	s_cbranch_execz .LBB6_63
	s_branch .LBB6_62
.LBB6_68:                               ;   in Loop: Header=BB6_65 Depth=3
	s_add_i32 s73, s73, 1
	s_mov_b32 s76, -1
                                        ; implicit-def: $vgpr0
	s_and_saveexec_b32 s78, s77
	s_cbranch_execz .LBB6_63
	s_branch .LBB6_62
.LBB6_69:                               ;   in Loop: Header=BB6_57 Depth=2
	s_or_b32 exec_lo, exec_lo, s61
	s_xor_b32 s16, s62, -1
	s_and_saveexec_b32 s61, s16
	s_xor_b32 s16, exec_lo, s61
	s_cbranch_execz .LBB6_71
; %bb.70:                               ;   in Loop: Header=BB6_57 Depth=2
	v_or_b32_e32 v100, 64, v100
	s_waitcnt vmcnt(0) lgkmcnt(0)
	s_waitcnt_vscnt null, 0x0
	ds_write_b32 v0, v0
	s_trap 2
.LBB6_71:                               ;   in Loop: Header=BB6_57 Depth=2
	s_or_b32 exec_lo, exec_lo, s16
.LBB6_72:                               ;   in Loop: Header=BB6_57 Depth=2
	s_or_b32 exec_lo, exec_lo, s23
	v_and_b32_e32 v0, 0x100, v100
	s_mov_b32 s16, -1
	;;#ASMSTART
	s_wakeup
	;;#ASMEND
                                        ; implicit-def: $vgpr10_vgpr11
	v_cmp_ne_u32_e32 vcc_lo, 0, v0
	v_and_b32_e32 v0, 7, v64
	s_and_saveexec_b32 s23, vcc_lo
	s_cbranch_execz .LBB6_76
; %bb.73:                               ;   in Loop: Header=BB6_57 Depth=2
	s_clause 0x3
	buffer_load_dword v3, off, s[0:3], s33 offset:224
	buffer_load_dword v4, off, s[0:3], s33 offset:228
	;; [unrolled: 1-line block ×4, first 2 shown]
	v_ashrrev_i32_e32 v19, 31, v18
	s_mov_b32 s61, exec_lo
                                        ; implicit-def: $vgpr10_vgpr11
	s_waitcnt vmcnt(2)
	v_mad_u64_u32 v[16:17], null, v0, 24, v[3:4]
	flat_load_dword v1, v[16:17]
	flat_store_dwordx2 v[16:17], v[18:19] offset:8
	s_waitcnt vmcnt(0) lgkmcnt(1)
	v_cmp_ne_u32_e32 vcc_lo, 1, v1
	v_cmpx_eq_u32_e32 1, v1
	s_cbranch_execz .LBB6_75
; %bb.74:                               ;   in Loop: Header=BB6_57 Depth=2
	flat_load_dword v10, v[16:17] offset:4 glc dlc
	s_waitcnt vmcnt(0) lgkmcnt(0)
	v_ashrrev_i32_e32 v11, 31, v10
.LBB6_75:                               ;   in Loop: Header=BB6_57 Depth=2
	s_or_b32 exec_lo, exec_lo, s61
	s_orn2_b32 s16, vcc_lo, exec_lo
.LBB6_76:                               ;   in Loop: Header=BB6_57 Depth=2
	s_or_b32 exec_lo, exec_lo, s23
	s_and_saveexec_b32 s23, s16
	s_cbranch_execz .LBB6_78
; %bb.77:                               ;   in Loop: Header=BB6_57 Depth=2
	buffer_load_dword v1, off, s[0:3], s33 offset:256 ; 4-byte Folded Reload
	s_waitcnt vmcnt(0)
	v_mad_i64_i32 v[10:11], null, v0, v1, 0
.LBB6_78:                               ;   in Loop: Header=BB6_57 Depth=2
	s_or_b32 exec_lo, exec_lo, s23
	v_add_co_u32 v0, vcc_lo, v34, v10
	v_and_b32_e32 v3, 0x2000, v100
	v_add_co_ci_u32_e64 v1, null, v35, v11, vcc_lo
	s_mov_b32 s16, exec_lo
	ds_write_b64 v0, v[0:1] offset:784
	v_cmpx_ne_u32_e32 0, v3
	s_cbranch_execz .LBB6_80
; %bb.79:                               ;   in Loop: Header=BB6_57 Depth=2
	ds_read_b64 v[0:1], v0 offset:872
	s_waitcnt lgkmcnt(0)
	v_add_co_u32 v0, vcc_lo, v0, 1
	v_add_co_ci_u32_e64 v1, null, 0, v1, vcc_lo
	ds_write_b64 v0, v[0:1] offset:872
.LBB6_80:                               ;   in Loop: Header=BB6_57 Depth=2
	s_or_b32 exec_lo, exec_lo, s16
	v_mov_b32_e32 v65, v9
	v_mov_b32_e32 v64, v8
.LBB6_81:                               ;   in Loop: Header=BB6_57 Depth=2
	s_or_b32 exec_lo, exec_lo, s17
	s_and_saveexec_b32 s16, s6
	s_cbranch_execz .LBB6_100
; %bb.82:                               ;   in Loop: Header=BB6_57 Depth=2
	s_and_saveexec_b32 s17, s29
	s_xor_b32 s17, exec_lo, s17
	s_cbranch_execz .LBB6_97
; %bb.83:                               ;   in Loop: Header=BB6_57 Depth=2
	s_and_saveexec_b32 s23, s11
	s_cbranch_execz .LBB6_96
; %bb.84:                               ;   in Loop: Header=BB6_57 Depth=2
	s_mov_b32 s62, exec_lo
	s_mov_b32 s61, exec_lo
	v_mbcnt_lo_u32_b32 v0, s62, 0
	s_waitcnt vmcnt(0) lgkmcnt(0)
	s_waitcnt_vscnt null, 0x0
	buffer_gl1_inv
	buffer_gl0_inv
	v_cmpx_eq_u32_e32 0, v0
	s_cbranch_execz .LBB6_86
; %bb.85:                               ;   in Loop: Header=BB6_57 Depth=2
	s_bcnt1_i32_b32 s62, s62
	v_mov_b32_e32 v1, v2
	v_mov_b32_e32 v0, s62
	ds_add_u64 v0, v[0:1]
	s_trap 2
.LBB6_86:                               ;   in Loop: Header=BB6_57 Depth=2
	s_or_b32 exec_lo, exec_lo, s61
	s_trap 2
	ds_read_b64 v[0:1], v0
	s_waitcnt lgkmcnt(0)
	buffer_gl0_inv
	v_add_co_u32 v38, vcc_lo, v38, v103
	v_add_co_ci_u32_e64 v39, null, 0, v39, vcc_lo
	s_mov_b32 s61, exec_lo
	v_cmpx_lt_u64_e64 v[0:1], v[38:39]
	s_cbranch_execz .LBB6_95
; %bb.87:                               ;   in Loop: Header=BB6_57 Depth=2
	s_mov_b32 s62, 0
	s_mov_b32 s73, 0
                                        ; implicit-def: $sgpr63
                                        ; implicit-def: $sgpr72
	s_inst_prefetch 0x1
	s_branch .LBB6_89
	.p2align	6
.LBB6_88:                               ;   in Loop: Header=BB6_89 Depth=3
	s_or_b32 exec_lo, exec_lo, s75
	s_and_b32 s74, exec_lo, s76
	s_or_b32 s62, s74, s62
	s_andn2_b32 s63, s63, exec_lo
	s_and_b32 s74, s72, exec_lo
	s_or_b32 s63, s63, s74
	s_andn2_b32 exec_lo, exec_lo, s62
	s_cbranch_execz .LBB6_93
.LBB6_89:                               ;   Parent Loop BB6_47 Depth=1
                                        ;     Parent Loop BB6_57 Depth=2
                                        ; =>    This Inner Loop Header: Depth=3
	s_add_i32 s73, s73, 1
	s_cmpk_lg_i32 s73, 0x2710
	s_cselect_b32 s74, -1, 0
	s_and_b32 vcc_lo, exec_lo, s74
	s_cbranch_vccz .LBB6_91
; %bb.90:                               ;   in Loop: Header=BB6_89 Depth=3
	s_mov_b32 s76, -1
	s_or_b32 s72, s72, exec_lo
	s_and_saveexec_b32 s75, s74
	s_cbranch_execz .LBB6_88
	s_branch .LBB6_92
	.p2align	6
.LBB6_91:                               ;   in Loop: Header=BB6_89 Depth=3
	s_trap 2
	ds_read_b64 v[0:1], v0
	s_andn2_b32 s74, s74, exec_lo
	s_mov_b32 s73, 0
	s_waitcnt lgkmcnt(0)
	flat_load_dword v0, v[0:1] glc dlc
	s_waitcnt vmcnt(0) lgkmcnt(0)
	buffer_gl1_inv
	buffer_gl0_inv
	v_cmp_eq_u32_e32 vcc_lo, 0, v0
	s_and_b32 s75, vcc_lo, exec_lo
	s_or_b32 s74, s74, s75
	s_mov_b32 s76, -1
	s_or_b32 s72, s72, exec_lo
	s_and_saveexec_b32 s75, s74
	s_cbranch_execz .LBB6_88
.LBB6_92:                               ;   in Loop: Header=BB6_89 Depth=3
	s_sleep 1
	s_trap 2
	ds_read_b64 v[0:1], v0
	s_waitcnt lgkmcnt(0)
	buffer_gl0_inv
	s_andn2_b32 s72, s72, exec_lo
	v_cmp_ge_u64_e32 vcc_lo, v[0:1], v[38:39]
	s_orn2_b32 s76, vcc_lo, exec_lo
	s_branch .LBB6_88
.LBB6_93:                               ;   in Loop: Header=BB6_57 Depth=2
	s_inst_prefetch 0x2
	s_or_b32 exec_lo, exec_lo, s62
	s_and_saveexec_b32 s62, s63
	s_xor_b32 s62, exec_lo, s62
	s_cbranch_execz .LBB6_95
; %bb.94:                               ;   in Loop: Header=BB6_57 Depth=2
	v_mov_b32_e32 v0, 1
	ds_write_b32 v0, v0
	s_trap 2
.LBB6_95:                               ;   in Loop: Header=BB6_57 Depth=2
	s_or_b32 exec_lo, exec_lo, s61
	;;#ASMSTART
	s_wakeup
	;;#ASMEND
.LBB6_96:                               ;   in Loop: Header=BB6_57 Depth=2
	s_or_b32 exec_lo, exec_lo, s23
.LBB6_97:                               ;   in Loop: Header=BB6_57 Depth=2
	s_andn2_saveexec_b32 s17, s17
	s_cbranch_execz .LBB6_99
; %bb.98:                               ;   in Loop: Header=BB6_57 Depth=2
	s_waitcnt vmcnt(0) lgkmcnt(0)
	s_waitcnt_vscnt null, 0x0
	buffer_gl1_inv
	buffer_gl0_inv
	s_barrier
.LBB6_99:                               ;   in Loop: Header=BB6_57 Depth=2
	s_or_b32 exec_lo, exec_lo, s17
.LBB6_100:                              ;   in Loop: Header=BB6_57 Depth=2
	s_or_b32 exec_lo, exec_lo, s16
	s_trap 2
	ds_read_b32 v0, v0
	v_and_b32_e32 v1, 0x4000, v100
	s_xor_b32 s16, s5, -1
	v_cmp_ne_u32_e32 vcc_lo, 0, v1
	s_and_b32 s17, s16, vcc_lo
	s_and_saveexec_b32 s16, s17
	s_cbranch_execz .LBB6_119
; %bb.101:                              ;   in Loop: Header=BB6_57 Depth=2
	s_and_saveexec_b32 s17, s29
	s_xor_b32 s17, exec_lo, s17
	s_cbranch_execz .LBB6_116
; %bb.102:                              ;   in Loop: Header=BB6_57 Depth=2
	s_and_saveexec_b32 s23, s11
	s_cbranch_execz .LBB6_115
; %bb.103:                              ;   in Loop: Header=BB6_57 Depth=2
	s_mov_b32 s62, exec_lo
	s_mov_b32 s61, exec_lo
	v_mbcnt_lo_u32_b32 v1, s62, 0
	s_waitcnt vmcnt(0) lgkmcnt(0)
	s_waitcnt_vscnt null, 0x0
	buffer_gl1_inv
	buffer_gl0_inv
	v_cmpx_eq_u32_e32 0, v1
	s_cbranch_execz .LBB6_105
; %bb.104:                              ;   in Loop: Header=BB6_57 Depth=2
	s_bcnt1_i32_b32 s62, s62
	v_mov_b32_e32 v4, v2
	v_mov_b32_e32 v3, s62
	ds_add_u64 v0, v[3:4]
	s_trap 2
.LBB6_105:                              ;   in Loop: Header=BB6_57 Depth=2
	s_or_b32 exec_lo, exec_lo, s61
	s_trap 2
	ds_read_b64 v[3:4], v0
	s_waitcnt lgkmcnt(0)
	buffer_gl0_inv
	v_add_co_u32 v38, vcc_lo, v38, v103
	v_add_co_ci_u32_e64 v39, null, 0, v39, vcc_lo
	s_mov_b32 s61, exec_lo
	v_cmpx_lt_u64_e64 v[3:4], v[38:39]
	s_cbranch_execz .LBB6_114
; %bb.106:                              ;   in Loop: Header=BB6_57 Depth=2
	s_mov_b32 s62, 0
	s_mov_b32 s73, 0
                                        ; implicit-def: $sgpr63
                                        ; implicit-def: $sgpr72
	s_inst_prefetch 0x1
	s_branch .LBB6_108
	.p2align	6
.LBB6_107:                              ;   in Loop: Header=BB6_108 Depth=3
	s_or_b32 exec_lo, exec_lo, s75
	s_and_b32 s74, exec_lo, s76
	s_or_b32 s62, s74, s62
	s_andn2_b32 s63, s63, exec_lo
	s_and_b32 s74, s72, exec_lo
	s_or_b32 s63, s63, s74
	s_andn2_b32 exec_lo, exec_lo, s62
	s_cbranch_execz .LBB6_112
.LBB6_108:                              ;   Parent Loop BB6_47 Depth=1
                                        ;     Parent Loop BB6_57 Depth=2
                                        ; =>    This Inner Loop Header: Depth=3
	s_add_i32 s73, s73, 1
	s_cmpk_lg_i32 s73, 0x2710
	s_cselect_b32 s74, -1, 0
	s_and_b32 vcc_lo, exec_lo, s74
	s_cbranch_vccz .LBB6_110
; %bb.109:                              ;   in Loop: Header=BB6_108 Depth=3
	s_mov_b32 s76, -1
	s_or_b32 s72, s72, exec_lo
	s_and_saveexec_b32 s75, s74
	s_cbranch_execz .LBB6_107
	s_branch .LBB6_111
	.p2align	6
.LBB6_110:                              ;   in Loop: Header=BB6_108 Depth=3
	s_trap 2
	ds_read_b64 v[3:4], v0
	s_andn2_b32 s74, s74, exec_lo
	s_mov_b32 s73, 0
	s_waitcnt lgkmcnt(0)
	flat_load_dword v1, v[3:4] glc dlc
	s_waitcnt vmcnt(0) lgkmcnt(0)
	buffer_gl1_inv
	buffer_gl0_inv
	v_cmp_eq_u32_e32 vcc_lo, 0, v1
	s_and_b32 s75, vcc_lo, exec_lo
	s_or_b32 s74, s74, s75
	s_mov_b32 s76, -1
	s_or_b32 s72, s72, exec_lo
	s_and_saveexec_b32 s75, s74
	s_cbranch_execz .LBB6_107
.LBB6_111:                              ;   in Loop: Header=BB6_108 Depth=3
	s_sleep 1
	s_trap 2
	ds_read_b64 v[3:4], v0
	s_waitcnt lgkmcnt(0)
	buffer_gl0_inv
	s_andn2_b32 s72, s72, exec_lo
	v_cmp_ge_u64_e32 vcc_lo, v[3:4], v[38:39]
	s_orn2_b32 s76, vcc_lo, exec_lo
	s_branch .LBB6_107
.LBB6_112:                              ;   in Loop: Header=BB6_57 Depth=2
	s_inst_prefetch 0x2
	s_or_b32 exec_lo, exec_lo, s62
	s_and_saveexec_b32 s62, s63
	s_xor_b32 s62, exec_lo, s62
	s_cbranch_execz .LBB6_114
; %bb.113:                              ;   in Loop: Header=BB6_57 Depth=2
	v_mov_b32_e32 v1, 1
	ds_write_b32 v0, v1
	s_trap 2
.LBB6_114:                              ;   in Loop: Header=BB6_57 Depth=2
	s_or_b32 exec_lo, exec_lo, s61
	;;#ASMSTART
	s_wakeup
	;;#ASMEND
.LBB6_115:                              ;   in Loop: Header=BB6_57 Depth=2
	s_or_b32 exec_lo, exec_lo, s23
.LBB6_116:                              ;   in Loop: Header=BB6_57 Depth=2
	s_andn2_saveexec_b32 s17, s17
	s_cbranch_execz .LBB6_118
; %bb.117:                              ;   in Loop: Header=BB6_57 Depth=2
	s_waitcnt vmcnt(0) lgkmcnt(0)
	s_waitcnt_vscnt null, 0x0
	buffer_gl1_inv
	buffer_gl0_inv
	s_barrier
.LBB6_118:                              ;   in Loop: Header=BB6_57 Depth=2
	s_or_b32 exec_lo, exec_lo, s17
.LBB6_119:                              ;   in Loop: Header=BB6_57 Depth=2
	s_or_b32 exec_lo, exec_lo, s16
	s_trap 2
	s_waitcnt lgkmcnt(0)
	ds_read_b64 v[16:17], v0
	s_waitcnt lgkmcnt(0)
	v_cmp_eq_u64_e32 vcc_lo, 0, v[16:17]
	s_cbranch_vccnz .LBB6_127
; %bb.120:                              ;   in Loop: Header=BB6_57 Depth=2
	buffer_store_dword v18, off, s[0:3], s33 offset:444 ; 4-byte Folded Spill
	s_waitcnt vmcnt(0)
	buffer_store_dword v19, off, s[0:3], s33 offset:448 ; 4-byte Folded Spill
	s_trap 2
	ds_read_b64 v[18:19], v0
	s_waitcnt lgkmcnt(0)
	v_cmp_eq_u64_e32 vcc_lo, 0, v[18:19]
	s_cbranch_vccnz .LBB6_132
; %bb.121:                              ;   in Loop: Header=BB6_57 Depth=2
	s_mov_b32 s16, -1
	s_and_saveexec_b32 s17, s12
	s_cbranch_execz .LBB6_123
; %bb.122:                              ;   in Loop: Header=BB6_57 Depth=2
	ds_read_b32 v1, v0 offset:720
	s_waitcnt lgkmcnt(0)
	v_and_b32_e32 v1, 15, v1
	v_cmp_eq_u32_e32 vcc_lo, 0, v1
	s_orn2_b32 s16, vcc_lo, exec_lo
.LBB6_123:                              ;   in Loop: Header=BB6_57 Depth=2
	s_or_b32 exec_lo, exec_lo, s17
	s_and_saveexec_b32 s17, s13
	s_cbranch_execz .LBB6_125
; %bb.124:                              ;   in Loop: Header=BB6_57 Depth=2
	ds_read_b32 v1, v0 offset:784
	s_waitcnt lgkmcnt(0)
	v_and_b32_e32 v1, 15, v1
	v_cmp_eq_u32_e32 vcc_lo, 0, v1
	s_and_b32 s23, s16, vcc_lo
	s_andn2_b32 s16, s16, exec_lo
	s_and_b32 s23, s23, exec_lo
	s_or_b32 s16, s16, s23
.LBB6_125:                              ;   in Loop: Header=BB6_57 Depth=2
	s_or_b32 exec_lo, exec_lo, s17
	s_clause 0x1
	buffer_load_dword v3, off, s[0:3], s33 offset:444
	buffer_load_dword v4, off, s[0:3], s33 offset:448
	v_cmp_eq_u32_e32 vcc_lo, 0, v0
	s_xor_b32 s16, s16, -1
	v_mov_b32_e32 v0, 0
	v_cndmask_b32_e64 v1, 0, 1, s16
	s_mov_b32 s16, -1
	s_waitcnt vmcnt(1)
	v_cndmask_b32_e32 v3, 0, v3, vcc_lo
	v_cmp_ne_u32_e32 vcc_lo, 0, v1
	buffer_store_dword v3, off, s[0:3], s33 offset:452 ; 4-byte Folded Spill
	v_mov_b32_e32 v1, v3
	buffer_load_dword v3, off, s[0:3], s33 offset:204 ; 4-byte Folded Reload
	s_cbranch_vccz .LBB6_133
; %bb.126:                              ;   in Loop: Header=BB6_57 Depth=2
	s_and_saveexec_b32 s17, s16
	s_cbranch_execnz .LBB6_2464
	s_branch .LBB6_3016
.LBB6_127:                              ;   in Loop: Header=BB6_57 Depth=2
	s_mov_b32 s16, 0
	s_and_saveexec_b32 s17, s6
	s_cbranch_execnz .LBB6_3018
.LBB6_128:                              ;   in Loop: Header=BB6_57 Depth=2
	s_or_b32 exec_lo, exec_lo, s17
                                        ; implicit-def: $vgpr0
	s_and_saveexec_b32 s17, s15
	s_xor_b32 s17, exec_lo, s17
	s_cbranch_execz .LBB6_3036
.LBB6_129:                              ;   in Loop: Header=BB6_57 Depth=2
	v_and_b32_e32 v0, 16, v100
	v_cmp_ne_u32_e32 vcc_lo, 0, v0
	v_and_b32_e32 v0, 16, v100
	s_and_b32 s23, vcc_lo, s16
	s_and_saveexec_b32 s16, s23
	s_cbranch_execz .LBB6_131
; %bb.130:                              ;   in Loop: Header=BB6_57 Depth=2
	v_mov_b32_e32 v0, 1
	s_waitcnt vmcnt(0) lgkmcnt(0)
	s_waitcnt_vscnt null, 0x0
	buffer_gl1_inv
	buffer_gl0_inv
.LBB6_131:                              ;   in Loop: Header=BB6_57 Depth=2
	s_or_b32 exec_lo, exec_lo, s16
	s_andn2_saveexec_b32 s16, s17
	s_cbranch_execz .LBB6_3055
	s_branch .LBB6_3037
.LBB6_132:                              ;   in Loop: Header=BB6_57 Depth=2
	s_mov_b32 s16, 0
	s_branch .LBB6_3017
.LBB6_133:                              ;   in Loop: Header=BB6_57 Depth=2
	buffer_load_dword v1, off, s[0:3], s33 offset:452 ; 4-byte Folded Reload
	s_mov_b32 s17, exec_lo
	s_waitcnt vmcnt(0)
	v_ashrrev_i32_e32 v0, 31, v1
	v_lshrrev_b32_e32 v0, 20, v0
	v_add_nc_u32_e32 v0, v1, v0
	v_ashrrev_i32_e32 v1, 12, v0
	buffer_load_dword v0, off, s[0:3], s33 offset:332 ; 4-byte Folded Reload
	s_waitcnt vmcnt(0)
	v_sub_nc_u32_e32 v13, v1, v0
	v_cmpx_lt_i32_e32 0, v13
	s_cbranch_execz .LBB6_2193
; %bb.134:                              ;   in Loop: Header=BB6_57 Depth=2
	buffer_store_dword v1, off, s[0:3], s33 offset:476 ; 4-byte Folded Spill
	s_trap 2
	ds_read_b64 v[0:1], v0
	v_mov_b32_e32 v21, v19
	v_mov_b32_e32 v23, v17
	;; [unrolled: 1-line block ×4, first 2 shown]
	s_waitcnt lgkmcnt(0)
	v_readfirstlane_b32 s16, v0
	s_and_b32 s23, s16, 3
	s_bfe_u32 s63, s16, 0x50002
	s_flbit_i32_b32 s61, s23
	s_min_u32 s61, s61, 32
	s_sub_i32 s62, s61, 29
	s_sub_i32 s61, 30, s61
	s_lshl_b32 s62, s16, s62
	s_and_b32 s62, s62, 3
	s_cmp_eq_u32 s63, 0
	s_cselect_b32 s61, s61, s63
	s_cselect_b32 s23, s62, s23
	s_lshl_b32 s62, s16, 24
	s_lshl_b32 s61, s61, 23
	s_and_b32 s62, s62, 0x80000000
	s_add_i32 s61, s61, 0x37800000
	s_lshl_b32 s63, s23, 21
	s_or_b32 s61, s62, s61
	s_mov_b32 s23, 0
	s_or_b32 s61, s61, s63
	s_and_b32 s62, s16, 0xff
	s_branch .LBB6_138
.LBB6_135:                              ;   in Loop: Header=BB6_138 Depth=3
	s_or_b32 exec_lo, exec_lo, s16
	v_and_b32_sdwa v11, v121, v117 dst_sel:DWORD dst_unused:UNUSED_PAD src0_sel:BYTE_3 src1_sel:DWORD
	v_lshrrev_b32_e32 v121, 21, v123
	v_min_i32_e32 v122, 31, v124
	v_cmp_gt_i32_e32 vcc_lo, 32, v124
	v_lshlrev_b32_e32 v122, 2, v122
	v_cndmask_b32_e32 v121, 3, v121, vcc_lo
	v_and_b32_e32 v122, 0xfc, v122
	v_or_b32_e32 v123, v124, v121
	v_and_b32_e32 v121, 3, v121
	v_cmp_ne_u32_e32 vcc_lo, 0, v123
	v_or3_b32 v11, v11, v122, v121
	v_lshlrev_b32_e32 v11, 8, v11
	v_cndmask_b32_e32 v11, 0, v11, vcc_lo
.LBB6_136:                              ;   in Loop: Header=BB6_138 Depth=3
	s_or_b32 exec_lo, exec_lo, s72
.LBB6_137:                              ;   in Loop: Header=BB6_138 Depth=3
	s_or_b32 exec_lo, exec_lo, s63
	v_or_b32_sdwa v78, v79, v78 dst_sel:WORD_1 dst_unused:UNUSED_PAD src0_sel:DWORD src1_sel:DWORD
	v_or_b32_sdwa v98, v99, v98 dst_sel:WORD_1 dst_unused:UNUSED_PAD src0_sel:DWORD src1_sel:DWORD
	v_sub_nc_u32_e32 v13, v13, v103
	v_or3_b32 v77, v77, v76, v78
	v_or3_b32 v76, v97, v96, v98
	v_or_b32_sdwa v96, v91, v90 dst_sel:WORD_1 dst_unused:UNUSED_PAD src0_sel:DWORD src1_sel:DWORD
	v_or3_b32 v78, v89, v88, v96
	v_or_b32_sdwa v96, v45, v94 dst_sel:WORD_1 dst_unused:UNUSED_PAD src0_sel:DWORD src1_sel:DWORD
	;; [unrolled: 2-line block ×11, first 2 shown]
	v_or3_b32 v59, v1, v31, v0
	s_clause 0x1
	buffer_load_dword v1, off, s[0:3], s33 offset:412
	buffer_load_dword v3, off, s[0:3], s33 offset:416
	v_or_b32_sdwa v0, v112, v51 dst_sel:WORD_1 dst_unused:UNUSED_PAD src0_sel:DWORD src1_sel:DWORD
	v_or3_b32 v58, v50, v5, v0
	v_or_b32_sdwa v0, v102, v43 dst_sel:WORD_1 dst_unused:UNUSED_PAD src0_sel:DWORD src1_sel:DWORD
	v_or3_b32 v60, v67, v66, v0
	;; [unrolled: 2-line block ×3, first 2 shown]
	v_or_b32_sdwa v0, v27, v26 dst_sel:WORD_1 dst_unused:UNUSED_PAD src0_sel:DWORD src1_sel:DWORD
	s_waitcnt vmcnt(0)
	v_or3_b32 v27, v3, v1, v0
	s_clause 0x1
	buffer_load_dword v0, off, s[0:3], s33 offset:328
	buffer_load_dword v1, off, s[0:3], s33 offset:408
	s_waitcnt vmcnt(0)
	v_or_b32_sdwa v0, v1, v0 dst_sel:WORD_1 dst_unused:UNUSED_PAD src0_sel:DWORD src1_sel:DWORD
	s_clause 0x1
	buffer_load_dword v1, off, s[0:3], s33 offset:324
	buffer_load_dword v3, off, s[0:3], s33 offset:404
	s_waitcnt vmcnt(0)
	v_or3_b32 v26, v3, v1, v0
	v_or_b32_sdwa v0, v24, v29 dst_sel:WORD_1 dst_unused:UNUSED_PAD src0_sel:DWORD src1_sel:DWORD
	v_or3_b32 v28, v28, v30, v0
	v_or_b32_sdwa v0, v4, v53 dst_sel:WORD_1 dst_unused:UNUSED_PAD src0_sel:DWORD src1_sel:DWORD
	v_or3_b32 v29, v52, v25, v0
	s_clause 0x1
	buffer_load_dword v0, off, s[0:3], s33 offset:308
	buffer_load_dword v1, off, s[0:3], s33 offset:380
	s_waitcnt vmcnt(0)
	v_or_b32_sdwa v0, v1, v0 dst_sel:WORD_1 dst_unused:UNUSED_PAD src0_sel:DWORD src1_sel:DWORD
	s_clause 0x1
	buffer_load_dword v1, off, s[0:3], s33 offset:304
	buffer_load_dword v3, off, s[0:3], s33 offset:376
	s_waitcnt vmcnt(0)
	v_or3_b32 v4, v3, v1, v0
	s_clause 0x1
	buffer_load_dword v0, off, s[0:3], s33 offset:296
	buffer_load_dword v1, off, s[0:3], s33 offset:300
	s_waitcnt vmcnt(0)
	v_or_b32_sdwa v0, v1, v0 dst_sel:WORD_1 dst_unused:UNUSED_PAD src0_sel:DWORD src1_sel:DWORD
	s_clause 0x1
	buffer_load_dword v1, off, s[0:3], s33 offset:292
	buffer_load_dword v3, off, s[0:3], s33 offset:372
	s_waitcnt vmcnt(0)
	;; [unrolled: 10-line block ×5, first 2 shown]
	v_or3_b32 v51, v7, v1, v0
	s_clause 0x1
	buffer_load_dword v0, off, s[0:3], s33 offset:260
	buffer_load_dword v1, off, s[0:3], s33 offset:264
	s_waitcnt vmcnt(0)
	v_or_b32_sdwa v0, v1, v0 dst_sel:WORD_1 dst_unused:UNUSED_PAD src0_sel:DWORD src1_sel:DWORD
	buffer_load_dword v1, off, s[0:3], s33 offset:340 ; 4-byte Folded Reload
	s_waitcnt vmcnt(0)
	v_or3_b32 v50, v1, v126, v0
	s_clause 0x1
	buffer_load_dword v0, off, s[0:3], s33 offset:284
	buffer_load_dword v1, off, s[0:3], s33 offset:356
	s_waitcnt vmcnt(0)
	v_or_b32_sdwa v0, v1, v0 dst_sel:WORD_1 dst_unused:UNUSED_PAD src0_sel:DWORD src1_sel:DWORD
	s_clause 0x1
	buffer_load_dword v1, off, s[0:3], s33 offset:280
	buffer_load_dword v7, off, s[0:3], s33 offset:352
	s_waitcnt vmcnt(0)
	v_or3_b32 v52, v7, v1, v0
	s_clause 0x1
	buffer_load_dword v0, off, s[0:3], s33 offset:364
	buffer_load_dword v1, off, s[0:3], s33 offset:368
	s_waitcnt vmcnt(0)
	v_or_b32_sdwa v0, v1, v0 dst_sel:WORD_1 dst_unused:UNUSED_PAD src0_sel:DWORD src1_sel:DWORD
	s_clause 0x1
	buffer_load_dword v1, off, s[0:3], s33 offset:288
	buffer_load_dword v7, off, s[0:3], s33 offset:360
	s_waitcnt vmcnt(0)
	v_or3_b32 v53, v7, v1, v0
	buffer_load_dword v0, off, s[0:3], s33 offset:336 ; 4-byte Folded Reload
	v_or_b32_sdwa v7, v9, v106 dst_sel:WORD_1 dst_unused:UNUSED_PAD src0_sel:DWORD src1_sel:DWORD
	v_or3_b32 v9, v105, v104, v7
	v_or_b32_sdwa v7, v8, v95 dst_sel:WORD_1 dst_unused:UNUSED_PAD src0_sel:DWORD src1_sel:DWORD
	v_or3_b32 v8, v69, v68, v7
	;; [unrolled: 2-line block ×4, first 2 shown]
	s_waitcnt vmcnt(0)
	v_add_co_u32 v0, vcc_lo, v0, v20
	v_add_co_ci_u32_e64 v1, null, 0, v21, vcc_lo
	global_store_dwordx4 v[0:1], v[50:53], off glc slc
	global_store_dwordx4 v[0:1], v[3:6], off offset:512 glc slc
	global_store_dwordx4 v[0:1], v[26:29], off offset:1024 glc slc
	;; [unrolled: 1-line block ×3, first 2 shown]
	v_add_co_u32 v0, vcc_lo, 0x800, v0
	v_add_co_ci_u32_e64 v1, null, 0, v1, vcc_lo
	global_store_dwordx4 v[0:1], v[81:84], off glc slc
	global_store_dwordx4 v[0:1], v[96:99], off offset:512 glc slc
	global_store_dwordx4 v[0:1], v[76:79], off offset:1024 glc slc
	;; [unrolled: 1-line block ×3, first 2 shown]
	v_lshlrev_b32_e32 v0, 12, v103
	v_add_co_u32 v22, vcc_lo, v22, v0
	v_add_co_ci_u32_e64 v23, null, 0, v23, vcc_lo
	v_add_co_u32 v20, vcc_lo, v20, v0
	v_add_co_ci_u32_e64 v21, null, 0, v21, vcc_lo
	v_cmp_gt_i32_e32 vcc_lo, 1, v13
	s_or_b32 s23, vcc_lo, s23
	s_andn2_b32 exec_lo, exec_lo, s23
	s_cbranch_execz .LBB6_2192
.LBB6_138:                              ;   Parent Loop BB6_47 Depth=1
                                        ;     Parent Loop BB6_57 Depth=2
                                        ; =>    This Inner Loop Header: Depth=3
	buffer_load_dword v0, off, s[0:3], s33 offset:336 ; 4-byte Folded Reload
	s_cmpk_lt_i32 s62, 0x80
	s_cbranch_scc1 .LBB6_142
; %bb.139:                              ;   in Loop: Header=BB6_138 Depth=3
	s_and_b32 s16, 0xffff, s62
	s_cmpk_eq_i32 s16, 0x80
	s_mov_b32 s16, -1
	s_cbranch_scc0 .LBB6_141
; %bb.140:                              ;   in Loop: Header=BB6_138 Depth=3
	s_mov_b32 s16, 0
.LBB6_141:                              ;   in Loop: Header=BB6_138 Depth=3
	s_mov_b32 s63, 0x7f800001
	s_branch .LBB6_144
.LBB6_142:                              ;   in Loop: Header=BB6_138 Depth=3
	s_mov_b32 s16, 0
	s_mov_b32 s63, 0x7f800001
	s_cbranch_execz .LBB6_144
; %bb.143:                              ;   in Loop: Header=BB6_138 Depth=3
	s_and_b32 s16, 0xffff, s62
	s_mov_b32 s63, 0
	s_cmp_lg_u32 s16, 0
	s_cselect_b32 s16, -1, 0
.LBB6_144:                              ;   in Loop: Header=BB6_138 Depth=3
	s_andn2_b32 vcc_lo, exec_lo, s16
	s_cbranch_vccnz .LBB6_146
; %bb.145:                              ;   in Loop: Header=BB6_138 Depth=3
	s_mov_b32 s63, s61
.LBB6_146:                              ;   in Loop: Header=BB6_138 Depth=3
	s_waitcnt vmcnt(0)
	v_add_co_u32 v68, vcc_lo, v0, v22
	v_add_co_ci_u32_e64 v69, null, 0, v23, vcc_lo
	s_mov_b32 s16, 0
	global_load_dwordx4 v[8:11], v[68:69], off slc
	s_waitcnt vmcnt(0)
	v_cmp_gt_i16_sdwa s72, v8, v116 src0_sel:BYTE_0 src1_sel:DWORD
	s_and_saveexec_b32 s73, s72
	s_xor_b32 s72, exec_lo, s73
	s_cbranch_execz .LBB6_1936
; %bb.147:                              ;   in Loop: Header=BB6_138 Depth=3
	v_cmp_eq_u16_sdwa s74, v8, v117 src0_sel:BYTE_0 src1_sel:DWORD
	s_mov_b32 s16, -1
	s_and_saveexec_b32 s73, s74
; %bb.148:                              ;   in Loop: Header=BB6_138 Depth=3
	s_xor_b32 s16, exec_lo, -1
; %bb.149:                              ;   in Loop: Header=BB6_138 Depth=3
	s_or_b32 exec_lo, exec_lo, s73
	s_and_b32 s16, s16, exec_lo
	s_or_saveexec_b32 s72, s72
	v_mov_b32_e32 v0, 0x7f800001
	s_xor_b32 exec_lo, exec_lo, s72
	s_cbranch_execnz .LBB6_1937
.LBB6_150:                              ;   in Loop: Header=BB6_138 Depth=3
	s_or_b32 exec_lo, exec_lo, s72
	s_and_saveexec_b32 s72, s16
	s_cbranch_execz .LBB6_152
.LBB6_151:                              ;   in Loop: Header=BB6_138 Depth=3
	v_and_b32_e32 v0, 3, v8
	v_bfe_u32 v4, v8, 2, 5
	v_lshlrev_b32_e32 v5, 24, v8
	v_ffbh_u32_e32 v1, v0
	v_cmp_eq_u32_e32 vcc_lo, 0, v4
	v_min_u32_e32 v1, 32, v1
	v_subrev_nc_u32_e32 v3, 29, v1
	v_sub_nc_u32_e32 v1, 30, v1
	v_lshlrev_b32_e32 v3, v3, v8
	v_cndmask_b32_e32 v1, v4, v1, vcc_lo
	v_and_b32_e32 v3, 3, v3
	v_lshl_add_u32 v1, v1, 23, 0x37800000
	v_cndmask_b32_e32 v0, v0, v3, vcc_lo
	v_and_b32_e32 v3, 0x80000000, v5
	v_lshlrev_b32_e32 v0, 21, v0
	v_or3_b32 v0, v3, v1, v0
.LBB6_152:                              ;   in Loop: Header=BB6_138 Depth=3
	s_or_b32 exec_lo, exec_lo, s72
	v_mul_f32_e32 v0, s63, v0
	v_mov_b32_e32 v126, 0x80
	s_mov_b32 s72, exec_lo
	v_and_b32_e32 v1, 0x7f800000, v0
	v_cmpx_ne_u32_e32 0x7f800000, v1
	s_cbranch_execz .LBB6_160
; %bb.153:                              ;   in Loop: Header=BB6_138 Depth=3
	v_mov_b32_e32 v126, 0
	s_mov_b32 s73, exec_lo
	v_cmpx_ne_u32_e32 0, v0
	s_cbranch_execz .LBB6_159
; %bb.154:                              ;   in Loop: Header=BB6_138 Depth=3
	v_bfe_u32 v1, v0, 23, 8
	v_and_b32_e32 v3, 0x7fffff, v0
	v_sub_nc_u32_e32 v4, 0x70, v1
	v_cmp_gt_u32_e32 vcc_lo, 0x71, v1
	v_or_b32_e32 v5, 0x800000, v3
	v_cndmask_b32_e32 v4, 0, v4, vcc_lo
	v_cmp_eq_u32_e32 vcc_lo, 0, v1
	v_add_nc_u32_e32 v1, 0xffffff91, v1
	v_cndmask_b32_e64 v4, v4, 0x6f, vcc_lo
	v_cndmask_b32_e32 v3, v5, v3, vcc_lo
	v_cndmask_b32_e64 v1, v1, 0xffffff92, vcc_lo
	v_lshl_add_u32 v5, 0x200000, v4, -1
	v_lshrrev_b32_e32 v6, v4, v3
	v_lshlrev_b32_e64 v12, v4, 0x100000
	v_add_nc_u32_e32 v4, v4, v1
	v_and_b32_e32 v3, v5, v3
	v_bfe_u32 v7, v6, 21, 1
	v_cmp_eq_u32_e64 s16, v3, v12
	v_add_nc_u32_e32 v5, -1, v7
	v_cndmask_b32_e64 v3, 0, v5, s16
	v_lshrrev_b32_e32 v5, 23, v6
	s_mov_b32 s16, exec_lo
	v_add_nc_u32_e32 v3, v3, v6
	v_xor_b32_e32 v5, 1, v5
	v_and_b32_e32 v1, 0x1fffff, v3
	v_add_nc_u32_e32 v3, v1, v6
                                        ; implicit-def: $vgpr1
	v_cmpx_ne_u32_e64 v4, v5
	s_xor_b32 s16, exec_lo, s16
; %bb.155:                              ;   in Loop: Header=BB6_138 Depth=3
	v_cmp_lt_u32_e32 vcc_lo, 0xffffff, v3
	v_sub_nc_u32_e32 v1, v4, v5
	v_cndmask_b32_e64 v4, 0, 1, vcc_lo
	v_add_co_ci_u32_e64 v1, null, 0, v1, vcc_lo
	v_lshrrev_b32_e32 v3, v4, v3
; %bb.156:                              ;   in Loop: Header=BB6_138 Depth=3
	s_andn2_saveexec_b32 s16, s16
; %bb.157:                              ;   in Loop: Header=BB6_138 Depth=3
	v_bfe_u32 v1, v3, 23, 1
; %bb.158:                              ;   in Loop: Header=BB6_138 Depth=3
	s_or_b32 exec_lo, exec_lo, s16
	v_lshrrev_b32_e32 v3, 21, v3
	v_min_i32_e32 v4, 31, v1
	v_cmp_gt_i32_e32 vcc_lo, 32, v1
	v_and_b32_sdwa v0, v0, v117 dst_sel:DWORD dst_unused:UNUSED_PAD src0_sel:BYTE_3 src1_sel:DWORD
	v_lshlrev_b32_e32 v4, 2, v4
	v_cndmask_b32_e32 v3, 3, v3, vcc_lo
	v_and_b32_e32 v4, 0xfc, v4
	v_and_b32_e32 v5, 3, v3
	v_or_b32_e32 v1, v1, v3
	v_or3_b32 v0, v4, v0, v5
	v_cmp_ne_u32_e32 vcc_lo, 0, v1
	v_cndmask_b32_e32 v126, 0, v0, vcc_lo
.LBB6_159:                              ;   in Loop: Header=BB6_138 Depth=3
	s_or_b32 exec_lo, exec_lo, s73
.LBB6_160:                              ;   in Loop: Header=BB6_138 Depth=3
	s_or_b32 exec_lo, exec_lo, s72
	v_cmp_gt_i16_sdwa s72, v8, v116 src0_sel:BYTE_1 src1_sel:DWORD
	s_mov_b32 s16, 0
	s_and_saveexec_b32 s73, s72
	s_xor_b32 s72, exec_lo, s73
	s_cbranch_execz .LBB6_1938
; %bb.161:                              ;   in Loop: Header=BB6_138 Depth=3
	v_cmp_eq_u16_sdwa s74, v8, v117 src0_sel:BYTE_1 src1_sel:DWORD
	s_mov_b32 s16, -1
	s_and_saveexec_b32 s73, s74
; %bb.162:                              ;   in Loop: Header=BB6_138 Depth=3
	s_xor_b32 s16, exec_lo, -1
; %bb.163:                              ;   in Loop: Header=BB6_138 Depth=3
	s_or_b32 exec_lo, exec_lo, s73
	s_and_b32 s16, s16, exec_lo
	s_or_saveexec_b32 s72, s72
	v_mov_b32_e32 v0, 0x7f800001
	s_xor_b32 exec_lo, exec_lo, s72
	s_cbranch_execnz .LBB6_1939
.LBB6_164:                              ;   in Loop: Header=BB6_138 Depth=3
	s_or_b32 exec_lo, exec_lo, s72
	s_and_saveexec_b32 s72, s16
	s_cbranch_execz .LBB6_166
.LBB6_165:                              ;   in Loop: Header=BB6_138 Depth=3
	v_and_b32_sdwa v0, v118, v8 dst_sel:DWORD dst_unused:UNUSED_PAD src0_sel:DWORD src1_sel:BYTE_1
	v_and_b32_e32 v1, 3, v0
	v_bfe_u32 v5, v0, 2, 5
	v_ffbh_u32_e32 v3, v1
	v_cmp_eq_u32_e32 vcc_lo, 0, v5
	v_min_u32_e32 v3, 32, v3
	v_subrev_nc_u32_e32 v4, 29, v3
	v_sub_nc_u32_e32 v3, 30, v3
	v_lshlrev_b32_e32 v0, v4, v0
	v_lshlrev_b32_sdwa v4, v119, v8 dst_sel:DWORD dst_unused:UNUSED_PAD src0_sel:DWORD src1_sel:BYTE_1
	v_cndmask_b32_e32 v3, v5, v3, vcc_lo
	v_and_b32_e32 v0, 3, v0
	v_lshl_add_u32 v3, v3, 23, 0x37800000
	v_cndmask_b32_e32 v0, v1, v0, vcc_lo
	v_and_b32_e32 v1, 0x80000000, v4
	v_lshlrev_b32_e32 v0, 21, v0
	v_or3_b32 v0, v1, v3, v0
.LBB6_166:                              ;   in Loop: Header=BB6_138 Depth=3
	s_or_b32 exec_lo, exec_lo, s72
	v_mul_f32_e32 v0, s63, v0
	v_and_b32_e32 v1, 0x7f800000, v0
	v_cmp_ne_u32_e32 vcc_lo, 0x7f800000, v1
	v_mov_b32_e32 v1, 0x8000
	s_and_saveexec_b32 s72, vcc_lo
	s_cbranch_execz .LBB6_174
; %bb.167:                              ;   in Loop: Header=BB6_138 Depth=3
	v_mov_b32_e32 v1, 0
	s_mov_b32 s73, exec_lo
	v_cmpx_ne_u32_e32 0, v0
	s_cbranch_execz .LBB6_173
; %bb.168:                              ;   in Loop: Header=BB6_138 Depth=3
	v_bfe_u32 v1, v0, 23, 8
	v_and_b32_e32 v3, 0x7fffff, v0
	v_sub_nc_u32_e32 v4, 0x70, v1
	v_cmp_gt_u32_e32 vcc_lo, 0x71, v1
	v_or_b32_e32 v5, 0x800000, v3
	v_cndmask_b32_e32 v4, 0, v4, vcc_lo
	v_cmp_eq_u32_e32 vcc_lo, 0, v1
	v_add_nc_u32_e32 v1, 0xffffff91, v1
	v_cndmask_b32_e64 v4, v4, 0x6f, vcc_lo
	v_cndmask_b32_e32 v3, v5, v3, vcc_lo
	v_cndmask_b32_e64 v1, v1, 0xffffff92, vcc_lo
	v_lshl_add_u32 v5, 0x200000, v4, -1
	v_lshrrev_b32_e32 v6, v4, v3
	v_lshlrev_b32_e64 v12, v4, 0x100000
	v_add_nc_u32_e32 v4, v4, v1
	v_and_b32_e32 v3, v5, v3
	v_bfe_u32 v7, v6, 21, 1
	v_cmp_eq_u32_e64 s16, v3, v12
	v_add_nc_u32_e32 v5, -1, v7
	v_cndmask_b32_e64 v3, 0, v5, s16
	v_lshrrev_b32_e32 v5, 23, v6
	s_mov_b32 s16, exec_lo
	v_add_nc_u32_e32 v3, v3, v6
	v_xor_b32_e32 v5, 1, v5
	v_and_b32_e32 v1, 0x1fffff, v3
	v_add_nc_u32_e32 v3, v1, v6
                                        ; implicit-def: $vgpr1
	v_cmpx_ne_u32_e64 v4, v5
	s_xor_b32 s16, exec_lo, s16
; %bb.169:                              ;   in Loop: Header=BB6_138 Depth=3
	v_cmp_lt_u32_e32 vcc_lo, 0xffffff, v3
	v_sub_nc_u32_e32 v1, v4, v5
	v_cndmask_b32_e64 v4, 0, 1, vcc_lo
	v_add_co_ci_u32_e64 v1, null, 0, v1, vcc_lo
	v_lshrrev_b32_e32 v3, v4, v3
; %bb.170:                              ;   in Loop: Header=BB6_138 Depth=3
	s_andn2_saveexec_b32 s16, s16
; %bb.171:                              ;   in Loop: Header=BB6_138 Depth=3
	v_bfe_u32 v1, v3, 23, 1
; %bb.172:                              ;   in Loop: Header=BB6_138 Depth=3
	s_or_b32 exec_lo, exec_lo, s16
	v_lshrrev_b32_e32 v3, 21, v3
	v_min_i32_e32 v4, 31, v1
	v_cmp_gt_i32_e32 vcc_lo, 32, v1
	v_and_b32_sdwa v0, v0, v117 dst_sel:DWORD dst_unused:UNUSED_PAD src0_sel:BYTE_3 src1_sel:DWORD
	v_lshlrev_b32_e32 v4, 2, v4
	v_cndmask_b32_e32 v3, 3, v3, vcc_lo
	v_and_b32_e32 v4, 0xfc, v4
	v_and_b32_e32 v5, 3, v3
	v_or_b32_e32 v1, v1, v3
	v_or3_b32 v0, v0, v4, v5
	v_cmp_ne_u32_e32 vcc_lo, 0, v1
	v_lshlrev_b32_e32 v0, 8, v0
	v_cndmask_b32_e32 v1, 0, v0, vcc_lo
.LBB6_173:                              ;   in Loop: Header=BB6_138 Depth=3
	s_or_b32 exec_lo, exec_lo, s73
.LBB6_174:                              ;   in Loop: Header=BB6_138 Depth=3
	s_or_b32 exec_lo, exec_lo, s72
	buffer_store_dword v1, off, s[0:3], s33 offset:340 ; 4-byte Folded Spill
	v_and_b32_sdwa v1, v8, v40 dst_sel:DWORD dst_unused:UNUSED_PAD src0_sel:WORD_1 src1_sel:DWORD
	s_mov_b32 s16, 0
	s_mov_b32 s72, exec_lo
	v_cmpx_lt_i16_e32 0x7f, v1
	s_xor_b32 s72, exec_lo, s72
	s_cbranch_execz .LBB6_1940
; %bb.175:                              ;   in Loop: Header=BB6_138 Depth=3
	s_mov_b32 s16, -1
	s_mov_b32 s73, exec_lo
	v_cmpx_eq_u16_e32 0x80, v1
; %bb.176:                              ;   in Loop: Header=BB6_138 Depth=3
	s_xor_b32 s16, exec_lo, -1
; %bb.177:                              ;   in Loop: Header=BB6_138 Depth=3
	s_or_b32 exec_lo, exec_lo, s73
	s_and_b32 s16, s16, exec_lo
                                        ; implicit-def: $vgpr1
	s_or_saveexec_b32 s72, s72
	v_mov_b32_e32 v0, 0x7f800001
	s_xor_b32 exec_lo, exec_lo, s72
	s_cbranch_execnz .LBB6_1941
.LBB6_178:                              ;   in Loop: Header=BB6_138 Depth=3
	s_or_b32 exec_lo, exec_lo, s72
	s_and_saveexec_b32 s72, s16
	s_cbranch_execz .LBB6_180
.LBB6_179:                              ;   in Loop: Header=BB6_138 Depth=3
	v_bfe_u32 v0, v8, 16, 2
	v_bfe_u32 v4, v8, 18, 5
	v_lshlrev_b32_e32 v5, 8, v8
	v_ffbh_u32_e32 v1, v0
	v_cmp_eq_u32_e32 vcc_lo, 0, v4
	v_min_u32_e32 v1, 32, v1
	v_subrev_nc_u32_e32 v3, 29, v1
	v_sub_nc_u32_e32 v1, 30, v1
	v_lshlrev_b32_sdwa v3, v3, v8 dst_sel:DWORD dst_unused:UNUSED_PAD src0_sel:DWORD src1_sel:WORD_1
	v_cndmask_b32_e32 v1, v4, v1, vcc_lo
	v_and_b32_e32 v3, 3, v3
	v_lshl_add_u32 v1, v1, 23, 0x37800000
	v_cndmask_b32_e32 v0, v0, v3, vcc_lo
	v_and_b32_e32 v3, 0x80000000, v5
	v_lshlrev_b32_e32 v0, 21, v0
	v_or3_b32 v0, v3, v1, v0
.LBB6_180:                              ;   in Loop: Header=BB6_138 Depth=3
	s_or_b32 exec_lo, exec_lo, s72
	v_mul_f32_e32 v0, s63, v0
	v_and_b32_e32 v1, 0x7f800000, v0
	v_cmp_ne_u32_e32 vcc_lo, 0x7f800000, v1
	v_mov_b32_e32 v1, 0x80
	buffer_store_dword v1, off, s[0:3], s33 offset:260 ; 4-byte Folded Spill
	s_and_saveexec_b32 s72, vcc_lo
	s_cbranch_execz .LBB6_188
; %bb.181:                              ;   in Loop: Header=BB6_138 Depth=3
	v_mov_b32_e32 v1, 0
	s_mov_b32 s73, exec_lo
	buffer_store_dword v1, off, s[0:3], s33 offset:260 ; 4-byte Folded Spill
	v_cmpx_ne_u32_e32 0, v0
	s_cbranch_execz .LBB6_187
; %bb.182:                              ;   in Loop: Header=BB6_138 Depth=3
	v_bfe_u32 v1, v0, 23, 8
	v_and_b32_e32 v3, 0x7fffff, v0
	v_sub_nc_u32_e32 v4, 0x70, v1
	v_cmp_gt_u32_e32 vcc_lo, 0x71, v1
	v_or_b32_e32 v5, 0x800000, v3
	v_cndmask_b32_e32 v4, 0, v4, vcc_lo
	v_cmp_eq_u32_e32 vcc_lo, 0, v1
	v_add_nc_u32_e32 v1, 0xffffff91, v1
	v_cndmask_b32_e64 v4, v4, 0x6f, vcc_lo
	v_cndmask_b32_e32 v3, v5, v3, vcc_lo
	v_cndmask_b32_e64 v1, v1, 0xffffff92, vcc_lo
	v_lshl_add_u32 v5, 0x200000, v4, -1
	v_lshrrev_b32_e32 v6, v4, v3
	v_lshlrev_b32_e64 v12, v4, 0x100000
	v_add_nc_u32_e32 v4, v4, v1
	v_and_b32_e32 v3, v5, v3
	v_bfe_u32 v7, v6, 21, 1
	v_cmp_eq_u32_e64 s16, v3, v12
	v_add_nc_u32_e32 v5, -1, v7
	v_cndmask_b32_e64 v3, 0, v5, s16
	v_lshrrev_b32_e32 v5, 23, v6
	s_mov_b32 s16, exec_lo
	v_add_nc_u32_e32 v3, v3, v6
	v_xor_b32_e32 v5, 1, v5
	v_and_b32_e32 v1, 0x1fffff, v3
	v_add_nc_u32_e32 v3, v1, v6
                                        ; implicit-def: $vgpr1
	v_cmpx_ne_u32_e64 v4, v5
	s_xor_b32 s16, exec_lo, s16
; %bb.183:                              ;   in Loop: Header=BB6_138 Depth=3
	v_cmp_lt_u32_e32 vcc_lo, 0xffffff, v3
	v_sub_nc_u32_e32 v1, v4, v5
	v_cndmask_b32_e64 v4, 0, 1, vcc_lo
	v_add_co_ci_u32_e64 v1, null, 0, v1, vcc_lo
	v_lshrrev_b32_e32 v3, v4, v3
; %bb.184:                              ;   in Loop: Header=BB6_138 Depth=3
	s_andn2_saveexec_b32 s16, s16
; %bb.185:                              ;   in Loop: Header=BB6_138 Depth=3
	v_bfe_u32 v1, v3, 23, 1
; %bb.186:                              ;   in Loop: Header=BB6_138 Depth=3
	s_or_b32 exec_lo, exec_lo, s16
	v_lshrrev_b32_e32 v3, 21, v3
	v_min_i32_e32 v4, 31, v1
	v_cmp_gt_i32_e32 vcc_lo, 32, v1
	v_and_b32_sdwa v0, v0, v117 dst_sel:DWORD dst_unused:UNUSED_PAD src0_sel:BYTE_3 src1_sel:DWORD
	v_lshlrev_b32_e32 v4, 2, v4
	v_cndmask_b32_e32 v3, 3, v3, vcc_lo
	v_and_b32_e32 v4, 0xfc, v4
	v_and_b32_e32 v5, 3, v3
	v_or_b32_e32 v1, v1, v3
	v_or3_b32 v0, v4, v0, v5
	v_cmp_ne_u32_e32 vcc_lo, 0, v1
	v_cndmask_b32_e32 v0, 0, v0, vcc_lo
	buffer_store_dword v0, off, s[0:3], s33 offset:260 ; 4-byte Folded Spill
.LBB6_187:                              ;   in Loop: Header=BB6_138 Depth=3
	s_or_b32 exec_lo, exec_lo, s73
.LBB6_188:                              ;   in Loop: Header=BB6_138 Depth=3
	s_or_b32 exec_lo, exec_lo, s72
	v_cmp_gt_i16_sdwa s72, v8, v116 src0_sel:BYTE_3 src1_sel:DWORD
	s_mov_b32 s16, 0
	s_and_saveexec_b32 s73, s72
	s_xor_b32 s72, exec_lo, s73
	s_cbranch_execz .LBB6_1942
; %bb.189:                              ;   in Loop: Header=BB6_138 Depth=3
	v_cmp_eq_u16_sdwa s74, v8, v117 src0_sel:BYTE_3 src1_sel:DWORD
	s_mov_b32 s16, -1
	s_and_saveexec_b32 s73, s74
; %bb.190:                              ;   in Loop: Header=BB6_138 Depth=3
	s_xor_b32 s16, exec_lo, -1
; %bb.191:                              ;   in Loop: Header=BB6_138 Depth=3
	s_or_b32 exec_lo, exec_lo, s73
	s_and_b32 s16, s16, exec_lo
	s_or_saveexec_b32 s72, s72
	v_mov_b32_e32 v0, 0x7f800001
	s_xor_b32 exec_lo, exec_lo, s72
	s_cbranch_execnz .LBB6_1943
.LBB6_192:                              ;   in Loop: Header=BB6_138 Depth=3
	s_or_b32 exec_lo, exec_lo, s72
	s_and_saveexec_b32 s72, s16
	s_cbranch_execz .LBB6_194
.LBB6_193:                              ;   in Loop: Header=BB6_138 Depth=3
	v_bfe_u32 v0, v8, 24, 2
	v_bfe_u32 v4, v8, 26, 5
	v_ffbh_u32_e32 v1, v0
	v_cmp_eq_u32_e32 vcc_lo, 0, v4
	v_min_u32_e32 v1, 32, v1
	v_subrev_nc_u32_e32 v3, 29, v1
	v_sub_nc_u32_e32 v1, 30, v1
	v_lshlrev_b32_sdwa v3, v3, v8 dst_sel:DWORD dst_unused:UNUSED_PAD src0_sel:DWORD src1_sel:BYTE_3
	v_cndmask_b32_e32 v1, v4, v1, vcc_lo
	v_and_b32_e32 v3, 3, v3
	v_lshl_add_u32 v1, v1, 23, 0x37800000
	v_cndmask_b32_e32 v0, v0, v3, vcc_lo
	v_and_b32_e32 v3, 0x80000000, v8
	v_lshlrev_b32_e32 v0, 21, v0
	v_or3_b32 v0, v3, v1, v0
.LBB6_194:                              ;   in Loop: Header=BB6_138 Depth=3
	s_or_b32 exec_lo, exec_lo, s72
	v_mul_f32_e32 v0, s63, v0
	v_and_b32_e32 v1, 0x7f800000, v0
	v_cmp_ne_u32_e32 vcc_lo, 0x7f800000, v1
	v_mov_b32_e32 v1, 0x8000
	buffer_store_dword v1, off, s[0:3], s33 offset:264 ; 4-byte Folded Spill
	s_and_saveexec_b32 s72, vcc_lo
	s_cbranch_execz .LBB6_202
; %bb.195:                              ;   in Loop: Header=BB6_138 Depth=3
	v_mov_b32_e32 v1, 0
	s_mov_b32 s73, exec_lo
	buffer_store_dword v1, off, s[0:3], s33 offset:264 ; 4-byte Folded Spill
	v_cmpx_ne_u32_e32 0, v0
	s_cbranch_execz .LBB6_201
; %bb.196:                              ;   in Loop: Header=BB6_138 Depth=3
	v_bfe_u32 v1, v0, 23, 8
	v_and_b32_e32 v3, 0x7fffff, v0
	v_sub_nc_u32_e32 v4, 0x70, v1
	v_cmp_gt_u32_e32 vcc_lo, 0x71, v1
	v_or_b32_e32 v5, 0x800000, v3
	v_cndmask_b32_e32 v4, 0, v4, vcc_lo
	v_cmp_eq_u32_e32 vcc_lo, 0, v1
	v_add_nc_u32_e32 v1, 0xffffff91, v1
	v_cndmask_b32_e64 v4, v4, 0x6f, vcc_lo
	v_cndmask_b32_e32 v3, v5, v3, vcc_lo
	v_cndmask_b32_e64 v1, v1, 0xffffff92, vcc_lo
	v_lshl_add_u32 v5, 0x200000, v4, -1
	v_lshrrev_b32_e32 v6, v4, v3
	v_lshlrev_b32_e64 v8, v4, 0x100000
	v_add_nc_u32_e32 v4, v4, v1
	v_and_b32_e32 v3, v5, v3
	v_bfe_u32 v7, v6, 21, 1
	v_cmp_eq_u32_e64 s16, v3, v8
	v_add_nc_u32_e32 v5, -1, v7
	v_cndmask_b32_e64 v3, 0, v5, s16
	v_lshrrev_b32_e32 v5, 23, v6
	s_mov_b32 s16, exec_lo
	v_add_nc_u32_e32 v3, v3, v6
	v_xor_b32_e32 v5, 1, v5
	v_and_b32_e32 v1, 0x1fffff, v3
	v_add_nc_u32_e32 v3, v1, v6
                                        ; implicit-def: $vgpr1
	v_cmpx_ne_u32_e64 v4, v5
	s_xor_b32 s16, exec_lo, s16
; %bb.197:                              ;   in Loop: Header=BB6_138 Depth=3
	v_cmp_lt_u32_e32 vcc_lo, 0xffffff, v3
	v_sub_nc_u32_e32 v1, v4, v5
	v_cndmask_b32_e64 v4, 0, 1, vcc_lo
	v_add_co_ci_u32_e64 v1, null, 0, v1, vcc_lo
	v_lshrrev_b32_e32 v3, v4, v3
; %bb.198:                              ;   in Loop: Header=BB6_138 Depth=3
	s_andn2_saveexec_b32 s16, s16
; %bb.199:                              ;   in Loop: Header=BB6_138 Depth=3
	v_bfe_u32 v1, v3, 23, 1
; %bb.200:                              ;   in Loop: Header=BB6_138 Depth=3
	s_or_b32 exec_lo, exec_lo, s16
	v_lshrrev_b32_e32 v3, 21, v3
	v_min_i32_e32 v4, 31, v1
	v_cmp_gt_i32_e32 vcc_lo, 32, v1
	v_and_b32_sdwa v0, v0, v117 dst_sel:DWORD dst_unused:UNUSED_PAD src0_sel:BYTE_3 src1_sel:DWORD
	v_lshlrev_b32_e32 v4, 2, v4
	v_cndmask_b32_e32 v3, 3, v3, vcc_lo
	v_and_b32_e32 v4, 0xfc, v4
	v_and_b32_e32 v5, 3, v3
	v_or_b32_e32 v1, v1, v3
	v_or3_b32 v0, v0, v4, v5
	v_cmp_ne_u32_e32 vcc_lo, 0, v1
	v_lshlrev_b32_e32 v0, 8, v0
	v_cndmask_b32_e32 v0, 0, v0, vcc_lo
	buffer_store_dword v0, off, s[0:3], s33 offset:264 ; 4-byte Folded Spill
.LBB6_201:                              ;   in Loop: Header=BB6_138 Depth=3
	s_or_b32 exec_lo, exec_lo, s73
.LBB6_202:                              ;   in Loop: Header=BB6_138 Depth=3
	s_or_b32 exec_lo, exec_lo, s72
	v_cmp_gt_i16_sdwa s72, v9, v116 src0_sel:BYTE_0 src1_sel:DWORD
	s_mov_b32 s16, 0
	s_and_saveexec_b32 s73, s72
	s_xor_b32 s72, exec_lo, s73
	s_cbranch_execz .LBB6_1944
; %bb.203:                              ;   in Loop: Header=BB6_138 Depth=3
	v_cmp_eq_u16_sdwa s74, v9, v117 src0_sel:BYTE_0 src1_sel:DWORD
	s_mov_b32 s16, -1
	s_and_saveexec_b32 s73, s74
; %bb.204:                              ;   in Loop: Header=BB6_138 Depth=3
	s_xor_b32 s16, exec_lo, -1
; %bb.205:                              ;   in Loop: Header=BB6_138 Depth=3
	s_or_b32 exec_lo, exec_lo, s73
	s_and_b32 s16, s16, exec_lo
	s_or_saveexec_b32 s72, s72
	v_mov_b32_e32 v0, 0x7f800001
	s_xor_b32 exec_lo, exec_lo, s72
	s_cbranch_execnz .LBB6_1945
.LBB6_206:                              ;   in Loop: Header=BB6_138 Depth=3
	s_or_b32 exec_lo, exec_lo, s72
	s_and_saveexec_b32 s72, s16
	s_cbranch_execz .LBB6_208
.LBB6_207:                              ;   in Loop: Header=BB6_138 Depth=3
	v_and_b32_e32 v0, 3, v9
	v_bfe_u32 v4, v9, 2, 5
	v_lshlrev_b32_e32 v5, 24, v9
	v_ffbh_u32_e32 v1, v0
	v_cmp_eq_u32_e32 vcc_lo, 0, v4
	v_min_u32_e32 v1, 32, v1
	v_subrev_nc_u32_e32 v3, 29, v1
	v_sub_nc_u32_e32 v1, 30, v1
	v_lshlrev_b32_e32 v3, v3, v9
	v_cndmask_b32_e32 v1, v4, v1, vcc_lo
	v_and_b32_e32 v3, 3, v3
	v_lshl_add_u32 v1, v1, 23, 0x37800000
	v_cndmask_b32_e32 v0, v0, v3, vcc_lo
	v_and_b32_e32 v3, 0x80000000, v5
	v_lshlrev_b32_e32 v0, 21, v0
	v_or3_b32 v0, v3, v1, v0
.LBB6_208:                              ;   in Loop: Header=BB6_138 Depth=3
	s_or_b32 exec_lo, exec_lo, s72
	v_mul_f32_e32 v0, s63, v0
	v_and_b32_e32 v1, 0x7f800000, v0
	v_cmp_ne_u32_e32 vcc_lo, 0x7f800000, v1
	v_mov_b32_e32 v1, 0x80
	buffer_store_dword v1, off, s[0:3], s33 offset:272 ; 4-byte Folded Spill
	s_and_saveexec_b32 s72, vcc_lo
	s_cbranch_execz .LBB6_216
; %bb.209:                              ;   in Loop: Header=BB6_138 Depth=3
	v_mov_b32_e32 v1, 0
	s_mov_b32 s73, exec_lo
	buffer_store_dword v1, off, s[0:3], s33 offset:272 ; 4-byte Folded Spill
	v_cmpx_ne_u32_e32 0, v0
	s_cbranch_execz .LBB6_215
; %bb.210:                              ;   in Loop: Header=BB6_138 Depth=3
	v_bfe_u32 v1, v0, 23, 8
	v_and_b32_e32 v3, 0x7fffff, v0
	v_sub_nc_u32_e32 v4, 0x70, v1
	v_cmp_gt_u32_e32 vcc_lo, 0x71, v1
	v_or_b32_e32 v5, 0x800000, v3
	v_cndmask_b32_e32 v4, 0, v4, vcc_lo
	v_cmp_eq_u32_e32 vcc_lo, 0, v1
	v_add_nc_u32_e32 v1, 0xffffff91, v1
	v_cndmask_b32_e64 v4, v4, 0x6f, vcc_lo
	v_cndmask_b32_e32 v3, v5, v3, vcc_lo
	v_cndmask_b32_e64 v1, v1, 0xffffff92, vcc_lo
	v_lshl_add_u32 v5, 0x200000, v4, -1
	v_lshrrev_b32_e32 v6, v4, v3
	v_lshlrev_b32_e64 v8, v4, 0x100000
	v_add_nc_u32_e32 v4, v4, v1
	v_and_b32_e32 v3, v5, v3
	v_bfe_u32 v7, v6, 21, 1
	v_cmp_eq_u32_e64 s16, v3, v8
	v_add_nc_u32_e32 v5, -1, v7
	v_cndmask_b32_e64 v3, 0, v5, s16
	v_lshrrev_b32_e32 v5, 23, v6
	s_mov_b32 s16, exec_lo
	v_add_nc_u32_e32 v3, v3, v6
	v_xor_b32_e32 v5, 1, v5
	v_and_b32_e32 v1, 0x1fffff, v3
	v_add_nc_u32_e32 v3, v1, v6
                                        ; implicit-def: $vgpr1
	v_cmpx_ne_u32_e64 v4, v5
	s_xor_b32 s16, exec_lo, s16
; %bb.211:                              ;   in Loop: Header=BB6_138 Depth=3
	v_cmp_lt_u32_e32 vcc_lo, 0xffffff, v3
	v_sub_nc_u32_e32 v1, v4, v5
	v_cndmask_b32_e64 v4, 0, 1, vcc_lo
	v_add_co_ci_u32_e64 v1, null, 0, v1, vcc_lo
	v_lshrrev_b32_e32 v3, v4, v3
; %bb.212:                              ;   in Loop: Header=BB6_138 Depth=3
	s_andn2_saveexec_b32 s16, s16
; %bb.213:                              ;   in Loop: Header=BB6_138 Depth=3
	v_bfe_u32 v1, v3, 23, 1
; %bb.214:                              ;   in Loop: Header=BB6_138 Depth=3
	s_or_b32 exec_lo, exec_lo, s16
	v_lshrrev_b32_e32 v3, 21, v3
	v_min_i32_e32 v4, 31, v1
	v_cmp_gt_i32_e32 vcc_lo, 32, v1
	v_and_b32_sdwa v0, v0, v117 dst_sel:DWORD dst_unused:UNUSED_PAD src0_sel:BYTE_3 src1_sel:DWORD
	v_lshlrev_b32_e32 v4, 2, v4
	v_cndmask_b32_e32 v3, 3, v3, vcc_lo
	v_and_b32_e32 v4, 0xfc, v4
	v_and_b32_e32 v5, 3, v3
	v_or_b32_e32 v1, v1, v3
	v_or3_b32 v0, v4, v0, v5
	v_cmp_ne_u32_e32 vcc_lo, 0, v1
	v_cndmask_b32_e32 v0, 0, v0, vcc_lo
	buffer_store_dword v0, off, s[0:3], s33 offset:272 ; 4-byte Folded Spill
.LBB6_215:                              ;   in Loop: Header=BB6_138 Depth=3
	s_or_b32 exec_lo, exec_lo, s73
.LBB6_216:                              ;   in Loop: Header=BB6_138 Depth=3
	s_or_b32 exec_lo, exec_lo, s72
	v_cmp_gt_i16_sdwa s72, v9, v116 src0_sel:BYTE_1 src1_sel:DWORD
	s_mov_b32 s16, 0
	s_and_saveexec_b32 s73, s72
	s_xor_b32 s72, exec_lo, s73
	s_cbranch_execz .LBB6_1946
; %bb.217:                              ;   in Loop: Header=BB6_138 Depth=3
	v_cmp_eq_u16_sdwa s74, v9, v117 src0_sel:BYTE_1 src1_sel:DWORD
	s_mov_b32 s16, -1
	s_and_saveexec_b32 s73, s74
; %bb.218:                              ;   in Loop: Header=BB6_138 Depth=3
	s_xor_b32 s16, exec_lo, -1
; %bb.219:                              ;   in Loop: Header=BB6_138 Depth=3
	s_or_b32 exec_lo, exec_lo, s73
	s_and_b32 s16, s16, exec_lo
	s_or_saveexec_b32 s72, s72
	v_mov_b32_e32 v0, 0x7f800001
	s_xor_b32 exec_lo, exec_lo, s72
	s_cbranch_execnz .LBB6_1947
.LBB6_220:                              ;   in Loop: Header=BB6_138 Depth=3
	s_or_b32 exec_lo, exec_lo, s72
	s_and_saveexec_b32 s72, s16
	s_cbranch_execz .LBB6_222
.LBB6_221:                              ;   in Loop: Header=BB6_138 Depth=3
	v_and_b32_sdwa v0, v118, v9 dst_sel:DWORD dst_unused:UNUSED_PAD src0_sel:DWORD src1_sel:BYTE_1
	v_and_b32_e32 v1, 3, v0
	v_bfe_u32 v5, v0, 2, 5
	v_ffbh_u32_e32 v3, v1
	v_cmp_eq_u32_e32 vcc_lo, 0, v5
	v_min_u32_e32 v3, 32, v3
	v_subrev_nc_u32_e32 v4, 29, v3
	v_sub_nc_u32_e32 v3, 30, v3
	v_lshlrev_b32_e32 v0, v4, v0
	v_lshlrev_b32_sdwa v4, v119, v9 dst_sel:DWORD dst_unused:UNUSED_PAD src0_sel:DWORD src1_sel:BYTE_1
	v_cndmask_b32_e32 v3, v5, v3, vcc_lo
	v_and_b32_e32 v0, 3, v0
	v_lshl_add_u32 v3, v3, 23, 0x37800000
	v_cndmask_b32_e32 v0, v1, v0, vcc_lo
	v_and_b32_e32 v1, 0x80000000, v4
	v_lshlrev_b32_e32 v0, 21, v0
	v_or3_b32 v0, v1, v3, v0
.LBB6_222:                              ;   in Loop: Header=BB6_138 Depth=3
	s_or_b32 exec_lo, exec_lo, s72
	v_mul_f32_e32 v0, s63, v0
	v_and_b32_e32 v1, 0x7f800000, v0
	v_cmp_ne_u32_e32 vcc_lo, 0x7f800000, v1
	v_mov_b32_e32 v1, 0x8000
	s_and_saveexec_b32 s72, vcc_lo
	s_cbranch_execz .LBB6_230
; %bb.223:                              ;   in Loop: Header=BB6_138 Depth=3
	v_mov_b32_e32 v1, 0
	s_mov_b32 s73, exec_lo
	v_cmpx_ne_u32_e32 0, v0
	s_cbranch_execz .LBB6_229
; %bb.224:                              ;   in Loop: Header=BB6_138 Depth=3
	v_bfe_u32 v1, v0, 23, 8
	v_and_b32_e32 v3, 0x7fffff, v0
	v_sub_nc_u32_e32 v4, 0x70, v1
	v_cmp_gt_u32_e32 vcc_lo, 0x71, v1
	v_or_b32_e32 v5, 0x800000, v3
	v_cndmask_b32_e32 v4, 0, v4, vcc_lo
	v_cmp_eq_u32_e32 vcc_lo, 0, v1
	v_add_nc_u32_e32 v1, 0xffffff91, v1
	v_cndmask_b32_e64 v4, v4, 0x6f, vcc_lo
	v_cndmask_b32_e32 v3, v5, v3, vcc_lo
	v_cndmask_b32_e64 v1, v1, 0xffffff92, vcc_lo
	v_lshl_add_u32 v5, 0x200000, v4, -1
	v_lshrrev_b32_e32 v6, v4, v3
	v_lshlrev_b32_e64 v8, v4, 0x100000
	v_add_nc_u32_e32 v4, v4, v1
	v_and_b32_e32 v3, v5, v3
	v_bfe_u32 v7, v6, 21, 1
	v_cmp_eq_u32_e64 s16, v3, v8
	v_add_nc_u32_e32 v5, -1, v7
	v_cndmask_b32_e64 v3, 0, v5, s16
	v_lshrrev_b32_e32 v5, 23, v6
	s_mov_b32 s16, exec_lo
	v_add_nc_u32_e32 v3, v3, v6
	v_xor_b32_e32 v5, 1, v5
	v_and_b32_e32 v1, 0x1fffff, v3
	v_add_nc_u32_e32 v3, v1, v6
                                        ; implicit-def: $vgpr1
	v_cmpx_ne_u32_e64 v4, v5
	s_xor_b32 s16, exec_lo, s16
; %bb.225:                              ;   in Loop: Header=BB6_138 Depth=3
	v_cmp_lt_u32_e32 vcc_lo, 0xffffff, v3
	v_sub_nc_u32_e32 v1, v4, v5
	v_cndmask_b32_e64 v4, 0, 1, vcc_lo
	v_add_co_ci_u32_e64 v1, null, 0, v1, vcc_lo
	v_lshrrev_b32_e32 v3, v4, v3
; %bb.226:                              ;   in Loop: Header=BB6_138 Depth=3
	s_andn2_saveexec_b32 s16, s16
; %bb.227:                              ;   in Loop: Header=BB6_138 Depth=3
	v_bfe_u32 v1, v3, 23, 1
; %bb.228:                              ;   in Loop: Header=BB6_138 Depth=3
	s_or_b32 exec_lo, exec_lo, s16
	v_lshrrev_b32_e32 v3, 21, v3
	v_min_i32_e32 v4, 31, v1
	v_cmp_gt_i32_e32 vcc_lo, 32, v1
	v_and_b32_sdwa v0, v0, v117 dst_sel:DWORD dst_unused:UNUSED_PAD src0_sel:BYTE_3 src1_sel:DWORD
	v_lshlrev_b32_e32 v4, 2, v4
	v_cndmask_b32_e32 v3, 3, v3, vcc_lo
	v_and_b32_e32 v4, 0xfc, v4
	v_and_b32_e32 v5, 3, v3
	v_or_b32_e32 v1, v1, v3
	v_or3_b32 v0, v0, v4, v5
	v_cmp_ne_u32_e32 vcc_lo, 0, v1
	v_lshlrev_b32_e32 v0, 8, v0
	v_cndmask_b32_e32 v1, 0, v0, vcc_lo
.LBB6_229:                              ;   in Loop: Header=BB6_138 Depth=3
	s_or_b32 exec_lo, exec_lo, s73
.LBB6_230:                              ;   in Loop: Header=BB6_138 Depth=3
	s_or_b32 exec_lo, exec_lo, s72
	buffer_store_dword v1, off, s[0:3], s33 offset:344 ; 4-byte Folded Spill
	v_and_b32_sdwa v1, v9, v40 dst_sel:DWORD dst_unused:UNUSED_PAD src0_sel:WORD_1 src1_sel:DWORD
	s_mov_b32 s16, 0
	s_mov_b32 s72, exec_lo
	v_cmpx_lt_i16_e32 0x7f, v1
	s_xor_b32 s72, exec_lo, s72
	s_cbranch_execz .LBB6_1948
; %bb.231:                              ;   in Loop: Header=BB6_138 Depth=3
	s_mov_b32 s16, -1
	s_mov_b32 s73, exec_lo
	v_cmpx_eq_u16_e32 0x80, v1
; %bb.232:                              ;   in Loop: Header=BB6_138 Depth=3
	s_xor_b32 s16, exec_lo, -1
; %bb.233:                              ;   in Loop: Header=BB6_138 Depth=3
	s_or_b32 exec_lo, exec_lo, s73
	s_and_b32 s16, s16, exec_lo
                                        ; implicit-def: $vgpr1
	s_or_saveexec_b32 s72, s72
	v_mov_b32_e32 v0, 0x7f800001
	s_xor_b32 exec_lo, exec_lo, s72
	s_cbranch_execnz .LBB6_1949
.LBB6_234:                              ;   in Loop: Header=BB6_138 Depth=3
	s_or_b32 exec_lo, exec_lo, s72
	s_and_saveexec_b32 s72, s16
	s_cbranch_execz .LBB6_236
.LBB6_235:                              ;   in Loop: Header=BB6_138 Depth=3
	v_bfe_u32 v0, v9, 16, 2
	v_bfe_u32 v4, v9, 18, 5
	v_lshlrev_b32_e32 v5, 8, v9
	v_ffbh_u32_e32 v1, v0
	v_cmp_eq_u32_e32 vcc_lo, 0, v4
	v_min_u32_e32 v1, 32, v1
	v_subrev_nc_u32_e32 v3, 29, v1
	v_sub_nc_u32_e32 v1, 30, v1
	v_lshlrev_b32_sdwa v3, v3, v9 dst_sel:DWORD dst_unused:UNUSED_PAD src0_sel:DWORD src1_sel:WORD_1
	v_cndmask_b32_e32 v1, v4, v1, vcc_lo
	v_and_b32_e32 v3, 3, v3
	v_lshl_add_u32 v1, v1, 23, 0x37800000
	v_cndmask_b32_e32 v0, v0, v3, vcc_lo
	v_and_b32_e32 v3, 0x80000000, v5
	v_lshlrev_b32_e32 v0, 21, v0
	v_or3_b32 v0, v3, v1, v0
.LBB6_236:                              ;   in Loop: Header=BB6_138 Depth=3
	s_or_b32 exec_lo, exec_lo, s72
	v_mul_f32_e32 v0, s63, v0
	v_and_b32_e32 v1, 0x7f800000, v0
	v_cmp_ne_u32_e32 vcc_lo, 0x7f800000, v1
	v_mov_b32_e32 v1, 0x80
	buffer_store_dword v1, off, s[0:3], s33 offset:276 ; 4-byte Folded Spill
	s_and_saveexec_b32 s72, vcc_lo
	s_cbranch_execz .LBB6_244
; %bb.237:                              ;   in Loop: Header=BB6_138 Depth=3
	v_mov_b32_e32 v1, 0
	s_mov_b32 s73, exec_lo
	buffer_store_dword v1, off, s[0:3], s33 offset:276 ; 4-byte Folded Spill
	v_cmpx_ne_u32_e32 0, v0
	s_cbranch_execz .LBB6_243
; %bb.238:                              ;   in Loop: Header=BB6_138 Depth=3
	v_bfe_u32 v1, v0, 23, 8
	v_and_b32_e32 v3, 0x7fffff, v0
	v_sub_nc_u32_e32 v4, 0x70, v1
	v_cmp_gt_u32_e32 vcc_lo, 0x71, v1
	v_or_b32_e32 v5, 0x800000, v3
	v_cndmask_b32_e32 v4, 0, v4, vcc_lo
	v_cmp_eq_u32_e32 vcc_lo, 0, v1
	v_add_nc_u32_e32 v1, 0xffffff91, v1
	v_cndmask_b32_e64 v4, v4, 0x6f, vcc_lo
	v_cndmask_b32_e32 v3, v5, v3, vcc_lo
	v_cndmask_b32_e64 v1, v1, 0xffffff92, vcc_lo
	v_lshl_add_u32 v5, 0x200000, v4, -1
	v_lshrrev_b32_e32 v6, v4, v3
	v_lshlrev_b32_e64 v8, v4, 0x100000
	v_add_nc_u32_e32 v4, v4, v1
	v_and_b32_e32 v3, v5, v3
	v_bfe_u32 v7, v6, 21, 1
	v_cmp_eq_u32_e64 s16, v3, v8
	v_add_nc_u32_e32 v5, -1, v7
	v_cndmask_b32_e64 v3, 0, v5, s16
	v_lshrrev_b32_e32 v5, 23, v6
	s_mov_b32 s16, exec_lo
	v_add_nc_u32_e32 v3, v3, v6
	v_xor_b32_e32 v5, 1, v5
	v_and_b32_e32 v1, 0x1fffff, v3
	v_add_nc_u32_e32 v3, v1, v6
                                        ; implicit-def: $vgpr1
	v_cmpx_ne_u32_e64 v4, v5
	s_xor_b32 s16, exec_lo, s16
; %bb.239:                              ;   in Loop: Header=BB6_138 Depth=3
	v_cmp_lt_u32_e32 vcc_lo, 0xffffff, v3
	v_sub_nc_u32_e32 v1, v4, v5
	v_cndmask_b32_e64 v4, 0, 1, vcc_lo
	v_add_co_ci_u32_e64 v1, null, 0, v1, vcc_lo
	v_lshrrev_b32_e32 v3, v4, v3
; %bb.240:                              ;   in Loop: Header=BB6_138 Depth=3
	s_andn2_saveexec_b32 s16, s16
; %bb.241:                              ;   in Loop: Header=BB6_138 Depth=3
	v_bfe_u32 v1, v3, 23, 1
; %bb.242:                              ;   in Loop: Header=BB6_138 Depth=3
	s_or_b32 exec_lo, exec_lo, s16
	v_lshrrev_b32_e32 v3, 21, v3
	v_min_i32_e32 v4, 31, v1
	v_cmp_gt_i32_e32 vcc_lo, 32, v1
	v_and_b32_sdwa v0, v0, v117 dst_sel:DWORD dst_unused:UNUSED_PAD src0_sel:BYTE_3 src1_sel:DWORD
	v_lshlrev_b32_e32 v4, 2, v4
	v_cndmask_b32_e32 v3, 3, v3, vcc_lo
	v_and_b32_e32 v4, 0xfc, v4
	v_and_b32_e32 v5, 3, v3
	v_or_b32_e32 v1, v1, v3
	v_or3_b32 v0, v4, v0, v5
	v_cmp_ne_u32_e32 vcc_lo, 0, v1
	v_cndmask_b32_e32 v0, 0, v0, vcc_lo
	buffer_store_dword v0, off, s[0:3], s33 offset:276 ; 4-byte Folded Spill
.LBB6_243:                              ;   in Loop: Header=BB6_138 Depth=3
	s_or_b32 exec_lo, exec_lo, s73
.LBB6_244:                              ;   in Loop: Header=BB6_138 Depth=3
	s_or_b32 exec_lo, exec_lo, s72
	v_cmp_gt_i16_sdwa s72, v9, v116 src0_sel:BYTE_3 src1_sel:DWORD
	s_mov_b32 s16, 0
	s_and_saveexec_b32 s73, s72
	s_xor_b32 s72, exec_lo, s73
	s_cbranch_execz .LBB6_1950
; %bb.245:                              ;   in Loop: Header=BB6_138 Depth=3
	v_cmp_eq_u16_sdwa s74, v9, v117 src0_sel:BYTE_3 src1_sel:DWORD
	s_mov_b32 s16, -1
	s_and_saveexec_b32 s73, s74
; %bb.246:                              ;   in Loop: Header=BB6_138 Depth=3
	s_xor_b32 s16, exec_lo, -1
; %bb.247:                              ;   in Loop: Header=BB6_138 Depth=3
	s_or_b32 exec_lo, exec_lo, s73
	s_and_b32 s16, s16, exec_lo
	s_or_saveexec_b32 s72, s72
	v_mov_b32_e32 v0, 0x7f800001
	s_xor_b32 exec_lo, exec_lo, s72
	s_cbranch_execnz .LBB6_1951
.LBB6_248:                              ;   in Loop: Header=BB6_138 Depth=3
	s_or_b32 exec_lo, exec_lo, s72
	s_and_saveexec_b32 s72, s16
	s_cbranch_execz .LBB6_250
.LBB6_249:                              ;   in Loop: Header=BB6_138 Depth=3
	v_bfe_u32 v0, v9, 24, 2
	v_bfe_u32 v4, v9, 26, 5
	v_ffbh_u32_e32 v1, v0
	v_cmp_eq_u32_e32 vcc_lo, 0, v4
	v_min_u32_e32 v1, 32, v1
	v_subrev_nc_u32_e32 v3, 29, v1
	v_sub_nc_u32_e32 v1, 30, v1
	v_lshlrev_b32_sdwa v3, v3, v9 dst_sel:DWORD dst_unused:UNUSED_PAD src0_sel:DWORD src1_sel:BYTE_3
	v_cndmask_b32_e32 v1, v4, v1, vcc_lo
	v_and_b32_e32 v3, 3, v3
	v_lshl_add_u32 v1, v1, 23, 0x37800000
	v_cndmask_b32_e32 v0, v0, v3, vcc_lo
	v_and_b32_e32 v3, 0x80000000, v9
	v_lshlrev_b32_e32 v0, 21, v0
	v_or3_b32 v0, v3, v1, v0
.LBB6_250:                              ;   in Loop: Header=BB6_138 Depth=3
	s_or_b32 exec_lo, exec_lo, s72
	v_mul_f32_e32 v0, s63, v0
	v_mov_b32_e32 v9, 0x8000
	s_mov_b32 s72, exec_lo
	v_and_b32_e32 v1, 0x7f800000, v0
	v_cmpx_ne_u32_e32 0x7f800000, v1
	s_cbranch_execz .LBB6_258
; %bb.251:                              ;   in Loop: Header=BB6_138 Depth=3
	v_mov_b32_e32 v9, 0
	s_mov_b32 s73, exec_lo
	v_cmpx_ne_u32_e32 0, v0
	s_cbranch_execz .LBB6_257
; %bb.252:                              ;   in Loop: Header=BB6_138 Depth=3
	v_bfe_u32 v1, v0, 23, 8
	v_and_b32_e32 v3, 0x7fffff, v0
	v_sub_nc_u32_e32 v4, 0x70, v1
	v_cmp_gt_u32_e32 vcc_lo, 0x71, v1
	v_or_b32_e32 v5, 0x800000, v3
	v_cndmask_b32_e32 v4, 0, v4, vcc_lo
	v_cmp_eq_u32_e32 vcc_lo, 0, v1
	v_add_nc_u32_e32 v1, 0xffffff91, v1
	v_cndmask_b32_e64 v4, v4, 0x6f, vcc_lo
	v_cndmask_b32_e32 v3, v5, v3, vcc_lo
	v_cndmask_b32_e64 v1, v1, 0xffffff92, vcc_lo
	v_lshl_add_u32 v5, 0x200000, v4, -1
	v_lshrrev_b32_e32 v6, v4, v3
	v_lshlrev_b32_e64 v8, v4, 0x100000
	v_add_nc_u32_e32 v4, v4, v1
	v_and_b32_e32 v3, v5, v3
	v_bfe_u32 v7, v6, 21, 1
	v_cmp_eq_u32_e64 s16, v3, v8
	v_add_nc_u32_e32 v5, -1, v7
	v_cndmask_b32_e64 v3, 0, v5, s16
	v_lshrrev_b32_e32 v5, 23, v6
	s_mov_b32 s16, exec_lo
	v_add_nc_u32_e32 v3, v3, v6
	v_xor_b32_e32 v5, 1, v5
	v_and_b32_e32 v1, 0x1fffff, v3
	v_add_nc_u32_e32 v3, v1, v6
                                        ; implicit-def: $vgpr1
	v_cmpx_ne_u32_e64 v4, v5
	s_xor_b32 s16, exec_lo, s16
; %bb.253:                              ;   in Loop: Header=BB6_138 Depth=3
	v_cmp_lt_u32_e32 vcc_lo, 0xffffff, v3
	v_sub_nc_u32_e32 v1, v4, v5
	v_cndmask_b32_e64 v4, 0, 1, vcc_lo
	v_add_co_ci_u32_e64 v1, null, 0, v1, vcc_lo
	v_lshrrev_b32_e32 v3, v4, v3
; %bb.254:                              ;   in Loop: Header=BB6_138 Depth=3
	s_andn2_saveexec_b32 s16, s16
; %bb.255:                              ;   in Loop: Header=BB6_138 Depth=3
	v_bfe_u32 v1, v3, 23, 1
; %bb.256:                              ;   in Loop: Header=BB6_138 Depth=3
	s_or_b32 exec_lo, exec_lo, s16
	v_lshrrev_b32_e32 v3, 21, v3
	v_min_i32_e32 v4, 31, v1
	v_cmp_gt_i32_e32 vcc_lo, 32, v1
	v_and_b32_sdwa v0, v0, v117 dst_sel:DWORD dst_unused:UNUSED_PAD src0_sel:BYTE_3 src1_sel:DWORD
	v_lshlrev_b32_e32 v4, 2, v4
	v_cndmask_b32_e32 v3, 3, v3, vcc_lo
	v_and_b32_e32 v4, 0xfc, v4
	v_and_b32_e32 v5, 3, v3
	v_or_b32_e32 v1, v1, v3
	v_or3_b32 v0, v0, v4, v5
	v_cmp_ne_u32_e32 vcc_lo, 0, v1
	v_lshlrev_b32_e32 v0, 8, v0
	v_cndmask_b32_e32 v9, 0, v0, vcc_lo
.LBB6_257:                              ;   in Loop: Header=BB6_138 Depth=3
	s_or_b32 exec_lo, exec_lo, s73
.LBB6_258:                              ;   in Loop: Header=BB6_138 Depth=3
	s_or_b32 exec_lo, exec_lo, s72
	v_cmp_gt_i16_sdwa s72, v10, v116 src0_sel:BYTE_0 src1_sel:DWORD
	s_mov_b32 s16, 0
	s_and_saveexec_b32 s73, s72
	s_xor_b32 s72, exec_lo, s73
	s_cbranch_execz .LBB6_1952
; %bb.259:                              ;   in Loop: Header=BB6_138 Depth=3
	v_cmp_eq_u16_sdwa s74, v10, v117 src0_sel:BYTE_0 src1_sel:DWORD
	s_mov_b32 s16, -1
	s_and_saveexec_b32 s73, s74
; %bb.260:                              ;   in Loop: Header=BB6_138 Depth=3
	s_xor_b32 s16, exec_lo, -1
; %bb.261:                              ;   in Loop: Header=BB6_138 Depth=3
	s_or_b32 exec_lo, exec_lo, s73
	s_and_b32 s16, s16, exec_lo
	s_or_saveexec_b32 s72, s72
	v_mov_b32_e32 v0, 0x7f800001
	s_xor_b32 exec_lo, exec_lo, s72
	s_cbranch_execnz .LBB6_1953
.LBB6_262:                              ;   in Loop: Header=BB6_138 Depth=3
	s_or_b32 exec_lo, exec_lo, s72
	s_and_saveexec_b32 s72, s16
	s_cbranch_execz .LBB6_264
.LBB6_263:                              ;   in Loop: Header=BB6_138 Depth=3
	v_and_b32_e32 v0, 3, v10
	v_bfe_u32 v4, v10, 2, 5
	v_lshlrev_b32_e32 v5, 24, v10
	v_ffbh_u32_e32 v1, v0
	v_cmp_eq_u32_e32 vcc_lo, 0, v4
	v_min_u32_e32 v1, 32, v1
	v_subrev_nc_u32_e32 v3, 29, v1
	v_sub_nc_u32_e32 v1, 30, v1
	v_lshlrev_b32_e32 v3, v3, v10
	v_cndmask_b32_e32 v1, v4, v1, vcc_lo
	v_and_b32_e32 v3, 3, v3
	v_lshl_add_u32 v1, v1, 23, 0x37800000
	v_cndmask_b32_e32 v0, v0, v3, vcc_lo
	v_and_b32_e32 v3, 0x80000000, v5
	v_lshlrev_b32_e32 v0, 21, v0
	v_or3_b32 v0, v3, v1, v0
.LBB6_264:                              ;   in Loop: Header=BB6_138 Depth=3
	s_or_b32 exec_lo, exec_lo, s72
	v_mul_f32_e32 v0, s63, v0
	v_and_b32_e32 v1, 0x7f800000, v0
	v_cmp_ne_u32_e32 vcc_lo, 0x7f800000, v1
	v_mov_b32_e32 v1, 0x80
	buffer_store_dword v1, off, s[0:3], s33 offset:280 ; 4-byte Folded Spill
	s_and_saveexec_b32 s72, vcc_lo
	s_cbranch_execz .LBB6_272
; %bb.265:                              ;   in Loop: Header=BB6_138 Depth=3
	v_mov_b32_e32 v1, 0
	s_mov_b32 s73, exec_lo
	buffer_store_dword v1, off, s[0:3], s33 offset:280 ; 4-byte Folded Spill
	v_cmpx_ne_u32_e32 0, v0
	s_cbranch_execz .LBB6_271
; %bb.266:                              ;   in Loop: Header=BB6_138 Depth=3
	v_bfe_u32 v1, v0, 23, 8
	v_and_b32_e32 v3, 0x7fffff, v0
	v_sub_nc_u32_e32 v4, 0x70, v1
	v_cmp_gt_u32_e32 vcc_lo, 0x71, v1
	v_or_b32_e32 v5, 0x800000, v3
	v_cndmask_b32_e32 v4, 0, v4, vcc_lo
	v_cmp_eq_u32_e32 vcc_lo, 0, v1
	v_add_nc_u32_e32 v1, 0xffffff91, v1
	v_cndmask_b32_e64 v4, v4, 0x6f, vcc_lo
	v_cndmask_b32_e32 v3, v5, v3, vcc_lo
	v_cndmask_b32_e64 v1, v1, 0xffffff92, vcc_lo
	v_lshl_add_u32 v5, 0x200000, v4, -1
	v_lshrrev_b32_e32 v6, v4, v3
	v_lshlrev_b32_e64 v8, v4, 0x100000
	v_add_nc_u32_e32 v4, v4, v1
	v_and_b32_e32 v3, v5, v3
	v_bfe_u32 v7, v6, 21, 1
	v_cmp_eq_u32_e64 s16, v3, v8
	v_add_nc_u32_e32 v5, -1, v7
	v_cndmask_b32_e64 v3, 0, v5, s16
	v_lshrrev_b32_e32 v5, 23, v6
	s_mov_b32 s16, exec_lo
	v_add_nc_u32_e32 v3, v3, v6
	v_xor_b32_e32 v5, 1, v5
	v_and_b32_e32 v1, 0x1fffff, v3
	v_add_nc_u32_e32 v3, v1, v6
                                        ; implicit-def: $vgpr1
	v_cmpx_ne_u32_e64 v4, v5
	s_xor_b32 s16, exec_lo, s16
; %bb.267:                              ;   in Loop: Header=BB6_138 Depth=3
	v_cmp_lt_u32_e32 vcc_lo, 0xffffff, v3
	v_sub_nc_u32_e32 v1, v4, v5
	v_cndmask_b32_e64 v4, 0, 1, vcc_lo
	v_add_co_ci_u32_e64 v1, null, 0, v1, vcc_lo
	v_lshrrev_b32_e32 v3, v4, v3
; %bb.268:                              ;   in Loop: Header=BB6_138 Depth=3
	s_andn2_saveexec_b32 s16, s16
; %bb.269:                              ;   in Loop: Header=BB6_138 Depth=3
	v_bfe_u32 v1, v3, 23, 1
; %bb.270:                              ;   in Loop: Header=BB6_138 Depth=3
	s_or_b32 exec_lo, exec_lo, s16
	v_lshrrev_b32_e32 v3, 21, v3
	v_min_i32_e32 v4, 31, v1
	v_cmp_gt_i32_e32 vcc_lo, 32, v1
	v_and_b32_sdwa v0, v0, v117 dst_sel:DWORD dst_unused:UNUSED_PAD src0_sel:BYTE_3 src1_sel:DWORD
	v_lshlrev_b32_e32 v4, 2, v4
	v_cndmask_b32_e32 v3, 3, v3, vcc_lo
	v_and_b32_e32 v4, 0xfc, v4
	v_and_b32_e32 v5, 3, v3
	v_or_b32_e32 v1, v1, v3
	v_or3_b32 v0, v4, v0, v5
	v_cmp_ne_u32_e32 vcc_lo, 0, v1
	v_cndmask_b32_e32 v0, 0, v0, vcc_lo
	buffer_store_dword v0, off, s[0:3], s33 offset:280 ; 4-byte Folded Spill
.LBB6_271:                              ;   in Loop: Header=BB6_138 Depth=3
	s_or_b32 exec_lo, exec_lo, s73
.LBB6_272:                              ;   in Loop: Header=BB6_138 Depth=3
	s_or_b32 exec_lo, exec_lo, s72
	v_cmp_gt_i16_sdwa s72, v10, v116 src0_sel:BYTE_1 src1_sel:DWORD
	s_mov_b32 s16, 0
	s_and_saveexec_b32 s73, s72
	s_xor_b32 s72, exec_lo, s73
	s_cbranch_execz .LBB6_1954
; %bb.273:                              ;   in Loop: Header=BB6_138 Depth=3
	v_cmp_eq_u16_sdwa s74, v10, v117 src0_sel:BYTE_1 src1_sel:DWORD
	s_mov_b32 s16, -1
	s_and_saveexec_b32 s73, s74
; %bb.274:                              ;   in Loop: Header=BB6_138 Depth=3
	s_xor_b32 s16, exec_lo, -1
; %bb.275:                              ;   in Loop: Header=BB6_138 Depth=3
	s_or_b32 exec_lo, exec_lo, s73
	s_and_b32 s16, s16, exec_lo
	s_or_saveexec_b32 s72, s72
	v_mov_b32_e32 v0, 0x7f800001
	s_xor_b32 exec_lo, exec_lo, s72
	s_cbranch_execnz .LBB6_1955
.LBB6_276:                              ;   in Loop: Header=BB6_138 Depth=3
	s_or_b32 exec_lo, exec_lo, s72
	s_and_saveexec_b32 s72, s16
	s_cbranch_execz .LBB6_278
.LBB6_277:                              ;   in Loop: Header=BB6_138 Depth=3
	v_and_b32_sdwa v0, v118, v10 dst_sel:DWORD dst_unused:UNUSED_PAD src0_sel:DWORD src1_sel:BYTE_1
	v_and_b32_e32 v1, 3, v0
	v_bfe_u32 v5, v0, 2, 5
	v_ffbh_u32_e32 v3, v1
	v_cmp_eq_u32_e32 vcc_lo, 0, v5
	v_min_u32_e32 v3, 32, v3
	v_subrev_nc_u32_e32 v4, 29, v3
	v_sub_nc_u32_e32 v3, 30, v3
	v_lshlrev_b32_e32 v0, v4, v0
	v_lshlrev_b32_sdwa v4, v119, v10 dst_sel:DWORD dst_unused:UNUSED_PAD src0_sel:DWORD src1_sel:BYTE_1
	v_cndmask_b32_e32 v3, v5, v3, vcc_lo
	v_and_b32_e32 v0, 3, v0
	v_lshl_add_u32 v3, v3, 23, 0x37800000
	v_cndmask_b32_e32 v0, v1, v0, vcc_lo
	v_and_b32_e32 v1, 0x80000000, v4
	v_lshlrev_b32_e32 v0, 21, v0
	v_or3_b32 v0, v1, v3, v0
.LBB6_278:                              ;   in Loop: Header=BB6_138 Depth=3
	s_or_b32 exec_lo, exec_lo, s72
	v_mul_f32_e32 v0, s63, v0
	v_and_b32_e32 v1, 0x7f800000, v0
	v_cmp_ne_u32_e32 vcc_lo, 0x7f800000, v1
	v_mov_b32_e32 v1, 0x8000
	s_and_saveexec_b32 s72, vcc_lo
	s_cbranch_execz .LBB6_286
; %bb.279:                              ;   in Loop: Header=BB6_138 Depth=3
	v_mov_b32_e32 v1, 0
	s_mov_b32 s73, exec_lo
	v_cmpx_ne_u32_e32 0, v0
	s_cbranch_execz .LBB6_285
; %bb.280:                              ;   in Loop: Header=BB6_138 Depth=3
	v_bfe_u32 v1, v0, 23, 8
	v_and_b32_e32 v3, 0x7fffff, v0
	v_sub_nc_u32_e32 v4, 0x70, v1
	v_cmp_gt_u32_e32 vcc_lo, 0x71, v1
	v_or_b32_e32 v5, 0x800000, v3
	v_cndmask_b32_e32 v4, 0, v4, vcc_lo
	v_cmp_eq_u32_e32 vcc_lo, 0, v1
	v_add_nc_u32_e32 v1, 0xffffff91, v1
	v_cndmask_b32_e64 v4, v4, 0x6f, vcc_lo
	v_cndmask_b32_e32 v3, v5, v3, vcc_lo
	v_cndmask_b32_e64 v1, v1, 0xffffff92, vcc_lo
	v_lshl_add_u32 v5, 0x200000, v4, -1
	v_lshrrev_b32_e32 v6, v4, v3
	v_lshlrev_b32_e64 v8, v4, 0x100000
	v_add_nc_u32_e32 v4, v4, v1
	v_and_b32_e32 v3, v5, v3
	v_bfe_u32 v7, v6, 21, 1
	v_cmp_eq_u32_e64 s16, v3, v8
	v_add_nc_u32_e32 v5, -1, v7
	v_cndmask_b32_e64 v3, 0, v5, s16
	v_lshrrev_b32_e32 v5, 23, v6
	s_mov_b32 s16, exec_lo
	v_add_nc_u32_e32 v3, v3, v6
	v_xor_b32_e32 v5, 1, v5
	v_and_b32_e32 v1, 0x1fffff, v3
	v_add_nc_u32_e32 v3, v1, v6
                                        ; implicit-def: $vgpr1
	v_cmpx_ne_u32_e64 v4, v5
	s_xor_b32 s16, exec_lo, s16
; %bb.281:                              ;   in Loop: Header=BB6_138 Depth=3
	v_cmp_lt_u32_e32 vcc_lo, 0xffffff, v3
	v_sub_nc_u32_e32 v1, v4, v5
	v_cndmask_b32_e64 v4, 0, 1, vcc_lo
	v_add_co_ci_u32_e64 v1, null, 0, v1, vcc_lo
	v_lshrrev_b32_e32 v3, v4, v3
; %bb.282:                              ;   in Loop: Header=BB6_138 Depth=3
	s_andn2_saveexec_b32 s16, s16
; %bb.283:                              ;   in Loop: Header=BB6_138 Depth=3
	v_bfe_u32 v1, v3, 23, 1
; %bb.284:                              ;   in Loop: Header=BB6_138 Depth=3
	s_or_b32 exec_lo, exec_lo, s16
	v_lshrrev_b32_e32 v3, 21, v3
	v_min_i32_e32 v4, 31, v1
	v_cmp_gt_i32_e32 vcc_lo, 32, v1
	v_and_b32_sdwa v0, v0, v117 dst_sel:DWORD dst_unused:UNUSED_PAD src0_sel:BYTE_3 src1_sel:DWORD
	v_lshlrev_b32_e32 v4, 2, v4
	v_cndmask_b32_e32 v3, 3, v3, vcc_lo
	v_and_b32_e32 v4, 0xfc, v4
	v_and_b32_e32 v5, 3, v3
	v_or_b32_e32 v1, v1, v3
	v_or3_b32 v0, v0, v4, v5
	v_cmp_ne_u32_e32 vcc_lo, 0, v1
	v_lshlrev_b32_e32 v0, 8, v0
	v_cndmask_b32_e32 v1, 0, v0, vcc_lo
.LBB6_285:                              ;   in Loop: Header=BB6_138 Depth=3
	s_or_b32 exec_lo, exec_lo, s73
.LBB6_286:                              ;   in Loop: Header=BB6_138 Depth=3
	s_or_b32 exec_lo, exec_lo, s72
	buffer_store_dword v1, off, s[0:3], s33 offset:352 ; 4-byte Folded Spill
	v_and_b32_sdwa v1, v10, v40 dst_sel:DWORD dst_unused:UNUSED_PAD src0_sel:WORD_1 src1_sel:DWORD
	s_mov_b32 s16, 0
	s_mov_b32 s72, exec_lo
	v_cmpx_lt_i16_e32 0x7f, v1
	s_xor_b32 s72, exec_lo, s72
	s_cbranch_execz .LBB6_1956
; %bb.287:                              ;   in Loop: Header=BB6_138 Depth=3
	s_mov_b32 s16, -1
	s_mov_b32 s73, exec_lo
	v_cmpx_eq_u16_e32 0x80, v1
; %bb.288:                              ;   in Loop: Header=BB6_138 Depth=3
	s_xor_b32 s16, exec_lo, -1
; %bb.289:                              ;   in Loop: Header=BB6_138 Depth=3
	s_or_b32 exec_lo, exec_lo, s73
	s_and_b32 s16, s16, exec_lo
                                        ; implicit-def: $vgpr1
	s_or_saveexec_b32 s72, s72
	v_mov_b32_e32 v0, 0x7f800001
	s_xor_b32 exec_lo, exec_lo, s72
	s_cbranch_execnz .LBB6_1957
.LBB6_290:                              ;   in Loop: Header=BB6_138 Depth=3
	s_or_b32 exec_lo, exec_lo, s72
	s_and_saveexec_b32 s72, s16
	s_cbranch_execz .LBB6_292
.LBB6_291:                              ;   in Loop: Header=BB6_138 Depth=3
	v_bfe_u32 v0, v10, 16, 2
	v_bfe_u32 v4, v10, 18, 5
	v_lshlrev_b32_e32 v5, 8, v10
	v_ffbh_u32_e32 v1, v0
	v_cmp_eq_u32_e32 vcc_lo, 0, v4
	v_min_u32_e32 v1, 32, v1
	v_subrev_nc_u32_e32 v3, 29, v1
	v_sub_nc_u32_e32 v1, 30, v1
	v_lshlrev_b32_sdwa v3, v3, v10 dst_sel:DWORD dst_unused:UNUSED_PAD src0_sel:DWORD src1_sel:WORD_1
	v_cndmask_b32_e32 v1, v4, v1, vcc_lo
	v_and_b32_e32 v3, 3, v3
	v_lshl_add_u32 v1, v1, 23, 0x37800000
	v_cndmask_b32_e32 v0, v0, v3, vcc_lo
	v_and_b32_e32 v3, 0x80000000, v5
	v_lshlrev_b32_e32 v0, 21, v0
	v_or3_b32 v0, v3, v1, v0
.LBB6_292:                              ;   in Loop: Header=BB6_138 Depth=3
	s_or_b32 exec_lo, exec_lo, s72
	v_mul_f32_e32 v0, s63, v0
	v_and_b32_e32 v1, 0x7f800000, v0
	v_cmp_ne_u32_e32 vcc_lo, 0x7f800000, v1
	v_mov_b32_e32 v1, 0x80
	buffer_store_dword v1, off, s[0:3], s33 offset:284 ; 4-byte Folded Spill
	s_and_saveexec_b32 s72, vcc_lo
	s_cbranch_execz .LBB6_300
; %bb.293:                              ;   in Loop: Header=BB6_138 Depth=3
	v_mov_b32_e32 v1, 0
	s_mov_b32 s73, exec_lo
	buffer_store_dword v1, off, s[0:3], s33 offset:284 ; 4-byte Folded Spill
	v_cmpx_ne_u32_e32 0, v0
	s_cbranch_execz .LBB6_299
; %bb.294:                              ;   in Loop: Header=BB6_138 Depth=3
	v_bfe_u32 v1, v0, 23, 8
	v_and_b32_e32 v3, 0x7fffff, v0
	v_sub_nc_u32_e32 v4, 0x70, v1
	v_cmp_gt_u32_e32 vcc_lo, 0x71, v1
	v_or_b32_e32 v5, 0x800000, v3
	v_cndmask_b32_e32 v4, 0, v4, vcc_lo
	v_cmp_eq_u32_e32 vcc_lo, 0, v1
	v_add_nc_u32_e32 v1, 0xffffff91, v1
	v_cndmask_b32_e64 v4, v4, 0x6f, vcc_lo
	v_cndmask_b32_e32 v3, v5, v3, vcc_lo
	v_cndmask_b32_e64 v1, v1, 0xffffff92, vcc_lo
	v_lshl_add_u32 v5, 0x200000, v4, -1
	v_lshrrev_b32_e32 v6, v4, v3
	v_lshlrev_b32_e64 v8, v4, 0x100000
	v_add_nc_u32_e32 v4, v4, v1
	v_and_b32_e32 v3, v5, v3
	v_bfe_u32 v7, v6, 21, 1
	v_cmp_eq_u32_e64 s16, v3, v8
	v_add_nc_u32_e32 v5, -1, v7
	v_cndmask_b32_e64 v3, 0, v5, s16
	v_lshrrev_b32_e32 v5, 23, v6
	s_mov_b32 s16, exec_lo
	v_add_nc_u32_e32 v3, v3, v6
	v_xor_b32_e32 v5, 1, v5
	v_and_b32_e32 v1, 0x1fffff, v3
	v_add_nc_u32_e32 v3, v1, v6
                                        ; implicit-def: $vgpr1
	v_cmpx_ne_u32_e64 v4, v5
	s_xor_b32 s16, exec_lo, s16
; %bb.295:                              ;   in Loop: Header=BB6_138 Depth=3
	v_cmp_lt_u32_e32 vcc_lo, 0xffffff, v3
	v_sub_nc_u32_e32 v1, v4, v5
	v_cndmask_b32_e64 v4, 0, 1, vcc_lo
	v_add_co_ci_u32_e64 v1, null, 0, v1, vcc_lo
	v_lshrrev_b32_e32 v3, v4, v3
; %bb.296:                              ;   in Loop: Header=BB6_138 Depth=3
	s_andn2_saveexec_b32 s16, s16
; %bb.297:                              ;   in Loop: Header=BB6_138 Depth=3
	v_bfe_u32 v1, v3, 23, 1
; %bb.298:                              ;   in Loop: Header=BB6_138 Depth=3
	s_or_b32 exec_lo, exec_lo, s16
	v_lshrrev_b32_e32 v3, 21, v3
	v_min_i32_e32 v4, 31, v1
	v_cmp_gt_i32_e32 vcc_lo, 32, v1
	v_and_b32_sdwa v0, v0, v117 dst_sel:DWORD dst_unused:UNUSED_PAD src0_sel:BYTE_3 src1_sel:DWORD
	v_lshlrev_b32_e32 v4, 2, v4
	v_cndmask_b32_e32 v3, 3, v3, vcc_lo
	v_and_b32_e32 v4, 0xfc, v4
	v_and_b32_e32 v5, 3, v3
	v_or_b32_e32 v1, v1, v3
	v_or3_b32 v0, v4, v0, v5
	v_cmp_ne_u32_e32 vcc_lo, 0, v1
	v_cndmask_b32_e32 v0, 0, v0, vcc_lo
	buffer_store_dword v0, off, s[0:3], s33 offset:284 ; 4-byte Folded Spill
.LBB6_299:                              ;   in Loop: Header=BB6_138 Depth=3
	s_or_b32 exec_lo, exec_lo, s73
.LBB6_300:                              ;   in Loop: Header=BB6_138 Depth=3
	s_or_b32 exec_lo, exec_lo, s72
	v_cmp_gt_i16_sdwa s72, v10, v116 src0_sel:BYTE_3 src1_sel:DWORD
	s_mov_b32 s16, 0
	s_and_saveexec_b32 s73, s72
	s_xor_b32 s72, exec_lo, s73
	s_cbranch_execz .LBB6_1958
; %bb.301:                              ;   in Loop: Header=BB6_138 Depth=3
	v_cmp_eq_u16_sdwa s74, v10, v117 src0_sel:BYTE_3 src1_sel:DWORD
	s_mov_b32 s16, -1
	s_and_saveexec_b32 s73, s74
; %bb.302:                              ;   in Loop: Header=BB6_138 Depth=3
	s_xor_b32 s16, exec_lo, -1
; %bb.303:                              ;   in Loop: Header=BB6_138 Depth=3
	s_or_b32 exec_lo, exec_lo, s73
	s_and_b32 s16, s16, exec_lo
	s_or_saveexec_b32 s72, s72
	v_mov_b32_e32 v0, 0x7f800001
	s_xor_b32 exec_lo, exec_lo, s72
	s_cbranch_execnz .LBB6_1959
.LBB6_304:                              ;   in Loop: Header=BB6_138 Depth=3
	s_or_b32 exec_lo, exec_lo, s72
	s_and_saveexec_b32 s72, s16
	s_cbranch_execz .LBB6_306
.LBB6_305:                              ;   in Loop: Header=BB6_138 Depth=3
	v_bfe_u32 v0, v10, 24, 2
	v_bfe_u32 v4, v10, 26, 5
	v_ffbh_u32_e32 v1, v0
	v_cmp_eq_u32_e32 vcc_lo, 0, v4
	v_min_u32_e32 v1, 32, v1
	v_subrev_nc_u32_e32 v3, 29, v1
	v_sub_nc_u32_e32 v1, 30, v1
	v_lshlrev_b32_sdwa v3, v3, v10 dst_sel:DWORD dst_unused:UNUSED_PAD src0_sel:DWORD src1_sel:BYTE_3
	v_cndmask_b32_e32 v1, v4, v1, vcc_lo
	v_and_b32_e32 v3, 3, v3
	v_lshl_add_u32 v1, v1, 23, 0x37800000
	v_cndmask_b32_e32 v0, v0, v3, vcc_lo
	v_and_b32_e32 v3, 0x80000000, v10
	v_lshlrev_b32_e32 v0, 21, v0
	v_or3_b32 v0, v3, v1, v0
.LBB6_306:                              ;   in Loop: Header=BB6_138 Depth=3
	s_or_b32 exec_lo, exec_lo, s72
	v_mul_f32_e32 v0, s63, v0
	v_mov_b32_e32 v10, 0x8000
	s_mov_b32 s72, exec_lo
	v_and_b32_e32 v1, 0x7f800000, v0
	v_cmpx_ne_u32_e32 0x7f800000, v1
	s_cbranch_execz .LBB6_314
; %bb.307:                              ;   in Loop: Header=BB6_138 Depth=3
	v_mov_b32_e32 v10, 0
	s_mov_b32 s73, exec_lo
	v_cmpx_ne_u32_e32 0, v0
	s_cbranch_execz .LBB6_313
; %bb.308:                              ;   in Loop: Header=BB6_138 Depth=3
	v_bfe_u32 v1, v0, 23, 8
	v_and_b32_e32 v3, 0x7fffff, v0
	v_sub_nc_u32_e32 v4, 0x70, v1
	v_cmp_gt_u32_e32 vcc_lo, 0x71, v1
	v_or_b32_e32 v5, 0x800000, v3
	v_cndmask_b32_e32 v4, 0, v4, vcc_lo
	v_cmp_eq_u32_e32 vcc_lo, 0, v1
	v_add_nc_u32_e32 v1, 0xffffff91, v1
	v_cndmask_b32_e64 v4, v4, 0x6f, vcc_lo
	v_cndmask_b32_e32 v3, v5, v3, vcc_lo
	v_cndmask_b32_e64 v1, v1, 0xffffff92, vcc_lo
	v_lshl_add_u32 v5, 0x200000, v4, -1
	v_lshrrev_b32_e32 v6, v4, v3
	v_lshlrev_b32_e64 v8, v4, 0x100000
	v_add_nc_u32_e32 v4, v4, v1
	v_and_b32_e32 v3, v5, v3
	v_bfe_u32 v7, v6, 21, 1
	v_cmp_eq_u32_e64 s16, v3, v8
	v_add_nc_u32_e32 v5, -1, v7
	v_cndmask_b32_e64 v3, 0, v5, s16
	v_lshrrev_b32_e32 v5, 23, v6
	s_mov_b32 s16, exec_lo
	v_add_nc_u32_e32 v3, v3, v6
	v_xor_b32_e32 v5, 1, v5
	v_and_b32_e32 v1, 0x1fffff, v3
	v_add_nc_u32_e32 v3, v1, v6
                                        ; implicit-def: $vgpr1
	v_cmpx_ne_u32_e64 v4, v5
	s_xor_b32 s16, exec_lo, s16
; %bb.309:                              ;   in Loop: Header=BB6_138 Depth=3
	v_cmp_lt_u32_e32 vcc_lo, 0xffffff, v3
	v_sub_nc_u32_e32 v1, v4, v5
	v_cndmask_b32_e64 v4, 0, 1, vcc_lo
	v_add_co_ci_u32_e64 v1, null, 0, v1, vcc_lo
	v_lshrrev_b32_e32 v3, v4, v3
; %bb.310:                              ;   in Loop: Header=BB6_138 Depth=3
	s_andn2_saveexec_b32 s16, s16
; %bb.311:                              ;   in Loop: Header=BB6_138 Depth=3
	v_bfe_u32 v1, v3, 23, 1
; %bb.312:                              ;   in Loop: Header=BB6_138 Depth=3
	s_or_b32 exec_lo, exec_lo, s16
	v_lshrrev_b32_e32 v3, 21, v3
	v_min_i32_e32 v4, 31, v1
	v_cmp_gt_i32_e32 vcc_lo, 32, v1
	v_and_b32_sdwa v0, v0, v117 dst_sel:DWORD dst_unused:UNUSED_PAD src0_sel:BYTE_3 src1_sel:DWORD
	v_lshlrev_b32_e32 v4, 2, v4
	v_cndmask_b32_e32 v3, 3, v3, vcc_lo
	v_and_b32_e32 v4, 0xfc, v4
	v_and_b32_e32 v5, 3, v3
	v_or_b32_e32 v1, v1, v3
	v_or3_b32 v0, v0, v4, v5
	v_cmp_ne_u32_e32 vcc_lo, 0, v1
	v_lshlrev_b32_e32 v0, 8, v0
	v_cndmask_b32_e32 v10, 0, v0, vcc_lo
.LBB6_313:                              ;   in Loop: Header=BB6_138 Depth=3
	s_or_b32 exec_lo, exec_lo, s73
.LBB6_314:                              ;   in Loop: Header=BB6_138 Depth=3
	s_or_b32 exec_lo, exec_lo, s72
	v_cmp_gt_i16_sdwa s72, v11, v116 src0_sel:BYTE_0 src1_sel:DWORD
	s_mov_b32 s16, 0
	s_and_saveexec_b32 s73, s72
	s_xor_b32 s72, exec_lo, s73
	s_cbranch_execz .LBB6_1960
; %bb.315:                              ;   in Loop: Header=BB6_138 Depth=3
	v_cmp_eq_u16_sdwa s74, v11, v117 src0_sel:BYTE_0 src1_sel:DWORD
	s_mov_b32 s16, -1
	s_and_saveexec_b32 s73, s74
; %bb.316:                              ;   in Loop: Header=BB6_138 Depth=3
	s_xor_b32 s16, exec_lo, -1
; %bb.317:                              ;   in Loop: Header=BB6_138 Depth=3
	s_or_b32 exec_lo, exec_lo, s73
	s_and_b32 s16, s16, exec_lo
	s_or_saveexec_b32 s72, s72
	v_mov_b32_e32 v0, 0x7f800001
	s_xor_b32 exec_lo, exec_lo, s72
	s_cbranch_execnz .LBB6_1961
.LBB6_318:                              ;   in Loop: Header=BB6_138 Depth=3
	s_or_b32 exec_lo, exec_lo, s72
	s_and_saveexec_b32 s72, s16
	s_cbranch_execz .LBB6_320
.LBB6_319:                              ;   in Loop: Header=BB6_138 Depth=3
	v_and_b32_e32 v0, 3, v11
	v_bfe_u32 v4, v11, 2, 5
	v_lshlrev_b32_e32 v5, 24, v11
	v_ffbh_u32_e32 v1, v0
	v_cmp_eq_u32_e32 vcc_lo, 0, v4
	v_min_u32_e32 v1, 32, v1
	v_subrev_nc_u32_e32 v3, 29, v1
	v_sub_nc_u32_e32 v1, 30, v1
	v_lshlrev_b32_e32 v3, v3, v11
	v_cndmask_b32_e32 v1, v4, v1, vcc_lo
	v_and_b32_e32 v3, 3, v3
	v_lshl_add_u32 v1, v1, 23, 0x37800000
	v_cndmask_b32_e32 v0, v0, v3, vcc_lo
	v_and_b32_e32 v3, 0x80000000, v5
	v_lshlrev_b32_e32 v0, 21, v0
	v_or3_b32 v0, v3, v1, v0
.LBB6_320:                              ;   in Loop: Header=BB6_138 Depth=3
	s_or_b32 exec_lo, exec_lo, s72
	v_mul_f32_e32 v0, s63, v0
	v_and_b32_e32 v1, 0x7f800000, v0
	v_cmp_ne_u32_e32 vcc_lo, 0x7f800000, v1
	v_mov_b32_e32 v1, 0x80
	buffer_store_dword v1, off, s[0:3], s33 offset:288 ; 4-byte Folded Spill
	s_and_saveexec_b32 s72, vcc_lo
	s_cbranch_execz .LBB6_328
; %bb.321:                              ;   in Loop: Header=BB6_138 Depth=3
	v_mov_b32_e32 v1, 0
	s_mov_b32 s73, exec_lo
	buffer_store_dword v1, off, s[0:3], s33 offset:288 ; 4-byte Folded Spill
	v_cmpx_ne_u32_e32 0, v0
	s_cbranch_execz .LBB6_327
; %bb.322:                              ;   in Loop: Header=BB6_138 Depth=3
	v_bfe_u32 v1, v0, 23, 8
	v_and_b32_e32 v3, 0x7fffff, v0
	v_sub_nc_u32_e32 v4, 0x70, v1
	v_cmp_gt_u32_e32 vcc_lo, 0x71, v1
	v_or_b32_e32 v5, 0x800000, v3
	v_cndmask_b32_e32 v4, 0, v4, vcc_lo
	v_cmp_eq_u32_e32 vcc_lo, 0, v1
	v_add_nc_u32_e32 v1, 0xffffff91, v1
	v_cndmask_b32_e64 v4, v4, 0x6f, vcc_lo
	v_cndmask_b32_e32 v3, v5, v3, vcc_lo
	v_cndmask_b32_e64 v1, v1, 0xffffff92, vcc_lo
	v_lshl_add_u32 v5, 0x200000, v4, -1
	v_lshrrev_b32_e32 v6, v4, v3
	v_lshlrev_b32_e64 v8, v4, 0x100000
	v_add_nc_u32_e32 v4, v4, v1
	v_and_b32_e32 v3, v5, v3
	v_bfe_u32 v7, v6, 21, 1
	v_cmp_eq_u32_e64 s16, v3, v8
	v_add_nc_u32_e32 v5, -1, v7
	v_cndmask_b32_e64 v3, 0, v5, s16
	v_lshrrev_b32_e32 v5, 23, v6
	s_mov_b32 s16, exec_lo
	v_add_nc_u32_e32 v3, v3, v6
	v_xor_b32_e32 v5, 1, v5
	v_and_b32_e32 v1, 0x1fffff, v3
	v_add_nc_u32_e32 v3, v1, v6
                                        ; implicit-def: $vgpr1
	v_cmpx_ne_u32_e64 v4, v5
	s_xor_b32 s16, exec_lo, s16
; %bb.323:                              ;   in Loop: Header=BB6_138 Depth=3
	v_cmp_lt_u32_e32 vcc_lo, 0xffffff, v3
	v_sub_nc_u32_e32 v1, v4, v5
	v_cndmask_b32_e64 v4, 0, 1, vcc_lo
	v_add_co_ci_u32_e64 v1, null, 0, v1, vcc_lo
	v_lshrrev_b32_e32 v3, v4, v3
; %bb.324:                              ;   in Loop: Header=BB6_138 Depth=3
	s_andn2_saveexec_b32 s16, s16
; %bb.325:                              ;   in Loop: Header=BB6_138 Depth=3
	v_bfe_u32 v1, v3, 23, 1
; %bb.326:                              ;   in Loop: Header=BB6_138 Depth=3
	s_or_b32 exec_lo, exec_lo, s16
	v_lshrrev_b32_e32 v3, 21, v3
	v_min_i32_e32 v4, 31, v1
	v_cmp_gt_i32_e32 vcc_lo, 32, v1
	v_and_b32_sdwa v0, v0, v117 dst_sel:DWORD dst_unused:UNUSED_PAD src0_sel:BYTE_3 src1_sel:DWORD
	v_lshlrev_b32_e32 v4, 2, v4
	v_cndmask_b32_e32 v3, 3, v3, vcc_lo
	v_and_b32_e32 v4, 0xfc, v4
	v_and_b32_e32 v5, 3, v3
	v_or_b32_e32 v1, v1, v3
	v_or3_b32 v0, v4, v0, v5
	v_cmp_ne_u32_e32 vcc_lo, 0, v1
	v_cndmask_b32_e32 v0, 0, v0, vcc_lo
	buffer_store_dword v0, off, s[0:3], s33 offset:288 ; 4-byte Folded Spill
.LBB6_327:                              ;   in Loop: Header=BB6_138 Depth=3
	s_or_b32 exec_lo, exec_lo, s73
.LBB6_328:                              ;   in Loop: Header=BB6_138 Depth=3
	s_or_b32 exec_lo, exec_lo, s72
	v_cmp_gt_i16_sdwa s72, v11, v116 src0_sel:BYTE_1 src1_sel:DWORD
	s_mov_b32 s16, 0
	s_and_saveexec_b32 s73, s72
	s_xor_b32 s72, exec_lo, s73
	s_cbranch_execz .LBB6_1962
; %bb.329:                              ;   in Loop: Header=BB6_138 Depth=3
	v_cmp_eq_u16_sdwa s74, v11, v117 src0_sel:BYTE_1 src1_sel:DWORD
	s_mov_b32 s16, -1
	s_and_saveexec_b32 s73, s74
; %bb.330:                              ;   in Loop: Header=BB6_138 Depth=3
	s_xor_b32 s16, exec_lo, -1
; %bb.331:                              ;   in Loop: Header=BB6_138 Depth=3
	s_or_b32 exec_lo, exec_lo, s73
	s_and_b32 s16, s16, exec_lo
	s_or_saveexec_b32 s72, s72
	v_mov_b32_e32 v0, 0x7f800001
	s_xor_b32 exec_lo, exec_lo, s72
	s_cbranch_execnz .LBB6_1963
.LBB6_332:                              ;   in Loop: Header=BB6_138 Depth=3
	s_or_b32 exec_lo, exec_lo, s72
	s_and_saveexec_b32 s72, s16
	s_cbranch_execz .LBB6_334
.LBB6_333:                              ;   in Loop: Header=BB6_138 Depth=3
	v_and_b32_sdwa v0, v118, v11 dst_sel:DWORD dst_unused:UNUSED_PAD src0_sel:DWORD src1_sel:BYTE_1
	v_and_b32_e32 v1, 3, v0
	v_bfe_u32 v5, v0, 2, 5
	v_ffbh_u32_e32 v3, v1
	v_cmp_eq_u32_e32 vcc_lo, 0, v5
	v_min_u32_e32 v3, 32, v3
	v_subrev_nc_u32_e32 v4, 29, v3
	v_sub_nc_u32_e32 v3, 30, v3
	v_lshlrev_b32_e32 v0, v4, v0
	v_lshlrev_b32_sdwa v4, v119, v11 dst_sel:DWORD dst_unused:UNUSED_PAD src0_sel:DWORD src1_sel:BYTE_1
	v_cndmask_b32_e32 v3, v5, v3, vcc_lo
	v_and_b32_e32 v0, 3, v0
	v_lshl_add_u32 v3, v3, 23, 0x37800000
	v_cndmask_b32_e32 v0, v1, v0, vcc_lo
	v_and_b32_e32 v1, 0x80000000, v4
	v_lshlrev_b32_e32 v0, 21, v0
	v_or3_b32 v0, v1, v3, v0
.LBB6_334:                              ;   in Loop: Header=BB6_138 Depth=3
	s_or_b32 exec_lo, exec_lo, s72
	v_mul_f32_e32 v0, s63, v0
	v_and_b32_e32 v1, 0x7f800000, v0
	v_cmp_ne_u32_e32 vcc_lo, 0x7f800000, v1
	v_mov_b32_e32 v1, 0x8000
	s_and_saveexec_b32 s72, vcc_lo
	s_cbranch_execz .LBB6_342
; %bb.335:                              ;   in Loop: Header=BB6_138 Depth=3
	v_mov_b32_e32 v1, 0
	s_mov_b32 s73, exec_lo
	v_cmpx_ne_u32_e32 0, v0
	s_cbranch_execz .LBB6_341
; %bb.336:                              ;   in Loop: Header=BB6_138 Depth=3
	v_bfe_u32 v1, v0, 23, 8
	v_and_b32_e32 v3, 0x7fffff, v0
	v_sub_nc_u32_e32 v4, 0x70, v1
	v_cmp_gt_u32_e32 vcc_lo, 0x71, v1
	v_or_b32_e32 v5, 0x800000, v3
	v_cndmask_b32_e32 v4, 0, v4, vcc_lo
	v_cmp_eq_u32_e32 vcc_lo, 0, v1
	v_add_nc_u32_e32 v1, 0xffffff91, v1
	v_cndmask_b32_e64 v4, v4, 0x6f, vcc_lo
	v_cndmask_b32_e32 v3, v5, v3, vcc_lo
	v_cndmask_b32_e64 v1, v1, 0xffffff92, vcc_lo
	v_lshl_add_u32 v5, 0x200000, v4, -1
	v_lshrrev_b32_e32 v6, v4, v3
	v_lshlrev_b32_e64 v8, v4, 0x100000
	v_add_nc_u32_e32 v4, v4, v1
	v_and_b32_e32 v3, v5, v3
	v_bfe_u32 v7, v6, 21, 1
	v_cmp_eq_u32_e64 s16, v3, v8
	v_add_nc_u32_e32 v5, -1, v7
	v_cndmask_b32_e64 v3, 0, v5, s16
	v_lshrrev_b32_e32 v5, 23, v6
	s_mov_b32 s16, exec_lo
	v_add_nc_u32_e32 v3, v3, v6
	v_xor_b32_e32 v5, 1, v5
	v_and_b32_e32 v1, 0x1fffff, v3
	v_add_nc_u32_e32 v3, v1, v6
                                        ; implicit-def: $vgpr1
	v_cmpx_ne_u32_e64 v4, v5
	s_xor_b32 s16, exec_lo, s16
; %bb.337:                              ;   in Loop: Header=BB6_138 Depth=3
	v_cmp_lt_u32_e32 vcc_lo, 0xffffff, v3
	v_sub_nc_u32_e32 v1, v4, v5
	v_cndmask_b32_e64 v4, 0, 1, vcc_lo
	v_add_co_ci_u32_e64 v1, null, 0, v1, vcc_lo
	v_lshrrev_b32_e32 v3, v4, v3
; %bb.338:                              ;   in Loop: Header=BB6_138 Depth=3
	s_andn2_saveexec_b32 s16, s16
; %bb.339:                              ;   in Loop: Header=BB6_138 Depth=3
	v_bfe_u32 v1, v3, 23, 1
; %bb.340:                              ;   in Loop: Header=BB6_138 Depth=3
	s_or_b32 exec_lo, exec_lo, s16
	v_lshrrev_b32_e32 v3, 21, v3
	v_min_i32_e32 v4, 31, v1
	v_cmp_gt_i32_e32 vcc_lo, 32, v1
	v_and_b32_sdwa v0, v0, v117 dst_sel:DWORD dst_unused:UNUSED_PAD src0_sel:BYTE_3 src1_sel:DWORD
	v_lshlrev_b32_e32 v4, 2, v4
	v_cndmask_b32_e32 v3, 3, v3, vcc_lo
	v_and_b32_e32 v4, 0xfc, v4
	v_and_b32_e32 v5, 3, v3
	v_or_b32_e32 v1, v1, v3
	v_or3_b32 v0, v0, v4, v5
	v_cmp_ne_u32_e32 vcc_lo, 0, v1
	v_lshlrev_b32_e32 v0, 8, v0
	v_cndmask_b32_e32 v1, 0, v0, vcc_lo
.LBB6_341:                              ;   in Loop: Header=BB6_138 Depth=3
	s_or_b32 exec_lo, exec_lo, s73
.LBB6_342:                              ;   in Loop: Header=BB6_138 Depth=3
	s_or_b32 exec_lo, exec_lo, s72
	buffer_store_dword v1, off, s[0:3], s33 offset:360 ; 4-byte Folded Spill
	v_and_b32_sdwa v1, v11, v40 dst_sel:DWORD dst_unused:UNUSED_PAD src0_sel:WORD_1 src1_sel:DWORD
	s_mov_b32 s16, 0
	s_mov_b32 s72, exec_lo
	v_cmpx_lt_i16_e32 0x7f, v1
	s_xor_b32 s72, exec_lo, s72
	s_cbranch_execz .LBB6_1964
; %bb.343:                              ;   in Loop: Header=BB6_138 Depth=3
	s_mov_b32 s16, -1
	s_mov_b32 s73, exec_lo
	v_cmpx_eq_u16_e32 0x80, v1
; %bb.344:                              ;   in Loop: Header=BB6_138 Depth=3
	s_xor_b32 s16, exec_lo, -1
; %bb.345:                              ;   in Loop: Header=BB6_138 Depth=3
	s_or_b32 exec_lo, exec_lo, s73
	s_and_b32 s16, s16, exec_lo
                                        ; implicit-def: $vgpr1
	s_or_saveexec_b32 s72, s72
	v_mov_b32_e32 v0, 0x7f800001
	s_xor_b32 exec_lo, exec_lo, s72
	s_cbranch_execnz .LBB6_1965
.LBB6_346:                              ;   in Loop: Header=BB6_138 Depth=3
	s_or_b32 exec_lo, exec_lo, s72
	s_and_saveexec_b32 s72, s16
	s_cbranch_execz .LBB6_348
.LBB6_347:                              ;   in Loop: Header=BB6_138 Depth=3
	v_bfe_u32 v0, v11, 16, 2
	v_bfe_u32 v4, v11, 18, 5
	v_lshlrev_b32_e32 v5, 8, v11
	v_ffbh_u32_e32 v1, v0
	v_cmp_eq_u32_e32 vcc_lo, 0, v4
	v_min_u32_e32 v1, 32, v1
	v_subrev_nc_u32_e32 v3, 29, v1
	v_sub_nc_u32_e32 v1, 30, v1
	v_lshlrev_b32_sdwa v3, v3, v11 dst_sel:DWORD dst_unused:UNUSED_PAD src0_sel:DWORD src1_sel:WORD_1
	v_cndmask_b32_e32 v1, v4, v1, vcc_lo
	v_and_b32_e32 v3, 3, v3
	v_lshl_add_u32 v1, v1, 23, 0x37800000
	v_cndmask_b32_e32 v0, v0, v3, vcc_lo
	v_and_b32_e32 v3, 0x80000000, v5
	v_lshlrev_b32_e32 v0, 21, v0
	v_or3_b32 v0, v3, v1, v0
.LBB6_348:                              ;   in Loop: Header=BB6_138 Depth=3
	s_or_b32 exec_lo, exec_lo, s72
	v_mul_f32_e32 v0, s63, v0
	v_mov_b32_e32 v5, 0x80
	s_mov_b32 s72, exec_lo
	v_and_b32_e32 v1, 0x7f800000, v0
	v_cmpx_ne_u32_e32 0x7f800000, v1
	s_cbranch_execz .LBB6_356
; %bb.349:                              ;   in Loop: Header=BB6_138 Depth=3
	v_mov_b32_e32 v5, 0
	s_mov_b32 s73, exec_lo
	v_cmpx_ne_u32_e32 0, v0
	s_cbranch_execz .LBB6_355
; %bb.350:                              ;   in Loop: Header=BB6_138 Depth=3
	v_bfe_u32 v1, v0, 23, 8
	v_and_b32_e32 v3, 0x7fffff, v0
	v_sub_nc_u32_e32 v4, 0x70, v1
	v_cmp_gt_u32_e32 vcc_lo, 0x71, v1
	v_or_b32_e32 v5, 0x800000, v3
	v_cndmask_b32_e32 v4, 0, v4, vcc_lo
	v_cmp_eq_u32_e32 vcc_lo, 0, v1
	v_add_nc_u32_e32 v1, 0xffffff91, v1
	v_cndmask_b32_e64 v4, v4, 0x6f, vcc_lo
	v_cndmask_b32_e32 v3, v5, v3, vcc_lo
	v_cndmask_b32_e64 v1, v1, 0xffffff92, vcc_lo
	v_lshl_add_u32 v5, 0x200000, v4, -1
	v_lshrrev_b32_e32 v6, v4, v3
	v_lshlrev_b32_e64 v8, v4, 0x100000
	v_add_nc_u32_e32 v4, v4, v1
	v_and_b32_e32 v3, v5, v3
	v_bfe_u32 v7, v6, 21, 1
	v_cmp_eq_u32_e64 s16, v3, v8
	v_add_nc_u32_e32 v5, -1, v7
	v_cndmask_b32_e64 v3, 0, v5, s16
	v_lshrrev_b32_e32 v5, 23, v6
	s_mov_b32 s16, exec_lo
	v_add_nc_u32_e32 v3, v3, v6
	v_xor_b32_e32 v5, 1, v5
	v_and_b32_e32 v1, 0x1fffff, v3
	v_add_nc_u32_e32 v3, v1, v6
                                        ; implicit-def: $vgpr1
	v_cmpx_ne_u32_e64 v4, v5
	s_xor_b32 s16, exec_lo, s16
; %bb.351:                              ;   in Loop: Header=BB6_138 Depth=3
	v_cmp_lt_u32_e32 vcc_lo, 0xffffff, v3
	v_sub_nc_u32_e32 v1, v4, v5
	v_cndmask_b32_e64 v4, 0, 1, vcc_lo
	v_add_co_ci_u32_e64 v1, null, 0, v1, vcc_lo
	v_lshrrev_b32_e32 v3, v4, v3
; %bb.352:                              ;   in Loop: Header=BB6_138 Depth=3
	s_andn2_saveexec_b32 s16, s16
; %bb.353:                              ;   in Loop: Header=BB6_138 Depth=3
	v_bfe_u32 v1, v3, 23, 1
; %bb.354:                              ;   in Loop: Header=BB6_138 Depth=3
	s_or_b32 exec_lo, exec_lo, s16
	v_lshrrev_b32_e32 v3, 21, v3
	v_min_i32_e32 v4, 31, v1
	v_cmp_gt_i32_e32 vcc_lo, 32, v1
	v_and_b32_sdwa v0, v0, v117 dst_sel:DWORD dst_unused:UNUSED_PAD src0_sel:BYTE_3 src1_sel:DWORD
	v_lshlrev_b32_e32 v4, 2, v4
	v_cndmask_b32_e32 v3, 3, v3, vcc_lo
	v_and_b32_e32 v4, 0xfc, v4
	v_and_b32_e32 v5, 3, v3
	v_or_b32_e32 v1, v1, v3
	v_or3_b32 v0, v4, v0, v5
	v_cmp_ne_u32_e32 vcc_lo, 0, v1
	v_cndmask_b32_e32 v5, 0, v0, vcc_lo
.LBB6_355:                              ;   in Loop: Header=BB6_138 Depth=3
	s_or_b32 exec_lo, exec_lo, s73
.LBB6_356:                              ;   in Loop: Header=BB6_138 Depth=3
	s_or_b32 exec_lo, exec_lo, s72
	v_cmp_gt_i16_sdwa s72, v11, v116 src0_sel:BYTE_3 src1_sel:DWORD
	s_mov_b32 s16, 0
	s_and_saveexec_b32 s73, s72
	s_xor_b32 s72, exec_lo, s73
	s_cbranch_execz .LBB6_1966
; %bb.357:                              ;   in Loop: Header=BB6_138 Depth=3
	v_cmp_eq_u16_sdwa s74, v11, v117 src0_sel:BYTE_3 src1_sel:DWORD
	s_mov_b32 s16, -1
	s_and_saveexec_b32 s73, s74
; %bb.358:                              ;   in Loop: Header=BB6_138 Depth=3
	s_xor_b32 s16, exec_lo, -1
; %bb.359:                              ;   in Loop: Header=BB6_138 Depth=3
	s_or_b32 exec_lo, exec_lo, s73
	s_and_b32 s16, s16, exec_lo
	s_or_saveexec_b32 s72, s72
	v_mov_b32_e32 v0, 0x7f800001
	s_xor_b32 exec_lo, exec_lo, s72
	s_cbranch_execnz .LBB6_1967
.LBB6_360:                              ;   in Loop: Header=BB6_138 Depth=3
	s_or_b32 exec_lo, exec_lo, s72
	s_and_saveexec_b32 s72, s16
	s_cbranch_execz .LBB6_362
.LBB6_361:                              ;   in Loop: Header=BB6_138 Depth=3
	v_bfe_u32 v0, v11, 24, 2
	v_bfe_u32 v4, v11, 26, 5
	v_ffbh_u32_e32 v1, v0
	v_cmp_eq_u32_e32 vcc_lo, 0, v4
	v_min_u32_e32 v1, 32, v1
	v_subrev_nc_u32_e32 v3, 29, v1
	v_sub_nc_u32_e32 v1, 30, v1
	v_lshlrev_b32_sdwa v3, v3, v11 dst_sel:DWORD dst_unused:UNUSED_PAD src0_sel:DWORD src1_sel:BYTE_3
	v_cndmask_b32_e32 v1, v4, v1, vcc_lo
	v_and_b32_e32 v3, 3, v3
	v_lshl_add_u32 v1, v1, 23, 0x37800000
	v_cndmask_b32_e32 v0, v0, v3, vcc_lo
	v_and_b32_e32 v3, 0x80000000, v11
	v_lshlrev_b32_e32 v0, 21, v0
	v_or3_b32 v0, v3, v1, v0
.LBB6_362:                              ;   in Loop: Header=BB6_138 Depth=3
	s_or_b32 exec_lo, exec_lo, s72
	v_mul_f32_e32 v0, s63, v0
	v_and_b32_e32 v1, 0x7f800000, v0
	v_cmp_ne_u32_e32 vcc_lo, 0x7f800000, v1
	v_mov_b32_e32 v1, 0x8000
	s_and_saveexec_b32 s72, vcc_lo
	s_cbranch_execz .LBB6_370
; %bb.363:                              ;   in Loop: Header=BB6_138 Depth=3
	v_mov_b32_e32 v1, 0
	s_mov_b32 s73, exec_lo
	v_cmpx_ne_u32_e32 0, v0
	s_cbranch_execz .LBB6_369
; %bb.364:                              ;   in Loop: Header=BB6_138 Depth=3
	v_bfe_u32 v1, v0, 23, 8
	v_and_b32_e32 v3, 0x7fffff, v0
	v_mov_b32_e32 v11, v5
	v_sub_nc_u32_e32 v4, 0x70, v1
	v_cmp_gt_u32_e32 vcc_lo, 0x71, v1
	v_or_b32_e32 v5, 0x800000, v3
	v_cndmask_b32_e32 v4, 0, v4, vcc_lo
	v_cmp_eq_u32_e32 vcc_lo, 0, v1
	v_add_nc_u32_e32 v1, 0xffffff91, v1
	v_cndmask_b32_e64 v4, v4, 0x6f, vcc_lo
	v_cndmask_b32_e32 v3, v5, v3, vcc_lo
	v_cndmask_b32_e64 v1, v1, 0xffffff92, vcc_lo
	v_lshl_add_u32 v5, 0x200000, v4, -1
	v_lshrrev_b32_e32 v6, v4, v3
	v_lshlrev_b32_e64 v8, v4, 0x100000
	v_add_nc_u32_e32 v4, v4, v1
	v_and_b32_e32 v3, v5, v3
	v_bfe_u32 v7, v6, 21, 1
	v_cmp_eq_u32_e64 s16, v3, v8
	v_add_nc_u32_e32 v5, -1, v7
	v_cndmask_b32_e64 v3, 0, v5, s16
	v_lshrrev_b32_e32 v5, 23, v6
	s_mov_b32 s16, exec_lo
	v_add_nc_u32_e32 v3, v3, v6
	v_xor_b32_e32 v5, 1, v5
	v_and_b32_e32 v1, 0x1fffff, v3
	v_add_nc_u32_e32 v3, v1, v6
                                        ; implicit-def: $vgpr1
	v_cmpx_ne_u32_e64 v4, v5
	s_xor_b32 s16, exec_lo, s16
; %bb.365:                              ;   in Loop: Header=BB6_138 Depth=3
	v_cmp_lt_u32_e32 vcc_lo, 0xffffff, v3
	v_sub_nc_u32_e32 v1, v4, v5
	v_cndmask_b32_e64 v4, 0, 1, vcc_lo
	v_add_co_ci_u32_e64 v1, null, 0, v1, vcc_lo
	v_lshrrev_b32_e32 v3, v4, v3
; %bb.366:                              ;   in Loop: Header=BB6_138 Depth=3
	s_andn2_saveexec_b32 s16, s16
; %bb.367:                              ;   in Loop: Header=BB6_138 Depth=3
	v_bfe_u32 v1, v3, 23, 1
; %bb.368:                              ;   in Loop: Header=BB6_138 Depth=3
	s_or_b32 exec_lo, exec_lo, s16
	v_lshrrev_b32_e32 v3, 21, v3
	v_min_i32_e32 v4, 31, v1
	v_cmp_gt_i32_e32 vcc_lo, 32, v1
	v_and_b32_sdwa v0, v0, v117 dst_sel:DWORD dst_unused:UNUSED_PAD src0_sel:BYTE_3 src1_sel:DWORD
	v_lshlrev_b32_e32 v4, 2, v4
	v_cndmask_b32_e32 v3, 3, v3, vcc_lo
	v_and_b32_e32 v4, 0xfc, v4
	v_and_b32_e32 v5, 3, v3
	v_or_b32_e32 v1, v1, v3
	v_or3_b32 v0, v0, v4, v5
	v_cmp_ne_u32_e32 vcc_lo, 0, v1
	v_mov_b32_e32 v5, v11
	v_lshlrev_b32_e32 v0, 8, v0
	v_cndmask_b32_e32 v1, 0, v0, vcc_lo
.LBB6_369:                              ;   in Loop: Header=BB6_138 Depth=3
	s_or_b32 exec_lo, exec_lo, s73
.LBB6_370:                              ;   in Loop: Header=BB6_138 Depth=3
	s_or_b32 exec_lo, exec_lo, s72
	buffer_store_dword v1, off, s[0:3], s33 offset:368 ; 4-byte Folded Spill
	buffer_store_dword v5, off, s[0:3], s33 offset:364 ; 4-byte Folded Spill
	;; [unrolled: 1-line block ×4, first 2 shown]
	global_load_dwordx4 v[8:11], v[68:69], off offset:512 slc
	s_mov_b32 s16, 0
	s_waitcnt vmcnt(0)
	v_cmp_gt_i16_sdwa s72, v8, v116 src0_sel:BYTE_0 src1_sel:DWORD
	s_and_saveexec_b32 s73, s72
	s_xor_b32 s72, exec_lo, s73
	s_cbranch_execz .LBB6_1968
; %bb.371:                              ;   in Loop: Header=BB6_138 Depth=3
	v_cmp_eq_u16_sdwa s74, v8, v117 src0_sel:BYTE_0 src1_sel:DWORD
	s_mov_b32 s16, -1
	s_and_saveexec_b32 s73, s74
; %bb.372:                              ;   in Loop: Header=BB6_138 Depth=3
	s_xor_b32 s16, exec_lo, -1
; %bb.373:                              ;   in Loop: Header=BB6_138 Depth=3
	s_or_b32 exec_lo, exec_lo, s73
	s_and_b32 s16, s16, exec_lo
	s_or_saveexec_b32 s72, s72
	v_mov_b32_e32 v0, 0x7f800001
	s_xor_b32 exec_lo, exec_lo, s72
	s_cbranch_execnz .LBB6_1969
.LBB6_374:                              ;   in Loop: Header=BB6_138 Depth=3
	s_or_b32 exec_lo, exec_lo, s72
	s_and_saveexec_b32 s72, s16
	s_cbranch_execz .LBB6_376
.LBB6_375:                              ;   in Loop: Header=BB6_138 Depth=3
	v_and_b32_e32 v0, 3, v8
	v_bfe_u32 v4, v8, 2, 5
	v_lshlrev_b32_e32 v5, 24, v8
	v_ffbh_u32_e32 v1, v0
	v_cmp_eq_u32_e32 vcc_lo, 0, v4
	v_min_u32_e32 v1, 32, v1
	v_subrev_nc_u32_e32 v3, 29, v1
	v_sub_nc_u32_e32 v1, 30, v1
	v_lshlrev_b32_e32 v3, v3, v8
	v_cndmask_b32_e32 v1, v4, v1, vcc_lo
	v_and_b32_e32 v3, 3, v3
	v_lshl_add_u32 v1, v1, 23, 0x37800000
	v_cndmask_b32_e32 v0, v0, v3, vcc_lo
	v_and_b32_e32 v3, 0x80000000, v5
	v_lshlrev_b32_e32 v0, 21, v0
	v_or3_b32 v0, v3, v1, v0
.LBB6_376:                              ;   in Loop: Header=BB6_138 Depth=3
	s_or_b32 exec_lo, exec_lo, s72
	v_mul_f32_e32 v0, s63, v0
	v_and_b32_e32 v1, 0x7f800000, v0
	v_cmp_ne_u32_e32 vcc_lo, 0x7f800000, v1
	v_mov_b32_e32 v1, 0x80
	buffer_store_dword v1, off, s[0:3], s33 offset:292 ; 4-byte Folded Spill
	s_and_saveexec_b32 s72, vcc_lo
	s_cbranch_execz .LBB6_384
; %bb.377:                              ;   in Loop: Header=BB6_138 Depth=3
	v_mov_b32_e32 v1, 0
	s_mov_b32 s73, exec_lo
	buffer_store_dword v1, off, s[0:3], s33 offset:292 ; 4-byte Folded Spill
	v_cmpx_ne_u32_e32 0, v0
	s_cbranch_execz .LBB6_383
; %bb.378:                              ;   in Loop: Header=BB6_138 Depth=3
	v_bfe_u32 v1, v0, 23, 8
	v_and_b32_e32 v3, 0x7fffff, v0
	v_sub_nc_u32_e32 v4, 0x70, v1
	v_cmp_gt_u32_e32 vcc_lo, 0x71, v1
	v_or_b32_e32 v5, 0x800000, v3
	v_cndmask_b32_e32 v4, 0, v4, vcc_lo
	v_cmp_eq_u32_e32 vcc_lo, 0, v1
	v_add_nc_u32_e32 v1, 0xffffff91, v1
	v_cndmask_b32_e64 v4, v4, 0x6f, vcc_lo
	v_cndmask_b32_e32 v3, v5, v3, vcc_lo
	v_cndmask_b32_e64 v1, v1, 0xffffff92, vcc_lo
	v_lshl_add_u32 v5, 0x200000, v4, -1
	v_lshrrev_b32_e32 v6, v4, v3
	v_lshlrev_b32_e64 v12, v4, 0x100000
	v_add_nc_u32_e32 v4, v4, v1
	v_and_b32_e32 v3, v5, v3
	v_bfe_u32 v7, v6, 21, 1
	v_cmp_eq_u32_e64 s16, v3, v12
	v_add_nc_u32_e32 v5, -1, v7
	v_cndmask_b32_e64 v3, 0, v5, s16
	v_lshrrev_b32_e32 v5, 23, v6
	s_mov_b32 s16, exec_lo
	v_add_nc_u32_e32 v3, v3, v6
	v_xor_b32_e32 v5, 1, v5
	v_and_b32_e32 v1, 0x1fffff, v3
	v_add_nc_u32_e32 v3, v1, v6
                                        ; implicit-def: $vgpr1
	v_cmpx_ne_u32_e64 v4, v5
	s_xor_b32 s16, exec_lo, s16
; %bb.379:                              ;   in Loop: Header=BB6_138 Depth=3
	v_cmp_lt_u32_e32 vcc_lo, 0xffffff, v3
	v_sub_nc_u32_e32 v1, v4, v5
	v_cndmask_b32_e64 v4, 0, 1, vcc_lo
	v_add_co_ci_u32_e64 v1, null, 0, v1, vcc_lo
	v_lshrrev_b32_e32 v3, v4, v3
; %bb.380:                              ;   in Loop: Header=BB6_138 Depth=3
	s_andn2_saveexec_b32 s16, s16
; %bb.381:                              ;   in Loop: Header=BB6_138 Depth=3
	v_bfe_u32 v1, v3, 23, 1
; %bb.382:                              ;   in Loop: Header=BB6_138 Depth=3
	s_or_b32 exec_lo, exec_lo, s16
	v_lshrrev_b32_e32 v3, 21, v3
	v_min_i32_e32 v4, 31, v1
	v_cmp_gt_i32_e32 vcc_lo, 32, v1
	v_and_b32_sdwa v0, v0, v117 dst_sel:DWORD dst_unused:UNUSED_PAD src0_sel:BYTE_3 src1_sel:DWORD
	v_lshlrev_b32_e32 v4, 2, v4
	v_cndmask_b32_e32 v3, 3, v3, vcc_lo
	v_and_b32_e32 v4, 0xfc, v4
	v_and_b32_e32 v5, 3, v3
	v_or_b32_e32 v1, v1, v3
	v_or3_b32 v0, v4, v0, v5
	v_cmp_ne_u32_e32 vcc_lo, 0, v1
	v_cndmask_b32_e32 v0, 0, v0, vcc_lo
	buffer_store_dword v0, off, s[0:3], s33 offset:292 ; 4-byte Folded Spill
.LBB6_383:                              ;   in Loop: Header=BB6_138 Depth=3
	s_or_b32 exec_lo, exec_lo, s73
.LBB6_384:                              ;   in Loop: Header=BB6_138 Depth=3
	s_or_b32 exec_lo, exec_lo, s72
	v_cmp_gt_i16_sdwa s72, v8, v116 src0_sel:BYTE_1 src1_sel:DWORD
	s_mov_b32 s16, 0
	s_and_saveexec_b32 s73, s72
	s_xor_b32 s72, exec_lo, s73
	s_cbranch_execz .LBB6_1970
; %bb.385:                              ;   in Loop: Header=BB6_138 Depth=3
	v_cmp_eq_u16_sdwa s74, v8, v117 src0_sel:BYTE_1 src1_sel:DWORD
	s_mov_b32 s16, -1
	s_and_saveexec_b32 s73, s74
; %bb.386:                              ;   in Loop: Header=BB6_138 Depth=3
	s_xor_b32 s16, exec_lo, -1
; %bb.387:                              ;   in Loop: Header=BB6_138 Depth=3
	s_or_b32 exec_lo, exec_lo, s73
	s_and_b32 s16, s16, exec_lo
	s_or_saveexec_b32 s72, s72
	v_mov_b32_e32 v0, 0x7f800001
	s_xor_b32 exec_lo, exec_lo, s72
	s_cbranch_execnz .LBB6_1971
.LBB6_388:                              ;   in Loop: Header=BB6_138 Depth=3
	s_or_b32 exec_lo, exec_lo, s72
	s_and_saveexec_b32 s72, s16
	s_cbranch_execz .LBB6_390
.LBB6_389:                              ;   in Loop: Header=BB6_138 Depth=3
	v_and_b32_sdwa v0, v118, v8 dst_sel:DWORD dst_unused:UNUSED_PAD src0_sel:DWORD src1_sel:BYTE_1
	v_and_b32_e32 v1, 3, v0
	v_bfe_u32 v5, v0, 2, 5
	v_ffbh_u32_e32 v3, v1
	v_cmp_eq_u32_e32 vcc_lo, 0, v5
	v_min_u32_e32 v3, 32, v3
	v_subrev_nc_u32_e32 v4, 29, v3
	v_sub_nc_u32_e32 v3, 30, v3
	v_lshlrev_b32_e32 v0, v4, v0
	v_lshlrev_b32_sdwa v4, v119, v8 dst_sel:DWORD dst_unused:UNUSED_PAD src0_sel:DWORD src1_sel:BYTE_1
	v_cndmask_b32_e32 v3, v5, v3, vcc_lo
	v_and_b32_e32 v0, 3, v0
	v_lshl_add_u32 v3, v3, 23, 0x37800000
	v_cndmask_b32_e32 v0, v1, v0, vcc_lo
	v_and_b32_e32 v1, 0x80000000, v4
	v_lshlrev_b32_e32 v0, 21, v0
	v_or3_b32 v0, v1, v3, v0
.LBB6_390:                              ;   in Loop: Header=BB6_138 Depth=3
	s_or_b32 exec_lo, exec_lo, s72
	v_mul_f32_e32 v0, s63, v0
	v_and_b32_e32 v1, 0x7f800000, v0
	v_cmp_ne_u32_e32 vcc_lo, 0x7f800000, v1
	v_mov_b32_e32 v1, 0x8000
	s_and_saveexec_b32 s72, vcc_lo
	s_cbranch_execz .LBB6_398
; %bb.391:                              ;   in Loop: Header=BB6_138 Depth=3
	v_mov_b32_e32 v1, 0
	s_mov_b32 s73, exec_lo
	v_cmpx_ne_u32_e32 0, v0
	s_cbranch_execz .LBB6_397
; %bb.392:                              ;   in Loop: Header=BB6_138 Depth=3
	v_bfe_u32 v1, v0, 23, 8
	v_and_b32_e32 v3, 0x7fffff, v0
	v_sub_nc_u32_e32 v4, 0x70, v1
	v_cmp_gt_u32_e32 vcc_lo, 0x71, v1
	v_or_b32_e32 v5, 0x800000, v3
	v_cndmask_b32_e32 v4, 0, v4, vcc_lo
	v_cmp_eq_u32_e32 vcc_lo, 0, v1
	v_add_nc_u32_e32 v1, 0xffffff91, v1
	v_cndmask_b32_e64 v4, v4, 0x6f, vcc_lo
	v_cndmask_b32_e32 v3, v5, v3, vcc_lo
	v_cndmask_b32_e64 v1, v1, 0xffffff92, vcc_lo
	v_lshl_add_u32 v5, 0x200000, v4, -1
	v_lshrrev_b32_e32 v6, v4, v3
	v_lshlrev_b32_e64 v12, v4, 0x100000
	v_add_nc_u32_e32 v4, v4, v1
	v_and_b32_e32 v3, v5, v3
	v_bfe_u32 v7, v6, 21, 1
	v_cmp_eq_u32_e64 s16, v3, v12
	v_add_nc_u32_e32 v5, -1, v7
	v_cndmask_b32_e64 v3, 0, v5, s16
	v_lshrrev_b32_e32 v5, 23, v6
	s_mov_b32 s16, exec_lo
	v_add_nc_u32_e32 v3, v3, v6
	v_xor_b32_e32 v5, 1, v5
	v_and_b32_e32 v1, 0x1fffff, v3
	v_add_nc_u32_e32 v3, v1, v6
                                        ; implicit-def: $vgpr1
	v_cmpx_ne_u32_e64 v4, v5
	s_xor_b32 s16, exec_lo, s16
; %bb.393:                              ;   in Loop: Header=BB6_138 Depth=3
	v_cmp_lt_u32_e32 vcc_lo, 0xffffff, v3
	v_sub_nc_u32_e32 v1, v4, v5
	v_cndmask_b32_e64 v4, 0, 1, vcc_lo
	v_add_co_ci_u32_e64 v1, null, 0, v1, vcc_lo
	v_lshrrev_b32_e32 v3, v4, v3
; %bb.394:                              ;   in Loop: Header=BB6_138 Depth=3
	s_andn2_saveexec_b32 s16, s16
; %bb.395:                              ;   in Loop: Header=BB6_138 Depth=3
	v_bfe_u32 v1, v3, 23, 1
; %bb.396:                              ;   in Loop: Header=BB6_138 Depth=3
	s_or_b32 exec_lo, exec_lo, s16
	v_lshrrev_b32_e32 v3, 21, v3
	v_min_i32_e32 v4, 31, v1
	v_cmp_gt_i32_e32 vcc_lo, 32, v1
	v_and_b32_sdwa v0, v0, v117 dst_sel:DWORD dst_unused:UNUSED_PAD src0_sel:BYTE_3 src1_sel:DWORD
	v_lshlrev_b32_e32 v4, 2, v4
	v_cndmask_b32_e32 v3, 3, v3, vcc_lo
	v_and_b32_e32 v4, 0xfc, v4
	v_and_b32_e32 v5, 3, v3
	v_or_b32_e32 v1, v1, v3
	v_or3_b32 v0, v0, v4, v5
	v_cmp_ne_u32_e32 vcc_lo, 0, v1
	v_lshlrev_b32_e32 v0, 8, v0
	v_cndmask_b32_e32 v1, 0, v0, vcc_lo
.LBB6_397:                              ;   in Loop: Header=BB6_138 Depth=3
	s_or_b32 exec_lo, exec_lo, s73
.LBB6_398:                              ;   in Loop: Header=BB6_138 Depth=3
	s_or_b32 exec_lo, exec_lo, s72
	buffer_store_dword v1, off, s[0:3], s33 offset:372 ; 4-byte Folded Spill
	v_and_b32_sdwa v1, v8, v40 dst_sel:DWORD dst_unused:UNUSED_PAD src0_sel:WORD_1 src1_sel:DWORD
	s_mov_b32 s16, 0
	s_mov_b32 s72, exec_lo
	v_cmpx_lt_i16_e32 0x7f, v1
	s_xor_b32 s72, exec_lo, s72
	s_cbranch_execz .LBB6_1972
; %bb.399:                              ;   in Loop: Header=BB6_138 Depth=3
	s_mov_b32 s16, -1
	s_mov_b32 s73, exec_lo
	v_cmpx_eq_u16_e32 0x80, v1
; %bb.400:                              ;   in Loop: Header=BB6_138 Depth=3
	s_xor_b32 s16, exec_lo, -1
; %bb.401:                              ;   in Loop: Header=BB6_138 Depth=3
	s_or_b32 exec_lo, exec_lo, s73
	s_and_b32 s16, s16, exec_lo
                                        ; implicit-def: $vgpr1
	s_or_saveexec_b32 s72, s72
	v_mov_b32_e32 v0, 0x7f800001
	s_xor_b32 exec_lo, exec_lo, s72
	s_cbranch_execnz .LBB6_1973
.LBB6_402:                              ;   in Loop: Header=BB6_138 Depth=3
	s_or_b32 exec_lo, exec_lo, s72
	s_and_saveexec_b32 s72, s16
	s_cbranch_execz .LBB6_404
.LBB6_403:                              ;   in Loop: Header=BB6_138 Depth=3
	v_bfe_u32 v0, v8, 16, 2
	v_bfe_u32 v4, v8, 18, 5
	v_lshlrev_b32_e32 v5, 8, v8
	v_ffbh_u32_e32 v1, v0
	v_cmp_eq_u32_e32 vcc_lo, 0, v4
	v_min_u32_e32 v1, 32, v1
	v_subrev_nc_u32_e32 v3, 29, v1
	v_sub_nc_u32_e32 v1, 30, v1
	v_lshlrev_b32_sdwa v3, v3, v8 dst_sel:DWORD dst_unused:UNUSED_PAD src0_sel:DWORD src1_sel:WORD_1
	v_cndmask_b32_e32 v1, v4, v1, vcc_lo
	v_and_b32_e32 v3, 3, v3
	v_lshl_add_u32 v1, v1, 23, 0x37800000
	v_cndmask_b32_e32 v0, v0, v3, vcc_lo
	v_and_b32_e32 v3, 0x80000000, v5
	v_lshlrev_b32_e32 v0, 21, v0
	v_or3_b32 v0, v3, v1, v0
.LBB6_404:                              ;   in Loop: Header=BB6_138 Depth=3
	s_or_b32 exec_lo, exec_lo, s72
	v_mul_f32_e32 v0, s63, v0
	v_and_b32_e32 v1, 0x7f800000, v0
	v_cmp_ne_u32_e32 vcc_lo, 0x7f800000, v1
	v_mov_b32_e32 v1, 0x80
	buffer_store_dword v1, off, s[0:3], s33 offset:296 ; 4-byte Folded Spill
	s_and_saveexec_b32 s72, vcc_lo
	s_cbranch_execz .LBB6_412
; %bb.405:                              ;   in Loop: Header=BB6_138 Depth=3
	v_mov_b32_e32 v1, 0
	s_mov_b32 s73, exec_lo
	buffer_store_dword v1, off, s[0:3], s33 offset:296 ; 4-byte Folded Spill
	v_cmpx_ne_u32_e32 0, v0
	s_cbranch_execz .LBB6_411
; %bb.406:                              ;   in Loop: Header=BB6_138 Depth=3
	v_bfe_u32 v1, v0, 23, 8
	v_and_b32_e32 v3, 0x7fffff, v0
	v_sub_nc_u32_e32 v4, 0x70, v1
	v_cmp_gt_u32_e32 vcc_lo, 0x71, v1
	v_or_b32_e32 v5, 0x800000, v3
	v_cndmask_b32_e32 v4, 0, v4, vcc_lo
	v_cmp_eq_u32_e32 vcc_lo, 0, v1
	v_add_nc_u32_e32 v1, 0xffffff91, v1
	v_cndmask_b32_e64 v4, v4, 0x6f, vcc_lo
	v_cndmask_b32_e32 v3, v5, v3, vcc_lo
	v_cndmask_b32_e64 v1, v1, 0xffffff92, vcc_lo
	v_lshl_add_u32 v5, 0x200000, v4, -1
	v_lshrrev_b32_e32 v6, v4, v3
	v_lshlrev_b32_e64 v12, v4, 0x100000
	v_add_nc_u32_e32 v4, v4, v1
	v_and_b32_e32 v3, v5, v3
	v_bfe_u32 v7, v6, 21, 1
	v_cmp_eq_u32_e64 s16, v3, v12
	v_add_nc_u32_e32 v5, -1, v7
	v_cndmask_b32_e64 v3, 0, v5, s16
	v_lshrrev_b32_e32 v5, 23, v6
	s_mov_b32 s16, exec_lo
	v_add_nc_u32_e32 v3, v3, v6
	v_xor_b32_e32 v5, 1, v5
	v_and_b32_e32 v1, 0x1fffff, v3
	v_add_nc_u32_e32 v3, v1, v6
                                        ; implicit-def: $vgpr1
	v_cmpx_ne_u32_e64 v4, v5
	s_xor_b32 s16, exec_lo, s16
; %bb.407:                              ;   in Loop: Header=BB6_138 Depth=3
	v_cmp_lt_u32_e32 vcc_lo, 0xffffff, v3
	v_sub_nc_u32_e32 v1, v4, v5
	v_cndmask_b32_e64 v4, 0, 1, vcc_lo
	v_add_co_ci_u32_e64 v1, null, 0, v1, vcc_lo
	v_lshrrev_b32_e32 v3, v4, v3
; %bb.408:                              ;   in Loop: Header=BB6_138 Depth=3
	s_andn2_saveexec_b32 s16, s16
; %bb.409:                              ;   in Loop: Header=BB6_138 Depth=3
	v_bfe_u32 v1, v3, 23, 1
; %bb.410:                              ;   in Loop: Header=BB6_138 Depth=3
	s_or_b32 exec_lo, exec_lo, s16
	v_lshrrev_b32_e32 v3, 21, v3
	v_min_i32_e32 v4, 31, v1
	v_cmp_gt_i32_e32 vcc_lo, 32, v1
	v_and_b32_sdwa v0, v0, v117 dst_sel:DWORD dst_unused:UNUSED_PAD src0_sel:BYTE_3 src1_sel:DWORD
	v_lshlrev_b32_e32 v4, 2, v4
	v_cndmask_b32_e32 v3, 3, v3, vcc_lo
	v_and_b32_e32 v4, 0xfc, v4
	v_and_b32_e32 v5, 3, v3
	v_or_b32_e32 v1, v1, v3
	v_or3_b32 v0, v4, v0, v5
	v_cmp_ne_u32_e32 vcc_lo, 0, v1
	v_cndmask_b32_e32 v0, 0, v0, vcc_lo
	buffer_store_dword v0, off, s[0:3], s33 offset:296 ; 4-byte Folded Spill
.LBB6_411:                              ;   in Loop: Header=BB6_138 Depth=3
	s_or_b32 exec_lo, exec_lo, s73
.LBB6_412:                              ;   in Loop: Header=BB6_138 Depth=3
	s_or_b32 exec_lo, exec_lo, s72
	v_cmp_gt_i16_sdwa s72, v8, v116 src0_sel:BYTE_3 src1_sel:DWORD
	s_mov_b32 s16, 0
	s_and_saveexec_b32 s73, s72
	s_xor_b32 s72, exec_lo, s73
	s_cbranch_execz .LBB6_1974
; %bb.413:                              ;   in Loop: Header=BB6_138 Depth=3
	v_cmp_eq_u16_sdwa s74, v8, v117 src0_sel:BYTE_3 src1_sel:DWORD
	s_mov_b32 s16, -1
	s_and_saveexec_b32 s73, s74
; %bb.414:                              ;   in Loop: Header=BB6_138 Depth=3
	s_xor_b32 s16, exec_lo, -1
; %bb.415:                              ;   in Loop: Header=BB6_138 Depth=3
	s_or_b32 exec_lo, exec_lo, s73
	s_and_b32 s16, s16, exec_lo
	s_or_saveexec_b32 s72, s72
	v_mov_b32_e32 v0, 0x7f800001
	s_xor_b32 exec_lo, exec_lo, s72
	s_cbranch_execnz .LBB6_1975
.LBB6_416:                              ;   in Loop: Header=BB6_138 Depth=3
	s_or_b32 exec_lo, exec_lo, s72
	s_and_saveexec_b32 s72, s16
	s_cbranch_execz .LBB6_418
.LBB6_417:                              ;   in Loop: Header=BB6_138 Depth=3
	v_bfe_u32 v0, v8, 24, 2
	v_bfe_u32 v4, v8, 26, 5
	v_ffbh_u32_e32 v1, v0
	v_cmp_eq_u32_e32 vcc_lo, 0, v4
	v_min_u32_e32 v1, 32, v1
	v_subrev_nc_u32_e32 v3, 29, v1
	v_sub_nc_u32_e32 v1, 30, v1
	v_lshlrev_b32_sdwa v3, v3, v8 dst_sel:DWORD dst_unused:UNUSED_PAD src0_sel:DWORD src1_sel:BYTE_3
	v_cndmask_b32_e32 v1, v4, v1, vcc_lo
	v_and_b32_e32 v3, 3, v3
	v_lshl_add_u32 v1, v1, 23, 0x37800000
	v_cndmask_b32_e32 v0, v0, v3, vcc_lo
	v_and_b32_e32 v3, 0x80000000, v8
	v_lshlrev_b32_e32 v0, 21, v0
	v_or3_b32 v0, v3, v1, v0
.LBB6_418:                              ;   in Loop: Header=BB6_138 Depth=3
	s_or_b32 exec_lo, exec_lo, s72
	v_mul_f32_e32 v0, s63, v0
	v_and_b32_e32 v1, 0x7f800000, v0
	v_cmp_ne_u32_e32 vcc_lo, 0x7f800000, v1
	v_mov_b32_e32 v1, 0x8000
	buffer_store_dword v1, off, s[0:3], s33 offset:300 ; 4-byte Folded Spill
	s_and_saveexec_b32 s72, vcc_lo
	s_cbranch_execz .LBB6_426
; %bb.419:                              ;   in Loop: Header=BB6_138 Depth=3
	v_mov_b32_e32 v1, 0
	s_mov_b32 s73, exec_lo
	buffer_store_dword v1, off, s[0:3], s33 offset:300 ; 4-byte Folded Spill
	v_cmpx_ne_u32_e32 0, v0
	s_cbranch_execz .LBB6_425
; %bb.420:                              ;   in Loop: Header=BB6_138 Depth=3
	v_bfe_u32 v1, v0, 23, 8
	v_and_b32_e32 v3, 0x7fffff, v0
	v_sub_nc_u32_e32 v4, 0x70, v1
	v_cmp_gt_u32_e32 vcc_lo, 0x71, v1
	v_or_b32_e32 v5, 0x800000, v3
	v_cndmask_b32_e32 v4, 0, v4, vcc_lo
	v_cmp_eq_u32_e32 vcc_lo, 0, v1
	v_add_nc_u32_e32 v1, 0xffffff91, v1
	v_cndmask_b32_e64 v4, v4, 0x6f, vcc_lo
	v_cndmask_b32_e32 v3, v5, v3, vcc_lo
	v_cndmask_b32_e64 v1, v1, 0xffffff92, vcc_lo
	v_lshl_add_u32 v5, 0x200000, v4, -1
	v_lshrrev_b32_e32 v6, v4, v3
	v_lshlrev_b32_e64 v8, v4, 0x100000
	v_add_nc_u32_e32 v4, v4, v1
	v_and_b32_e32 v3, v5, v3
	v_bfe_u32 v7, v6, 21, 1
	v_cmp_eq_u32_e64 s16, v3, v8
	v_add_nc_u32_e32 v5, -1, v7
	v_cndmask_b32_e64 v3, 0, v5, s16
	v_lshrrev_b32_e32 v5, 23, v6
	s_mov_b32 s16, exec_lo
	v_add_nc_u32_e32 v3, v3, v6
	v_xor_b32_e32 v5, 1, v5
	v_and_b32_e32 v1, 0x1fffff, v3
	v_add_nc_u32_e32 v3, v1, v6
                                        ; implicit-def: $vgpr1
	v_cmpx_ne_u32_e64 v4, v5
	s_xor_b32 s16, exec_lo, s16
; %bb.421:                              ;   in Loop: Header=BB6_138 Depth=3
	v_cmp_lt_u32_e32 vcc_lo, 0xffffff, v3
	v_sub_nc_u32_e32 v1, v4, v5
	v_cndmask_b32_e64 v4, 0, 1, vcc_lo
	v_add_co_ci_u32_e64 v1, null, 0, v1, vcc_lo
	v_lshrrev_b32_e32 v3, v4, v3
; %bb.422:                              ;   in Loop: Header=BB6_138 Depth=3
	s_andn2_saveexec_b32 s16, s16
; %bb.423:                              ;   in Loop: Header=BB6_138 Depth=3
	v_bfe_u32 v1, v3, 23, 1
; %bb.424:                              ;   in Loop: Header=BB6_138 Depth=3
	s_or_b32 exec_lo, exec_lo, s16
	v_lshrrev_b32_e32 v3, 21, v3
	v_min_i32_e32 v4, 31, v1
	v_cmp_gt_i32_e32 vcc_lo, 32, v1
	v_and_b32_sdwa v0, v0, v117 dst_sel:DWORD dst_unused:UNUSED_PAD src0_sel:BYTE_3 src1_sel:DWORD
	v_lshlrev_b32_e32 v4, 2, v4
	v_cndmask_b32_e32 v3, 3, v3, vcc_lo
	v_and_b32_e32 v4, 0xfc, v4
	v_and_b32_e32 v5, 3, v3
	v_or_b32_e32 v1, v1, v3
	v_or3_b32 v0, v0, v4, v5
	v_cmp_ne_u32_e32 vcc_lo, 0, v1
	v_lshlrev_b32_e32 v0, 8, v0
	v_cndmask_b32_e32 v0, 0, v0, vcc_lo
	buffer_store_dword v0, off, s[0:3], s33 offset:300 ; 4-byte Folded Spill
.LBB6_425:                              ;   in Loop: Header=BB6_138 Depth=3
	s_or_b32 exec_lo, exec_lo, s73
.LBB6_426:                              ;   in Loop: Header=BB6_138 Depth=3
	s_or_b32 exec_lo, exec_lo, s72
	v_cmp_gt_i16_sdwa s72, v9, v116 src0_sel:BYTE_0 src1_sel:DWORD
	s_mov_b32 s16, 0
	s_and_saveexec_b32 s73, s72
	s_xor_b32 s72, exec_lo, s73
	s_cbranch_execz .LBB6_1976
; %bb.427:                              ;   in Loop: Header=BB6_138 Depth=3
	v_cmp_eq_u16_sdwa s74, v9, v117 src0_sel:BYTE_0 src1_sel:DWORD
	s_mov_b32 s16, -1
	s_and_saveexec_b32 s73, s74
; %bb.428:                              ;   in Loop: Header=BB6_138 Depth=3
	s_xor_b32 s16, exec_lo, -1
; %bb.429:                              ;   in Loop: Header=BB6_138 Depth=3
	s_or_b32 exec_lo, exec_lo, s73
	s_and_b32 s16, s16, exec_lo
	s_or_saveexec_b32 s72, s72
	v_mov_b32_e32 v0, 0x7f800001
	s_xor_b32 exec_lo, exec_lo, s72
	s_cbranch_execnz .LBB6_1977
.LBB6_430:                              ;   in Loop: Header=BB6_138 Depth=3
	s_or_b32 exec_lo, exec_lo, s72
	s_and_saveexec_b32 s72, s16
	s_cbranch_execz .LBB6_432
.LBB6_431:                              ;   in Loop: Header=BB6_138 Depth=3
	v_and_b32_e32 v0, 3, v9
	v_bfe_u32 v4, v9, 2, 5
	v_lshlrev_b32_e32 v5, 24, v9
	v_ffbh_u32_e32 v1, v0
	v_cmp_eq_u32_e32 vcc_lo, 0, v4
	v_min_u32_e32 v1, 32, v1
	v_subrev_nc_u32_e32 v3, 29, v1
	v_sub_nc_u32_e32 v1, 30, v1
	v_lshlrev_b32_e32 v3, v3, v9
	v_cndmask_b32_e32 v1, v4, v1, vcc_lo
	v_and_b32_e32 v3, 3, v3
	v_lshl_add_u32 v1, v1, 23, 0x37800000
	v_cndmask_b32_e32 v0, v0, v3, vcc_lo
	v_and_b32_e32 v3, 0x80000000, v5
	v_lshlrev_b32_e32 v0, 21, v0
	v_or3_b32 v0, v3, v1, v0
.LBB6_432:                              ;   in Loop: Header=BB6_138 Depth=3
	s_or_b32 exec_lo, exec_lo, s72
	v_mul_f32_e32 v0, s63, v0
	v_and_b32_e32 v1, 0x7f800000, v0
	v_cmp_ne_u32_e32 vcc_lo, 0x7f800000, v1
	v_mov_b32_e32 v1, 0x80
	buffer_store_dword v1, off, s[0:3], s33 offset:304 ; 4-byte Folded Spill
	s_and_saveexec_b32 s72, vcc_lo
	s_cbranch_execz .LBB6_440
; %bb.433:                              ;   in Loop: Header=BB6_138 Depth=3
	v_mov_b32_e32 v1, 0
	s_mov_b32 s73, exec_lo
	buffer_store_dword v1, off, s[0:3], s33 offset:304 ; 4-byte Folded Spill
	v_cmpx_ne_u32_e32 0, v0
	s_cbranch_execz .LBB6_439
; %bb.434:                              ;   in Loop: Header=BB6_138 Depth=3
	v_bfe_u32 v1, v0, 23, 8
	v_and_b32_e32 v3, 0x7fffff, v0
	v_sub_nc_u32_e32 v4, 0x70, v1
	v_cmp_gt_u32_e32 vcc_lo, 0x71, v1
	v_or_b32_e32 v5, 0x800000, v3
	v_cndmask_b32_e32 v4, 0, v4, vcc_lo
	v_cmp_eq_u32_e32 vcc_lo, 0, v1
	v_add_nc_u32_e32 v1, 0xffffff91, v1
	v_cndmask_b32_e64 v4, v4, 0x6f, vcc_lo
	v_cndmask_b32_e32 v3, v5, v3, vcc_lo
	v_cndmask_b32_e64 v1, v1, 0xffffff92, vcc_lo
	v_lshl_add_u32 v5, 0x200000, v4, -1
	v_lshrrev_b32_e32 v6, v4, v3
	v_lshlrev_b32_e64 v8, v4, 0x100000
	v_add_nc_u32_e32 v4, v4, v1
	v_and_b32_e32 v3, v5, v3
	v_bfe_u32 v7, v6, 21, 1
	v_cmp_eq_u32_e64 s16, v3, v8
	v_add_nc_u32_e32 v5, -1, v7
	v_cndmask_b32_e64 v3, 0, v5, s16
	v_lshrrev_b32_e32 v5, 23, v6
	s_mov_b32 s16, exec_lo
	v_add_nc_u32_e32 v3, v3, v6
	v_xor_b32_e32 v5, 1, v5
	v_and_b32_e32 v1, 0x1fffff, v3
	v_add_nc_u32_e32 v3, v1, v6
                                        ; implicit-def: $vgpr1
	v_cmpx_ne_u32_e64 v4, v5
	s_xor_b32 s16, exec_lo, s16
; %bb.435:                              ;   in Loop: Header=BB6_138 Depth=3
	v_cmp_lt_u32_e32 vcc_lo, 0xffffff, v3
	v_sub_nc_u32_e32 v1, v4, v5
	v_cndmask_b32_e64 v4, 0, 1, vcc_lo
	v_add_co_ci_u32_e64 v1, null, 0, v1, vcc_lo
	v_lshrrev_b32_e32 v3, v4, v3
; %bb.436:                              ;   in Loop: Header=BB6_138 Depth=3
	s_andn2_saveexec_b32 s16, s16
; %bb.437:                              ;   in Loop: Header=BB6_138 Depth=3
	v_bfe_u32 v1, v3, 23, 1
; %bb.438:                              ;   in Loop: Header=BB6_138 Depth=3
	s_or_b32 exec_lo, exec_lo, s16
	v_lshrrev_b32_e32 v3, 21, v3
	v_min_i32_e32 v4, 31, v1
	v_cmp_gt_i32_e32 vcc_lo, 32, v1
	v_and_b32_sdwa v0, v0, v117 dst_sel:DWORD dst_unused:UNUSED_PAD src0_sel:BYTE_3 src1_sel:DWORD
	v_lshlrev_b32_e32 v4, 2, v4
	v_cndmask_b32_e32 v3, 3, v3, vcc_lo
	v_and_b32_e32 v4, 0xfc, v4
	v_and_b32_e32 v5, 3, v3
	v_or_b32_e32 v1, v1, v3
	v_or3_b32 v0, v4, v0, v5
	v_cmp_ne_u32_e32 vcc_lo, 0, v1
	v_cndmask_b32_e32 v0, 0, v0, vcc_lo
	buffer_store_dword v0, off, s[0:3], s33 offset:304 ; 4-byte Folded Spill
.LBB6_439:                              ;   in Loop: Header=BB6_138 Depth=3
	s_or_b32 exec_lo, exec_lo, s73
.LBB6_440:                              ;   in Loop: Header=BB6_138 Depth=3
	s_or_b32 exec_lo, exec_lo, s72
	v_cmp_gt_i16_sdwa s72, v9, v116 src0_sel:BYTE_1 src1_sel:DWORD
	s_mov_b32 s16, 0
	s_and_saveexec_b32 s73, s72
	s_xor_b32 s72, exec_lo, s73
	s_cbranch_execz .LBB6_1978
; %bb.441:                              ;   in Loop: Header=BB6_138 Depth=3
	v_cmp_eq_u16_sdwa s74, v9, v117 src0_sel:BYTE_1 src1_sel:DWORD
	s_mov_b32 s16, -1
	s_and_saveexec_b32 s73, s74
; %bb.442:                              ;   in Loop: Header=BB6_138 Depth=3
	s_xor_b32 s16, exec_lo, -1
; %bb.443:                              ;   in Loop: Header=BB6_138 Depth=3
	s_or_b32 exec_lo, exec_lo, s73
	s_and_b32 s16, s16, exec_lo
	s_or_saveexec_b32 s72, s72
	v_mov_b32_e32 v0, 0x7f800001
	s_xor_b32 exec_lo, exec_lo, s72
	s_cbranch_execnz .LBB6_1979
.LBB6_444:                              ;   in Loop: Header=BB6_138 Depth=3
	s_or_b32 exec_lo, exec_lo, s72
	s_and_saveexec_b32 s72, s16
	s_cbranch_execz .LBB6_446
.LBB6_445:                              ;   in Loop: Header=BB6_138 Depth=3
	v_and_b32_sdwa v0, v118, v9 dst_sel:DWORD dst_unused:UNUSED_PAD src0_sel:DWORD src1_sel:BYTE_1
	v_and_b32_e32 v1, 3, v0
	v_bfe_u32 v5, v0, 2, 5
	v_ffbh_u32_e32 v3, v1
	v_cmp_eq_u32_e32 vcc_lo, 0, v5
	v_min_u32_e32 v3, 32, v3
	v_subrev_nc_u32_e32 v4, 29, v3
	v_sub_nc_u32_e32 v3, 30, v3
	v_lshlrev_b32_e32 v0, v4, v0
	v_lshlrev_b32_sdwa v4, v119, v9 dst_sel:DWORD dst_unused:UNUSED_PAD src0_sel:DWORD src1_sel:BYTE_1
	v_cndmask_b32_e32 v3, v5, v3, vcc_lo
	v_and_b32_e32 v0, 3, v0
	v_lshl_add_u32 v3, v3, 23, 0x37800000
	v_cndmask_b32_e32 v0, v1, v0, vcc_lo
	v_and_b32_e32 v1, 0x80000000, v4
	v_lshlrev_b32_e32 v0, 21, v0
	v_or3_b32 v0, v1, v3, v0
.LBB6_446:                              ;   in Loop: Header=BB6_138 Depth=3
	s_or_b32 exec_lo, exec_lo, s72
	v_mul_f32_e32 v0, s63, v0
	v_and_b32_e32 v1, 0x7f800000, v0
	v_cmp_ne_u32_e32 vcc_lo, 0x7f800000, v1
	v_mov_b32_e32 v1, 0x8000
	s_and_saveexec_b32 s72, vcc_lo
	s_cbranch_execz .LBB6_454
; %bb.447:                              ;   in Loop: Header=BB6_138 Depth=3
	v_mov_b32_e32 v1, 0
	s_mov_b32 s73, exec_lo
	v_cmpx_ne_u32_e32 0, v0
	s_cbranch_execz .LBB6_453
; %bb.448:                              ;   in Loop: Header=BB6_138 Depth=3
	v_bfe_u32 v1, v0, 23, 8
	v_and_b32_e32 v3, 0x7fffff, v0
	v_sub_nc_u32_e32 v4, 0x70, v1
	v_cmp_gt_u32_e32 vcc_lo, 0x71, v1
	v_or_b32_e32 v5, 0x800000, v3
	v_cndmask_b32_e32 v4, 0, v4, vcc_lo
	v_cmp_eq_u32_e32 vcc_lo, 0, v1
	v_add_nc_u32_e32 v1, 0xffffff91, v1
	v_cndmask_b32_e64 v4, v4, 0x6f, vcc_lo
	v_cndmask_b32_e32 v3, v5, v3, vcc_lo
	v_cndmask_b32_e64 v1, v1, 0xffffff92, vcc_lo
	v_lshl_add_u32 v5, 0x200000, v4, -1
	v_lshrrev_b32_e32 v6, v4, v3
	v_lshlrev_b32_e64 v8, v4, 0x100000
	v_add_nc_u32_e32 v4, v4, v1
	v_and_b32_e32 v3, v5, v3
	v_bfe_u32 v7, v6, 21, 1
	v_cmp_eq_u32_e64 s16, v3, v8
	v_add_nc_u32_e32 v5, -1, v7
	v_cndmask_b32_e64 v3, 0, v5, s16
	v_lshrrev_b32_e32 v5, 23, v6
	s_mov_b32 s16, exec_lo
	v_add_nc_u32_e32 v3, v3, v6
	v_xor_b32_e32 v5, 1, v5
	v_and_b32_e32 v1, 0x1fffff, v3
	v_add_nc_u32_e32 v3, v1, v6
                                        ; implicit-def: $vgpr1
	v_cmpx_ne_u32_e64 v4, v5
	s_xor_b32 s16, exec_lo, s16
; %bb.449:                              ;   in Loop: Header=BB6_138 Depth=3
	v_cmp_lt_u32_e32 vcc_lo, 0xffffff, v3
	v_sub_nc_u32_e32 v1, v4, v5
	v_cndmask_b32_e64 v4, 0, 1, vcc_lo
	v_add_co_ci_u32_e64 v1, null, 0, v1, vcc_lo
	v_lshrrev_b32_e32 v3, v4, v3
; %bb.450:                              ;   in Loop: Header=BB6_138 Depth=3
	s_andn2_saveexec_b32 s16, s16
; %bb.451:                              ;   in Loop: Header=BB6_138 Depth=3
	v_bfe_u32 v1, v3, 23, 1
; %bb.452:                              ;   in Loop: Header=BB6_138 Depth=3
	s_or_b32 exec_lo, exec_lo, s16
	v_lshrrev_b32_e32 v3, 21, v3
	v_min_i32_e32 v4, 31, v1
	v_cmp_gt_i32_e32 vcc_lo, 32, v1
	v_and_b32_sdwa v0, v0, v117 dst_sel:DWORD dst_unused:UNUSED_PAD src0_sel:BYTE_3 src1_sel:DWORD
	v_lshlrev_b32_e32 v4, 2, v4
	v_cndmask_b32_e32 v3, 3, v3, vcc_lo
	v_and_b32_e32 v4, 0xfc, v4
	v_and_b32_e32 v5, 3, v3
	v_or_b32_e32 v1, v1, v3
	v_or3_b32 v0, v0, v4, v5
	v_cmp_ne_u32_e32 vcc_lo, 0, v1
	v_lshlrev_b32_e32 v0, 8, v0
	v_cndmask_b32_e32 v1, 0, v0, vcc_lo
.LBB6_453:                              ;   in Loop: Header=BB6_138 Depth=3
	s_or_b32 exec_lo, exec_lo, s73
.LBB6_454:                              ;   in Loop: Header=BB6_138 Depth=3
	s_or_b32 exec_lo, exec_lo, s72
	buffer_store_dword v1, off, s[0:3], s33 offset:376 ; 4-byte Folded Spill
	v_and_b32_sdwa v1, v9, v40 dst_sel:DWORD dst_unused:UNUSED_PAD src0_sel:WORD_1 src1_sel:DWORD
	s_mov_b32 s16, 0
	s_mov_b32 s72, exec_lo
	v_cmpx_lt_i16_e32 0x7f, v1
	s_xor_b32 s72, exec_lo, s72
	s_cbranch_execz .LBB6_1980
; %bb.455:                              ;   in Loop: Header=BB6_138 Depth=3
	s_mov_b32 s16, -1
	s_mov_b32 s73, exec_lo
	v_cmpx_eq_u16_e32 0x80, v1
; %bb.456:                              ;   in Loop: Header=BB6_138 Depth=3
	s_xor_b32 s16, exec_lo, -1
; %bb.457:                              ;   in Loop: Header=BB6_138 Depth=3
	s_or_b32 exec_lo, exec_lo, s73
	s_and_b32 s16, s16, exec_lo
                                        ; implicit-def: $vgpr1
	s_or_saveexec_b32 s72, s72
	v_mov_b32_e32 v0, 0x7f800001
	s_xor_b32 exec_lo, exec_lo, s72
	s_cbranch_execnz .LBB6_1981
.LBB6_458:                              ;   in Loop: Header=BB6_138 Depth=3
	s_or_b32 exec_lo, exec_lo, s72
	s_and_saveexec_b32 s72, s16
	s_cbranch_execz .LBB6_460
.LBB6_459:                              ;   in Loop: Header=BB6_138 Depth=3
	v_bfe_u32 v0, v9, 16, 2
	v_bfe_u32 v4, v9, 18, 5
	v_lshlrev_b32_e32 v5, 8, v9
	v_ffbh_u32_e32 v1, v0
	v_cmp_eq_u32_e32 vcc_lo, 0, v4
	v_min_u32_e32 v1, 32, v1
	v_subrev_nc_u32_e32 v3, 29, v1
	v_sub_nc_u32_e32 v1, 30, v1
	v_lshlrev_b32_sdwa v3, v3, v9 dst_sel:DWORD dst_unused:UNUSED_PAD src0_sel:DWORD src1_sel:WORD_1
	v_cndmask_b32_e32 v1, v4, v1, vcc_lo
	v_and_b32_e32 v3, 3, v3
	v_lshl_add_u32 v1, v1, 23, 0x37800000
	v_cndmask_b32_e32 v0, v0, v3, vcc_lo
	v_and_b32_e32 v3, 0x80000000, v5
	v_lshlrev_b32_e32 v0, 21, v0
	v_or3_b32 v0, v3, v1, v0
.LBB6_460:                              ;   in Loop: Header=BB6_138 Depth=3
	s_or_b32 exec_lo, exec_lo, s72
	v_mul_f32_e32 v0, s63, v0
	v_and_b32_e32 v1, 0x7f800000, v0
	v_cmp_ne_u32_e32 vcc_lo, 0x7f800000, v1
	v_mov_b32_e32 v1, 0x80
	buffer_store_dword v1, off, s[0:3], s33 offset:308 ; 4-byte Folded Spill
	s_and_saveexec_b32 s72, vcc_lo
	s_cbranch_execz .LBB6_468
; %bb.461:                              ;   in Loop: Header=BB6_138 Depth=3
	v_mov_b32_e32 v1, 0
	s_mov_b32 s73, exec_lo
	buffer_store_dword v1, off, s[0:3], s33 offset:308 ; 4-byte Folded Spill
	v_cmpx_ne_u32_e32 0, v0
	s_cbranch_execz .LBB6_467
; %bb.462:                              ;   in Loop: Header=BB6_138 Depth=3
	v_bfe_u32 v1, v0, 23, 8
	v_and_b32_e32 v3, 0x7fffff, v0
	v_sub_nc_u32_e32 v4, 0x70, v1
	v_cmp_gt_u32_e32 vcc_lo, 0x71, v1
	v_or_b32_e32 v5, 0x800000, v3
	v_cndmask_b32_e32 v4, 0, v4, vcc_lo
	v_cmp_eq_u32_e32 vcc_lo, 0, v1
	v_add_nc_u32_e32 v1, 0xffffff91, v1
	v_cndmask_b32_e64 v4, v4, 0x6f, vcc_lo
	v_cndmask_b32_e32 v3, v5, v3, vcc_lo
	v_cndmask_b32_e64 v1, v1, 0xffffff92, vcc_lo
	v_lshl_add_u32 v5, 0x200000, v4, -1
	v_lshrrev_b32_e32 v6, v4, v3
	v_lshlrev_b32_e64 v8, v4, 0x100000
	v_add_nc_u32_e32 v4, v4, v1
	v_and_b32_e32 v3, v5, v3
	v_bfe_u32 v7, v6, 21, 1
	v_cmp_eq_u32_e64 s16, v3, v8
	v_add_nc_u32_e32 v5, -1, v7
	v_cndmask_b32_e64 v3, 0, v5, s16
	v_lshrrev_b32_e32 v5, 23, v6
	s_mov_b32 s16, exec_lo
	v_add_nc_u32_e32 v3, v3, v6
	v_xor_b32_e32 v5, 1, v5
	v_and_b32_e32 v1, 0x1fffff, v3
	v_add_nc_u32_e32 v3, v1, v6
                                        ; implicit-def: $vgpr1
	v_cmpx_ne_u32_e64 v4, v5
	s_xor_b32 s16, exec_lo, s16
; %bb.463:                              ;   in Loop: Header=BB6_138 Depth=3
	v_cmp_lt_u32_e32 vcc_lo, 0xffffff, v3
	v_sub_nc_u32_e32 v1, v4, v5
	v_cndmask_b32_e64 v4, 0, 1, vcc_lo
	v_add_co_ci_u32_e64 v1, null, 0, v1, vcc_lo
	v_lshrrev_b32_e32 v3, v4, v3
; %bb.464:                              ;   in Loop: Header=BB6_138 Depth=3
	s_andn2_saveexec_b32 s16, s16
; %bb.465:                              ;   in Loop: Header=BB6_138 Depth=3
	v_bfe_u32 v1, v3, 23, 1
; %bb.466:                              ;   in Loop: Header=BB6_138 Depth=3
	s_or_b32 exec_lo, exec_lo, s16
	v_lshrrev_b32_e32 v3, 21, v3
	v_min_i32_e32 v4, 31, v1
	v_cmp_gt_i32_e32 vcc_lo, 32, v1
	v_and_b32_sdwa v0, v0, v117 dst_sel:DWORD dst_unused:UNUSED_PAD src0_sel:BYTE_3 src1_sel:DWORD
	v_lshlrev_b32_e32 v4, 2, v4
	v_cndmask_b32_e32 v3, 3, v3, vcc_lo
	v_and_b32_e32 v4, 0xfc, v4
	v_and_b32_e32 v5, 3, v3
	v_or_b32_e32 v1, v1, v3
	v_or3_b32 v0, v4, v0, v5
	v_cmp_ne_u32_e32 vcc_lo, 0, v1
	v_cndmask_b32_e32 v0, 0, v0, vcc_lo
	buffer_store_dword v0, off, s[0:3], s33 offset:308 ; 4-byte Folded Spill
.LBB6_467:                              ;   in Loop: Header=BB6_138 Depth=3
	s_or_b32 exec_lo, exec_lo, s73
.LBB6_468:                              ;   in Loop: Header=BB6_138 Depth=3
	s_or_b32 exec_lo, exec_lo, s72
	v_cmp_gt_i16_sdwa s72, v9, v116 src0_sel:BYTE_3 src1_sel:DWORD
	s_mov_b32 s16, 0
	s_and_saveexec_b32 s73, s72
	s_xor_b32 s72, exec_lo, s73
	s_cbranch_execz .LBB6_1982
; %bb.469:                              ;   in Loop: Header=BB6_138 Depth=3
	v_cmp_eq_u16_sdwa s74, v9, v117 src0_sel:BYTE_3 src1_sel:DWORD
	s_mov_b32 s16, -1
	s_and_saveexec_b32 s73, s74
; %bb.470:                              ;   in Loop: Header=BB6_138 Depth=3
	s_xor_b32 s16, exec_lo, -1
; %bb.471:                              ;   in Loop: Header=BB6_138 Depth=3
	s_or_b32 exec_lo, exec_lo, s73
	s_and_b32 s16, s16, exec_lo
	s_or_saveexec_b32 s72, s72
	v_mov_b32_e32 v0, 0x7f800001
	s_xor_b32 exec_lo, exec_lo, s72
	s_cbranch_execnz .LBB6_1983
.LBB6_472:                              ;   in Loop: Header=BB6_138 Depth=3
	s_or_b32 exec_lo, exec_lo, s72
	s_and_saveexec_b32 s72, s16
	s_cbranch_execz .LBB6_474
.LBB6_473:                              ;   in Loop: Header=BB6_138 Depth=3
	v_bfe_u32 v0, v9, 24, 2
	v_bfe_u32 v4, v9, 26, 5
	v_ffbh_u32_e32 v1, v0
	v_cmp_eq_u32_e32 vcc_lo, 0, v4
	v_min_u32_e32 v1, 32, v1
	v_subrev_nc_u32_e32 v3, 29, v1
	v_sub_nc_u32_e32 v1, 30, v1
	v_lshlrev_b32_sdwa v3, v3, v9 dst_sel:DWORD dst_unused:UNUSED_PAD src0_sel:DWORD src1_sel:BYTE_3
	v_cndmask_b32_e32 v1, v4, v1, vcc_lo
	v_and_b32_e32 v3, 3, v3
	v_lshl_add_u32 v1, v1, 23, 0x37800000
	v_cndmask_b32_e32 v0, v0, v3, vcc_lo
	v_and_b32_e32 v3, 0x80000000, v9
	v_lshlrev_b32_e32 v0, 21, v0
	v_or3_b32 v0, v3, v1, v0
.LBB6_474:                              ;   in Loop: Header=BB6_138 Depth=3
	s_or_b32 exec_lo, exec_lo, s72
	v_mul_f32_e32 v0, s63, v0
	v_mov_b32_e32 v9, 0x8000
	s_mov_b32 s72, exec_lo
	v_and_b32_e32 v1, 0x7f800000, v0
	v_cmpx_ne_u32_e32 0x7f800000, v1
	s_cbranch_execz .LBB6_482
; %bb.475:                              ;   in Loop: Header=BB6_138 Depth=3
	v_mov_b32_e32 v9, 0
	s_mov_b32 s73, exec_lo
	v_cmpx_ne_u32_e32 0, v0
	s_cbranch_execz .LBB6_481
; %bb.476:                              ;   in Loop: Header=BB6_138 Depth=3
	v_bfe_u32 v1, v0, 23, 8
	v_and_b32_e32 v3, 0x7fffff, v0
	v_sub_nc_u32_e32 v4, 0x70, v1
	v_cmp_gt_u32_e32 vcc_lo, 0x71, v1
	v_or_b32_e32 v5, 0x800000, v3
	v_cndmask_b32_e32 v4, 0, v4, vcc_lo
	v_cmp_eq_u32_e32 vcc_lo, 0, v1
	v_add_nc_u32_e32 v1, 0xffffff91, v1
	v_cndmask_b32_e64 v4, v4, 0x6f, vcc_lo
	v_cndmask_b32_e32 v3, v5, v3, vcc_lo
	v_cndmask_b32_e64 v1, v1, 0xffffff92, vcc_lo
	v_lshl_add_u32 v5, 0x200000, v4, -1
	v_lshrrev_b32_e32 v6, v4, v3
	v_lshlrev_b32_e64 v8, v4, 0x100000
	v_add_nc_u32_e32 v4, v4, v1
	v_and_b32_e32 v3, v5, v3
	v_bfe_u32 v7, v6, 21, 1
	v_cmp_eq_u32_e64 s16, v3, v8
	v_add_nc_u32_e32 v5, -1, v7
	v_cndmask_b32_e64 v3, 0, v5, s16
	v_lshrrev_b32_e32 v5, 23, v6
	s_mov_b32 s16, exec_lo
	v_add_nc_u32_e32 v3, v3, v6
	v_xor_b32_e32 v5, 1, v5
	v_and_b32_e32 v1, 0x1fffff, v3
	v_add_nc_u32_e32 v3, v1, v6
                                        ; implicit-def: $vgpr1
	v_cmpx_ne_u32_e64 v4, v5
	s_xor_b32 s16, exec_lo, s16
; %bb.477:                              ;   in Loop: Header=BB6_138 Depth=3
	v_cmp_lt_u32_e32 vcc_lo, 0xffffff, v3
	v_sub_nc_u32_e32 v1, v4, v5
	v_cndmask_b32_e64 v4, 0, 1, vcc_lo
	v_add_co_ci_u32_e64 v1, null, 0, v1, vcc_lo
	v_lshrrev_b32_e32 v3, v4, v3
; %bb.478:                              ;   in Loop: Header=BB6_138 Depth=3
	s_andn2_saveexec_b32 s16, s16
; %bb.479:                              ;   in Loop: Header=BB6_138 Depth=3
	v_bfe_u32 v1, v3, 23, 1
; %bb.480:                              ;   in Loop: Header=BB6_138 Depth=3
	s_or_b32 exec_lo, exec_lo, s16
	v_lshrrev_b32_e32 v3, 21, v3
	v_min_i32_e32 v4, 31, v1
	v_cmp_gt_i32_e32 vcc_lo, 32, v1
	v_and_b32_sdwa v0, v0, v117 dst_sel:DWORD dst_unused:UNUSED_PAD src0_sel:BYTE_3 src1_sel:DWORD
	v_lshlrev_b32_e32 v4, 2, v4
	v_cndmask_b32_e32 v3, 3, v3, vcc_lo
	v_and_b32_e32 v4, 0xfc, v4
	v_and_b32_e32 v5, 3, v3
	v_or_b32_e32 v1, v1, v3
	v_or3_b32 v0, v0, v4, v5
	v_cmp_ne_u32_e32 vcc_lo, 0, v1
	v_lshlrev_b32_e32 v0, 8, v0
	v_cndmask_b32_e32 v9, 0, v0, vcc_lo
.LBB6_481:                              ;   in Loop: Header=BB6_138 Depth=3
	s_or_b32 exec_lo, exec_lo, s73
.LBB6_482:                              ;   in Loop: Header=BB6_138 Depth=3
	s_or_b32 exec_lo, exec_lo, s72
	v_cmp_gt_i16_sdwa s72, v10, v116 src0_sel:BYTE_0 src1_sel:DWORD
	s_mov_b32 s16, 0
	s_and_saveexec_b32 s73, s72
	s_xor_b32 s72, exec_lo, s73
	s_cbranch_execz .LBB6_1984
; %bb.483:                              ;   in Loop: Header=BB6_138 Depth=3
	v_cmp_eq_u16_sdwa s74, v10, v117 src0_sel:BYTE_0 src1_sel:DWORD
	s_mov_b32 s16, -1
	s_and_saveexec_b32 s73, s74
; %bb.484:                              ;   in Loop: Header=BB6_138 Depth=3
	s_xor_b32 s16, exec_lo, -1
; %bb.485:                              ;   in Loop: Header=BB6_138 Depth=3
	s_or_b32 exec_lo, exec_lo, s73
	s_and_b32 s16, s16, exec_lo
	s_or_saveexec_b32 s72, s72
	v_mov_b32_e32 v0, 0x7f800001
	s_xor_b32 exec_lo, exec_lo, s72
	s_cbranch_execnz .LBB6_1985
.LBB6_486:                              ;   in Loop: Header=BB6_138 Depth=3
	s_or_b32 exec_lo, exec_lo, s72
	s_and_saveexec_b32 s72, s16
	s_cbranch_execz .LBB6_488
.LBB6_487:                              ;   in Loop: Header=BB6_138 Depth=3
	v_and_b32_e32 v0, 3, v10
	v_bfe_u32 v4, v10, 2, 5
	v_lshlrev_b32_e32 v5, 24, v10
	v_ffbh_u32_e32 v1, v0
	v_cmp_eq_u32_e32 vcc_lo, 0, v4
	v_min_u32_e32 v1, 32, v1
	v_subrev_nc_u32_e32 v3, 29, v1
	v_sub_nc_u32_e32 v1, 30, v1
	v_lshlrev_b32_e32 v3, v3, v10
	v_cndmask_b32_e32 v1, v4, v1, vcc_lo
	v_and_b32_e32 v3, 3, v3
	v_lshl_add_u32 v1, v1, 23, 0x37800000
	v_cndmask_b32_e32 v0, v0, v3, vcc_lo
	v_and_b32_e32 v3, 0x80000000, v5
	v_lshlrev_b32_e32 v0, 21, v0
	v_or3_b32 v0, v3, v1, v0
.LBB6_488:                              ;   in Loop: Header=BB6_138 Depth=3
	s_or_b32 exec_lo, exec_lo, s72
	v_mul_f32_e32 v0, s63, v0
	v_and_b32_e32 v1, 0x7f800000, v0
	v_cmp_ne_u32_e32 vcc_lo, 0x7f800000, v1
	v_mov_b32_e32 v1, 0x80
	buffer_store_dword v1, off, s[0:3], s33 offset:312 ; 4-byte Folded Spill
	s_and_saveexec_b32 s72, vcc_lo
	s_cbranch_execz .LBB6_496
; %bb.489:                              ;   in Loop: Header=BB6_138 Depth=3
	v_mov_b32_e32 v1, 0
	s_mov_b32 s73, exec_lo
	buffer_store_dword v1, off, s[0:3], s33 offset:312 ; 4-byte Folded Spill
	v_cmpx_ne_u32_e32 0, v0
	s_cbranch_execz .LBB6_495
; %bb.490:                              ;   in Loop: Header=BB6_138 Depth=3
	v_bfe_u32 v1, v0, 23, 8
	v_and_b32_e32 v3, 0x7fffff, v0
	v_sub_nc_u32_e32 v4, 0x70, v1
	v_cmp_gt_u32_e32 vcc_lo, 0x71, v1
	v_or_b32_e32 v5, 0x800000, v3
	v_cndmask_b32_e32 v4, 0, v4, vcc_lo
	v_cmp_eq_u32_e32 vcc_lo, 0, v1
	v_add_nc_u32_e32 v1, 0xffffff91, v1
	v_cndmask_b32_e64 v4, v4, 0x6f, vcc_lo
	v_cndmask_b32_e32 v3, v5, v3, vcc_lo
	v_cndmask_b32_e64 v1, v1, 0xffffff92, vcc_lo
	v_lshl_add_u32 v5, 0x200000, v4, -1
	v_lshrrev_b32_e32 v6, v4, v3
	v_lshlrev_b32_e64 v8, v4, 0x100000
	v_add_nc_u32_e32 v4, v4, v1
	v_and_b32_e32 v3, v5, v3
	v_bfe_u32 v7, v6, 21, 1
	v_cmp_eq_u32_e64 s16, v3, v8
	v_add_nc_u32_e32 v5, -1, v7
	v_cndmask_b32_e64 v3, 0, v5, s16
	v_lshrrev_b32_e32 v5, 23, v6
	s_mov_b32 s16, exec_lo
	v_add_nc_u32_e32 v3, v3, v6
	v_xor_b32_e32 v5, 1, v5
	v_and_b32_e32 v1, 0x1fffff, v3
	v_add_nc_u32_e32 v3, v1, v6
                                        ; implicit-def: $vgpr1
	v_cmpx_ne_u32_e64 v4, v5
	s_xor_b32 s16, exec_lo, s16
; %bb.491:                              ;   in Loop: Header=BB6_138 Depth=3
	v_cmp_lt_u32_e32 vcc_lo, 0xffffff, v3
	v_sub_nc_u32_e32 v1, v4, v5
	v_cndmask_b32_e64 v4, 0, 1, vcc_lo
	v_add_co_ci_u32_e64 v1, null, 0, v1, vcc_lo
	v_lshrrev_b32_e32 v3, v4, v3
; %bb.492:                              ;   in Loop: Header=BB6_138 Depth=3
	s_andn2_saveexec_b32 s16, s16
; %bb.493:                              ;   in Loop: Header=BB6_138 Depth=3
	v_bfe_u32 v1, v3, 23, 1
; %bb.494:                              ;   in Loop: Header=BB6_138 Depth=3
	s_or_b32 exec_lo, exec_lo, s16
	v_lshrrev_b32_e32 v3, 21, v3
	v_min_i32_e32 v4, 31, v1
	v_cmp_gt_i32_e32 vcc_lo, 32, v1
	v_and_b32_sdwa v0, v0, v117 dst_sel:DWORD dst_unused:UNUSED_PAD src0_sel:BYTE_3 src1_sel:DWORD
	v_lshlrev_b32_e32 v4, 2, v4
	v_cndmask_b32_e32 v3, 3, v3, vcc_lo
	v_and_b32_e32 v4, 0xfc, v4
	v_and_b32_e32 v5, 3, v3
	v_or_b32_e32 v1, v1, v3
	v_or3_b32 v0, v4, v0, v5
	v_cmp_ne_u32_e32 vcc_lo, 0, v1
	v_cndmask_b32_e32 v0, 0, v0, vcc_lo
	buffer_store_dword v0, off, s[0:3], s33 offset:312 ; 4-byte Folded Spill
.LBB6_495:                              ;   in Loop: Header=BB6_138 Depth=3
	s_or_b32 exec_lo, exec_lo, s73
.LBB6_496:                              ;   in Loop: Header=BB6_138 Depth=3
	s_or_b32 exec_lo, exec_lo, s72
	v_cmp_gt_i16_sdwa s72, v10, v116 src0_sel:BYTE_1 src1_sel:DWORD
	s_mov_b32 s16, 0
	s_and_saveexec_b32 s73, s72
	s_xor_b32 s72, exec_lo, s73
	s_cbranch_execz .LBB6_1986
; %bb.497:                              ;   in Loop: Header=BB6_138 Depth=3
	v_cmp_eq_u16_sdwa s74, v10, v117 src0_sel:BYTE_1 src1_sel:DWORD
	s_mov_b32 s16, -1
	s_and_saveexec_b32 s73, s74
; %bb.498:                              ;   in Loop: Header=BB6_138 Depth=3
	s_xor_b32 s16, exec_lo, -1
; %bb.499:                              ;   in Loop: Header=BB6_138 Depth=3
	s_or_b32 exec_lo, exec_lo, s73
	s_and_b32 s16, s16, exec_lo
	s_or_saveexec_b32 s72, s72
	v_mov_b32_e32 v0, 0x7f800001
	s_xor_b32 exec_lo, exec_lo, s72
	s_cbranch_execnz .LBB6_1987
.LBB6_500:                              ;   in Loop: Header=BB6_138 Depth=3
	s_or_b32 exec_lo, exec_lo, s72
	s_and_saveexec_b32 s72, s16
	s_cbranch_execz .LBB6_502
.LBB6_501:                              ;   in Loop: Header=BB6_138 Depth=3
	v_and_b32_sdwa v0, v118, v10 dst_sel:DWORD dst_unused:UNUSED_PAD src0_sel:DWORD src1_sel:BYTE_1
	v_and_b32_e32 v1, 3, v0
	v_bfe_u32 v5, v0, 2, 5
	v_ffbh_u32_e32 v3, v1
	v_cmp_eq_u32_e32 vcc_lo, 0, v5
	v_min_u32_e32 v3, 32, v3
	v_subrev_nc_u32_e32 v4, 29, v3
	v_sub_nc_u32_e32 v3, 30, v3
	v_lshlrev_b32_e32 v0, v4, v0
	v_lshlrev_b32_sdwa v4, v119, v10 dst_sel:DWORD dst_unused:UNUSED_PAD src0_sel:DWORD src1_sel:BYTE_1
	v_cndmask_b32_e32 v3, v5, v3, vcc_lo
	v_and_b32_e32 v0, 3, v0
	v_lshl_add_u32 v3, v3, 23, 0x37800000
	v_cndmask_b32_e32 v0, v1, v0, vcc_lo
	v_and_b32_e32 v1, 0x80000000, v4
	v_lshlrev_b32_e32 v0, 21, v0
	v_or3_b32 v0, v1, v3, v0
.LBB6_502:                              ;   in Loop: Header=BB6_138 Depth=3
	s_or_b32 exec_lo, exec_lo, s72
	v_mul_f32_e32 v0, s63, v0
	v_and_b32_e32 v1, 0x7f800000, v0
	v_cmp_ne_u32_e32 vcc_lo, 0x7f800000, v1
	v_mov_b32_e32 v1, 0x8000
	s_and_saveexec_b32 s72, vcc_lo
	s_cbranch_execz .LBB6_510
; %bb.503:                              ;   in Loop: Header=BB6_138 Depth=3
	v_mov_b32_e32 v1, 0
	s_mov_b32 s73, exec_lo
	v_cmpx_ne_u32_e32 0, v0
	s_cbranch_execz .LBB6_509
; %bb.504:                              ;   in Loop: Header=BB6_138 Depth=3
	v_bfe_u32 v1, v0, 23, 8
	v_and_b32_e32 v3, 0x7fffff, v0
	v_sub_nc_u32_e32 v4, 0x70, v1
	v_cmp_gt_u32_e32 vcc_lo, 0x71, v1
	v_or_b32_e32 v5, 0x800000, v3
	v_cndmask_b32_e32 v4, 0, v4, vcc_lo
	v_cmp_eq_u32_e32 vcc_lo, 0, v1
	v_add_nc_u32_e32 v1, 0xffffff91, v1
	v_cndmask_b32_e64 v4, v4, 0x6f, vcc_lo
	v_cndmask_b32_e32 v3, v5, v3, vcc_lo
	v_cndmask_b32_e64 v1, v1, 0xffffff92, vcc_lo
	v_lshl_add_u32 v5, 0x200000, v4, -1
	v_lshrrev_b32_e32 v6, v4, v3
	v_lshlrev_b32_e64 v8, v4, 0x100000
	v_add_nc_u32_e32 v4, v4, v1
	v_and_b32_e32 v3, v5, v3
	v_bfe_u32 v7, v6, 21, 1
	v_cmp_eq_u32_e64 s16, v3, v8
	v_add_nc_u32_e32 v5, -1, v7
	v_cndmask_b32_e64 v3, 0, v5, s16
	v_lshrrev_b32_e32 v5, 23, v6
	s_mov_b32 s16, exec_lo
	v_add_nc_u32_e32 v3, v3, v6
	v_xor_b32_e32 v5, 1, v5
	v_and_b32_e32 v1, 0x1fffff, v3
	v_add_nc_u32_e32 v3, v1, v6
                                        ; implicit-def: $vgpr1
	v_cmpx_ne_u32_e64 v4, v5
	s_xor_b32 s16, exec_lo, s16
; %bb.505:                              ;   in Loop: Header=BB6_138 Depth=3
	v_cmp_lt_u32_e32 vcc_lo, 0xffffff, v3
	v_sub_nc_u32_e32 v1, v4, v5
	v_cndmask_b32_e64 v4, 0, 1, vcc_lo
	v_add_co_ci_u32_e64 v1, null, 0, v1, vcc_lo
	v_lshrrev_b32_e32 v3, v4, v3
; %bb.506:                              ;   in Loop: Header=BB6_138 Depth=3
	s_andn2_saveexec_b32 s16, s16
; %bb.507:                              ;   in Loop: Header=BB6_138 Depth=3
	v_bfe_u32 v1, v3, 23, 1
; %bb.508:                              ;   in Loop: Header=BB6_138 Depth=3
	s_or_b32 exec_lo, exec_lo, s16
	v_lshrrev_b32_e32 v3, 21, v3
	v_min_i32_e32 v4, 31, v1
	v_cmp_gt_i32_e32 vcc_lo, 32, v1
	v_and_b32_sdwa v0, v0, v117 dst_sel:DWORD dst_unused:UNUSED_PAD src0_sel:BYTE_3 src1_sel:DWORD
	v_lshlrev_b32_e32 v4, 2, v4
	v_cndmask_b32_e32 v3, 3, v3, vcc_lo
	v_and_b32_e32 v4, 0xfc, v4
	v_and_b32_e32 v5, 3, v3
	v_or_b32_e32 v1, v1, v3
	v_or3_b32 v0, v0, v4, v5
	v_cmp_ne_u32_e32 vcc_lo, 0, v1
	v_lshlrev_b32_e32 v0, 8, v0
	v_cndmask_b32_e32 v1, 0, v0, vcc_lo
.LBB6_509:                              ;   in Loop: Header=BB6_138 Depth=3
	s_or_b32 exec_lo, exec_lo, s73
.LBB6_510:                              ;   in Loop: Header=BB6_138 Depth=3
	s_or_b32 exec_lo, exec_lo, s72
	buffer_store_dword v1, off, s[0:3], s33 offset:384 ; 4-byte Folded Spill
	v_and_b32_sdwa v1, v10, v40 dst_sel:DWORD dst_unused:UNUSED_PAD src0_sel:WORD_1 src1_sel:DWORD
	s_mov_b32 s16, 0
	s_mov_b32 s72, exec_lo
	v_cmpx_lt_i16_e32 0x7f, v1
	s_xor_b32 s72, exec_lo, s72
	s_cbranch_execz .LBB6_1988
; %bb.511:                              ;   in Loop: Header=BB6_138 Depth=3
	s_mov_b32 s16, -1
	s_mov_b32 s73, exec_lo
	v_cmpx_eq_u16_e32 0x80, v1
; %bb.512:                              ;   in Loop: Header=BB6_138 Depth=3
	s_xor_b32 s16, exec_lo, -1
; %bb.513:                              ;   in Loop: Header=BB6_138 Depth=3
	s_or_b32 exec_lo, exec_lo, s73
	s_and_b32 s16, s16, exec_lo
                                        ; implicit-def: $vgpr1
	s_or_saveexec_b32 s72, s72
	v_mov_b32_e32 v0, 0x7f800001
	s_xor_b32 exec_lo, exec_lo, s72
	s_cbranch_execnz .LBB6_1989
.LBB6_514:                              ;   in Loop: Header=BB6_138 Depth=3
	s_or_b32 exec_lo, exec_lo, s72
	s_and_saveexec_b32 s72, s16
	s_cbranch_execz .LBB6_516
.LBB6_515:                              ;   in Loop: Header=BB6_138 Depth=3
	v_bfe_u32 v0, v10, 16, 2
	v_bfe_u32 v4, v10, 18, 5
	v_lshlrev_b32_e32 v5, 8, v10
	v_ffbh_u32_e32 v1, v0
	v_cmp_eq_u32_e32 vcc_lo, 0, v4
	v_min_u32_e32 v1, 32, v1
	v_subrev_nc_u32_e32 v3, 29, v1
	v_sub_nc_u32_e32 v1, 30, v1
	v_lshlrev_b32_sdwa v3, v3, v10 dst_sel:DWORD dst_unused:UNUSED_PAD src0_sel:DWORD src1_sel:WORD_1
	v_cndmask_b32_e32 v1, v4, v1, vcc_lo
	v_and_b32_e32 v3, 3, v3
	v_lshl_add_u32 v1, v1, 23, 0x37800000
	v_cndmask_b32_e32 v0, v0, v3, vcc_lo
	v_and_b32_e32 v3, 0x80000000, v5
	v_lshlrev_b32_e32 v0, 21, v0
	v_or3_b32 v0, v3, v1, v0
.LBB6_516:                              ;   in Loop: Header=BB6_138 Depth=3
	s_or_b32 exec_lo, exec_lo, s72
	v_mul_f32_e32 v0, s63, v0
	v_and_b32_e32 v1, 0x7f800000, v0
	v_cmp_ne_u32_e32 vcc_lo, 0x7f800000, v1
	v_mov_b32_e32 v1, 0x80
	buffer_store_dword v1, off, s[0:3], s33 offset:316 ; 4-byte Folded Spill
	s_and_saveexec_b32 s72, vcc_lo
	s_cbranch_execz .LBB6_524
; %bb.517:                              ;   in Loop: Header=BB6_138 Depth=3
	v_mov_b32_e32 v1, 0
	s_mov_b32 s73, exec_lo
	buffer_store_dword v1, off, s[0:3], s33 offset:316 ; 4-byte Folded Spill
	v_cmpx_ne_u32_e32 0, v0
	s_cbranch_execz .LBB6_523
; %bb.518:                              ;   in Loop: Header=BB6_138 Depth=3
	v_bfe_u32 v1, v0, 23, 8
	v_and_b32_e32 v3, 0x7fffff, v0
	v_sub_nc_u32_e32 v4, 0x70, v1
	v_cmp_gt_u32_e32 vcc_lo, 0x71, v1
	v_or_b32_e32 v5, 0x800000, v3
	v_cndmask_b32_e32 v4, 0, v4, vcc_lo
	v_cmp_eq_u32_e32 vcc_lo, 0, v1
	v_add_nc_u32_e32 v1, 0xffffff91, v1
	v_cndmask_b32_e64 v4, v4, 0x6f, vcc_lo
	v_cndmask_b32_e32 v3, v5, v3, vcc_lo
	v_cndmask_b32_e64 v1, v1, 0xffffff92, vcc_lo
	v_lshl_add_u32 v5, 0x200000, v4, -1
	v_lshrrev_b32_e32 v6, v4, v3
	v_lshlrev_b32_e64 v8, v4, 0x100000
	v_add_nc_u32_e32 v4, v4, v1
	v_and_b32_e32 v3, v5, v3
	v_bfe_u32 v7, v6, 21, 1
	v_cmp_eq_u32_e64 s16, v3, v8
	v_add_nc_u32_e32 v5, -1, v7
	v_cndmask_b32_e64 v3, 0, v5, s16
	v_lshrrev_b32_e32 v5, 23, v6
	s_mov_b32 s16, exec_lo
	v_add_nc_u32_e32 v3, v3, v6
	v_xor_b32_e32 v5, 1, v5
	v_and_b32_e32 v1, 0x1fffff, v3
	v_add_nc_u32_e32 v3, v1, v6
                                        ; implicit-def: $vgpr1
	v_cmpx_ne_u32_e64 v4, v5
	s_xor_b32 s16, exec_lo, s16
; %bb.519:                              ;   in Loop: Header=BB6_138 Depth=3
	v_cmp_lt_u32_e32 vcc_lo, 0xffffff, v3
	v_sub_nc_u32_e32 v1, v4, v5
	v_cndmask_b32_e64 v4, 0, 1, vcc_lo
	v_add_co_ci_u32_e64 v1, null, 0, v1, vcc_lo
	v_lshrrev_b32_e32 v3, v4, v3
; %bb.520:                              ;   in Loop: Header=BB6_138 Depth=3
	s_andn2_saveexec_b32 s16, s16
; %bb.521:                              ;   in Loop: Header=BB6_138 Depth=3
	v_bfe_u32 v1, v3, 23, 1
; %bb.522:                              ;   in Loop: Header=BB6_138 Depth=3
	s_or_b32 exec_lo, exec_lo, s16
	v_lshrrev_b32_e32 v3, 21, v3
	v_min_i32_e32 v4, 31, v1
	v_cmp_gt_i32_e32 vcc_lo, 32, v1
	v_and_b32_sdwa v0, v0, v117 dst_sel:DWORD dst_unused:UNUSED_PAD src0_sel:BYTE_3 src1_sel:DWORD
	v_lshlrev_b32_e32 v4, 2, v4
	v_cndmask_b32_e32 v3, 3, v3, vcc_lo
	v_and_b32_e32 v4, 0xfc, v4
	v_and_b32_e32 v5, 3, v3
	v_or_b32_e32 v1, v1, v3
	v_or3_b32 v0, v4, v0, v5
	v_cmp_ne_u32_e32 vcc_lo, 0, v1
	v_cndmask_b32_e32 v0, 0, v0, vcc_lo
	buffer_store_dword v0, off, s[0:3], s33 offset:316 ; 4-byte Folded Spill
.LBB6_523:                              ;   in Loop: Header=BB6_138 Depth=3
	s_or_b32 exec_lo, exec_lo, s73
.LBB6_524:                              ;   in Loop: Header=BB6_138 Depth=3
	s_or_b32 exec_lo, exec_lo, s72
	v_cmp_gt_i16_sdwa s72, v10, v116 src0_sel:BYTE_3 src1_sel:DWORD
	s_mov_b32 s16, 0
	s_and_saveexec_b32 s73, s72
	s_xor_b32 s72, exec_lo, s73
	s_cbranch_execz .LBB6_1990
; %bb.525:                              ;   in Loop: Header=BB6_138 Depth=3
	v_cmp_eq_u16_sdwa s74, v10, v117 src0_sel:BYTE_3 src1_sel:DWORD
	s_mov_b32 s16, -1
	s_and_saveexec_b32 s73, s74
; %bb.526:                              ;   in Loop: Header=BB6_138 Depth=3
	s_xor_b32 s16, exec_lo, -1
; %bb.527:                              ;   in Loop: Header=BB6_138 Depth=3
	s_or_b32 exec_lo, exec_lo, s73
	s_and_b32 s16, s16, exec_lo
	s_or_saveexec_b32 s72, s72
	v_mov_b32_e32 v0, 0x7f800001
	s_xor_b32 exec_lo, exec_lo, s72
	s_cbranch_execnz .LBB6_1991
.LBB6_528:                              ;   in Loop: Header=BB6_138 Depth=3
	s_or_b32 exec_lo, exec_lo, s72
	s_and_saveexec_b32 s72, s16
	s_cbranch_execz .LBB6_530
.LBB6_529:                              ;   in Loop: Header=BB6_138 Depth=3
	v_bfe_u32 v0, v10, 24, 2
	v_bfe_u32 v4, v10, 26, 5
	v_ffbh_u32_e32 v1, v0
	v_cmp_eq_u32_e32 vcc_lo, 0, v4
	v_min_u32_e32 v1, 32, v1
	v_subrev_nc_u32_e32 v3, 29, v1
	v_sub_nc_u32_e32 v1, 30, v1
	v_lshlrev_b32_sdwa v3, v3, v10 dst_sel:DWORD dst_unused:UNUSED_PAD src0_sel:DWORD src1_sel:BYTE_3
	v_cndmask_b32_e32 v1, v4, v1, vcc_lo
	v_and_b32_e32 v3, 3, v3
	v_lshl_add_u32 v1, v1, 23, 0x37800000
	v_cndmask_b32_e32 v0, v0, v3, vcc_lo
	v_and_b32_e32 v3, 0x80000000, v10
	v_lshlrev_b32_e32 v0, 21, v0
	v_or3_b32 v0, v3, v1, v0
.LBB6_530:                              ;   in Loop: Header=BB6_138 Depth=3
	s_or_b32 exec_lo, exec_lo, s72
	v_mul_f32_e32 v0, s63, v0
	v_mov_b32_e32 v10, 0x8000
	s_mov_b32 s72, exec_lo
	v_and_b32_e32 v1, 0x7f800000, v0
	v_cmpx_ne_u32_e32 0x7f800000, v1
	s_cbranch_execz .LBB6_538
; %bb.531:                              ;   in Loop: Header=BB6_138 Depth=3
	v_mov_b32_e32 v10, 0
	s_mov_b32 s73, exec_lo
	v_cmpx_ne_u32_e32 0, v0
	s_cbranch_execz .LBB6_537
; %bb.532:                              ;   in Loop: Header=BB6_138 Depth=3
	v_bfe_u32 v1, v0, 23, 8
	v_and_b32_e32 v3, 0x7fffff, v0
	v_sub_nc_u32_e32 v4, 0x70, v1
	v_cmp_gt_u32_e32 vcc_lo, 0x71, v1
	v_or_b32_e32 v5, 0x800000, v3
	v_cndmask_b32_e32 v4, 0, v4, vcc_lo
	v_cmp_eq_u32_e32 vcc_lo, 0, v1
	v_add_nc_u32_e32 v1, 0xffffff91, v1
	v_cndmask_b32_e64 v4, v4, 0x6f, vcc_lo
	v_cndmask_b32_e32 v3, v5, v3, vcc_lo
	v_cndmask_b32_e64 v1, v1, 0xffffff92, vcc_lo
	v_lshl_add_u32 v5, 0x200000, v4, -1
	v_lshrrev_b32_e32 v6, v4, v3
	v_lshlrev_b32_e64 v8, v4, 0x100000
	v_add_nc_u32_e32 v4, v4, v1
	v_and_b32_e32 v3, v5, v3
	v_bfe_u32 v7, v6, 21, 1
	v_cmp_eq_u32_e64 s16, v3, v8
	v_add_nc_u32_e32 v5, -1, v7
	v_cndmask_b32_e64 v3, 0, v5, s16
	v_lshrrev_b32_e32 v5, 23, v6
	s_mov_b32 s16, exec_lo
	v_add_nc_u32_e32 v3, v3, v6
	v_xor_b32_e32 v5, 1, v5
	v_and_b32_e32 v1, 0x1fffff, v3
	v_add_nc_u32_e32 v3, v1, v6
                                        ; implicit-def: $vgpr1
	v_cmpx_ne_u32_e64 v4, v5
	s_xor_b32 s16, exec_lo, s16
; %bb.533:                              ;   in Loop: Header=BB6_138 Depth=3
	v_cmp_lt_u32_e32 vcc_lo, 0xffffff, v3
	v_sub_nc_u32_e32 v1, v4, v5
	v_cndmask_b32_e64 v4, 0, 1, vcc_lo
	v_add_co_ci_u32_e64 v1, null, 0, v1, vcc_lo
	v_lshrrev_b32_e32 v3, v4, v3
; %bb.534:                              ;   in Loop: Header=BB6_138 Depth=3
	s_andn2_saveexec_b32 s16, s16
; %bb.535:                              ;   in Loop: Header=BB6_138 Depth=3
	v_bfe_u32 v1, v3, 23, 1
; %bb.536:                              ;   in Loop: Header=BB6_138 Depth=3
	s_or_b32 exec_lo, exec_lo, s16
	v_lshrrev_b32_e32 v3, 21, v3
	v_min_i32_e32 v4, 31, v1
	v_cmp_gt_i32_e32 vcc_lo, 32, v1
	v_and_b32_sdwa v0, v0, v117 dst_sel:DWORD dst_unused:UNUSED_PAD src0_sel:BYTE_3 src1_sel:DWORD
	v_lshlrev_b32_e32 v4, 2, v4
	v_cndmask_b32_e32 v3, 3, v3, vcc_lo
	v_and_b32_e32 v4, 0xfc, v4
	v_and_b32_e32 v5, 3, v3
	v_or_b32_e32 v1, v1, v3
	v_or3_b32 v0, v0, v4, v5
	v_cmp_ne_u32_e32 vcc_lo, 0, v1
	v_lshlrev_b32_e32 v0, 8, v0
	v_cndmask_b32_e32 v10, 0, v0, vcc_lo
.LBB6_537:                              ;   in Loop: Header=BB6_138 Depth=3
	s_or_b32 exec_lo, exec_lo, s73
.LBB6_538:                              ;   in Loop: Header=BB6_138 Depth=3
	s_or_b32 exec_lo, exec_lo, s72
	v_cmp_gt_i16_sdwa s72, v11, v116 src0_sel:BYTE_0 src1_sel:DWORD
	s_mov_b32 s16, 0
	s_and_saveexec_b32 s73, s72
	s_xor_b32 s72, exec_lo, s73
	s_cbranch_execz .LBB6_1992
; %bb.539:                              ;   in Loop: Header=BB6_138 Depth=3
	v_cmp_eq_u16_sdwa s74, v11, v117 src0_sel:BYTE_0 src1_sel:DWORD
	s_mov_b32 s16, -1
	s_and_saveexec_b32 s73, s74
; %bb.540:                              ;   in Loop: Header=BB6_138 Depth=3
	s_xor_b32 s16, exec_lo, -1
; %bb.541:                              ;   in Loop: Header=BB6_138 Depth=3
	s_or_b32 exec_lo, exec_lo, s73
	s_and_b32 s16, s16, exec_lo
	s_or_saveexec_b32 s72, s72
	v_mov_b32_e32 v0, 0x7f800001
	s_xor_b32 exec_lo, exec_lo, s72
	s_cbranch_execnz .LBB6_1993
.LBB6_542:                              ;   in Loop: Header=BB6_138 Depth=3
	s_or_b32 exec_lo, exec_lo, s72
	s_and_saveexec_b32 s72, s16
	s_cbranch_execz .LBB6_544
.LBB6_543:                              ;   in Loop: Header=BB6_138 Depth=3
	v_and_b32_e32 v0, 3, v11
	v_bfe_u32 v4, v11, 2, 5
	v_lshlrev_b32_e32 v5, 24, v11
	v_ffbh_u32_e32 v1, v0
	v_cmp_eq_u32_e32 vcc_lo, 0, v4
	v_min_u32_e32 v1, 32, v1
	v_subrev_nc_u32_e32 v3, 29, v1
	v_sub_nc_u32_e32 v1, 30, v1
	v_lshlrev_b32_e32 v3, v3, v11
	v_cndmask_b32_e32 v1, v4, v1, vcc_lo
	v_and_b32_e32 v3, 3, v3
	v_lshl_add_u32 v1, v1, 23, 0x37800000
	v_cndmask_b32_e32 v0, v0, v3, vcc_lo
	v_and_b32_e32 v3, 0x80000000, v5
	v_lshlrev_b32_e32 v0, 21, v0
	v_or3_b32 v0, v3, v1, v0
.LBB6_544:                              ;   in Loop: Header=BB6_138 Depth=3
	s_or_b32 exec_lo, exec_lo, s72
	v_mul_f32_e32 v0, s63, v0
	v_and_b32_e32 v1, 0x7f800000, v0
	v_cmp_ne_u32_e32 vcc_lo, 0x7f800000, v1
	v_mov_b32_e32 v1, 0x80
	buffer_store_dword v1, off, s[0:3], s33 offset:320 ; 4-byte Folded Spill
	s_and_saveexec_b32 s72, vcc_lo
	s_cbranch_execz .LBB6_552
; %bb.545:                              ;   in Loop: Header=BB6_138 Depth=3
	v_mov_b32_e32 v1, 0
	s_mov_b32 s73, exec_lo
	buffer_store_dword v1, off, s[0:3], s33 offset:320 ; 4-byte Folded Spill
	v_cmpx_ne_u32_e32 0, v0
	s_cbranch_execz .LBB6_551
; %bb.546:                              ;   in Loop: Header=BB6_138 Depth=3
	v_bfe_u32 v1, v0, 23, 8
	v_and_b32_e32 v3, 0x7fffff, v0
	v_sub_nc_u32_e32 v4, 0x70, v1
	v_cmp_gt_u32_e32 vcc_lo, 0x71, v1
	v_or_b32_e32 v5, 0x800000, v3
	v_cndmask_b32_e32 v4, 0, v4, vcc_lo
	v_cmp_eq_u32_e32 vcc_lo, 0, v1
	v_add_nc_u32_e32 v1, 0xffffff91, v1
	v_cndmask_b32_e64 v4, v4, 0x6f, vcc_lo
	v_cndmask_b32_e32 v3, v5, v3, vcc_lo
	v_cndmask_b32_e64 v1, v1, 0xffffff92, vcc_lo
	v_lshl_add_u32 v5, 0x200000, v4, -1
	v_lshrrev_b32_e32 v6, v4, v3
	v_lshlrev_b32_e64 v8, v4, 0x100000
	v_add_nc_u32_e32 v4, v4, v1
	v_and_b32_e32 v3, v5, v3
	v_bfe_u32 v7, v6, 21, 1
	v_cmp_eq_u32_e64 s16, v3, v8
	v_add_nc_u32_e32 v5, -1, v7
	v_cndmask_b32_e64 v3, 0, v5, s16
	v_lshrrev_b32_e32 v5, 23, v6
	s_mov_b32 s16, exec_lo
	v_add_nc_u32_e32 v3, v3, v6
	v_xor_b32_e32 v5, 1, v5
	v_and_b32_e32 v1, 0x1fffff, v3
	v_add_nc_u32_e32 v3, v1, v6
                                        ; implicit-def: $vgpr1
	v_cmpx_ne_u32_e64 v4, v5
	s_xor_b32 s16, exec_lo, s16
; %bb.547:                              ;   in Loop: Header=BB6_138 Depth=3
	v_cmp_lt_u32_e32 vcc_lo, 0xffffff, v3
	v_sub_nc_u32_e32 v1, v4, v5
	v_cndmask_b32_e64 v4, 0, 1, vcc_lo
	v_add_co_ci_u32_e64 v1, null, 0, v1, vcc_lo
	v_lshrrev_b32_e32 v3, v4, v3
; %bb.548:                              ;   in Loop: Header=BB6_138 Depth=3
	s_andn2_saveexec_b32 s16, s16
; %bb.549:                              ;   in Loop: Header=BB6_138 Depth=3
	v_bfe_u32 v1, v3, 23, 1
; %bb.550:                              ;   in Loop: Header=BB6_138 Depth=3
	s_or_b32 exec_lo, exec_lo, s16
	v_lshrrev_b32_e32 v3, 21, v3
	v_min_i32_e32 v4, 31, v1
	v_cmp_gt_i32_e32 vcc_lo, 32, v1
	v_and_b32_sdwa v0, v0, v117 dst_sel:DWORD dst_unused:UNUSED_PAD src0_sel:BYTE_3 src1_sel:DWORD
	v_lshlrev_b32_e32 v4, 2, v4
	v_cndmask_b32_e32 v3, 3, v3, vcc_lo
	v_and_b32_e32 v4, 0xfc, v4
	v_and_b32_e32 v5, 3, v3
	v_or_b32_e32 v1, v1, v3
	v_or3_b32 v0, v4, v0, v5
	v_cmp_ne_u32_e32 vcc_lo, 0, v1
	v_cndmask_b32_e32 v0, 0, v0, vcc_lo
	buffer_store_dword v0, off, s[0:3], s33 offset:320 ; 4-byte Folded Spill
.LBB6_551:                              ;   in Loop: Header=BB6_138 Depth=3
	s_or_b32 exec_lo, exec_lo, s73
.LBB6_552:                              ;   in Loop: Header=BB6_138 Depth=3
	s_or_b32 exec_lo, exec_lo, s72
	v_cmp_gt_i16_sdwa s72, v11, v116 src0_sel:BYTE_1 src1_sel:DWORD
	s_mov_b32 s16, 0
	s_and_saveexec_b32 s73, s72
	s_xor_b32 s72, exec_lo, s73
	s_cbranch_execz .LBB6_1994
; %bb.553:                              ;   in Loop: Header=BB6_138 Depth=3
	v_cmp_eq_u16_sdwa s74, v11, v117 src0_sel:BYTE_1 src1_sel:DWORD
	s_mov_b32 s16, -1
	s_and_saveexec_b32 s73, s74
; %bb.554:                              ;   in Loop: Header=BB6_138 Depth=3
	s_xor_b32 s16, exec_lo, -1
; %bb.555:                              ;   in Loop: Header=BB6_138 Depth=3
	s_or_b32 exec_lo, exec_lo, s73
	s_and_b32 s16, s16, exec_lo
	s_or_saveexec_b32 s72, s72
	v_mov_b32_e32 v0, 0x7f800001
	s_xor_b32 exec_lo, exec_lo, s72
	s_cbranch_execnz .LBB6_1995
.LBB6_556:                              ;   in Loop: Header=BB6_138 Depth=3
	s_or_b32 exec_lo, exec_lo, s72
	s_and_saveexec_b32 s72, s16
	s_cbranch_execz .LBB6_558
.LBB6_557:                              ;   in Loop: Header=BB6_138 Depth=3
	v_and_b32_sdwa v0, v118, v11 dst_sel:DWORD dst_unused:UNUSED_PAD src0_sel:DWORD src1_sel:BYTE_1
	v_and_b32_e32 v1, 3, v0
	v_bfe_u32 v5, v0, 2, 5
	v_ffbh_u32_e32 v3, v1
	v_cmp_eq_u32_e32 vcc_lo, 0, v5
	v_min_u32_e32 v3, 32, v3
	v_subrev_nc_u32_e32 v4, 29, v3
	v_sub_nc_u32_e32 v3, 30, v3
	v_lshlrev_b32_e32 v0, v4, v0
	v_lshlrev_b32_sdwa v4, v119, v11 dst_sel:DWORD dst_unused:UNUSED_PAD src0_sel:DWORD src1_sel:BYTE_1
	v_cndmask_b32_e32 v3, v5, v3, vcc_lo
	v_and_b32_e32 v0, 3, v0
	v_lshl_add_u32 v3, v3, 23, 0x37800000
	v_cndmask_b32_e32 v0, v1, v0, vcc_lo
	v_and_b32_e32 v1, 0x80000000, v4
	v_lshlrev_b32_e32 v0, 21, v0
	v_or3_b32 v0, v1, v3, v0
.LBB6_558:                              ;   in Loop: Header=BB6_138 Depth=3
	s_or_b32 exec_lo, exec_lo, s72
	v_mul_f32_e32 v0, s63, v0
	v_and_b32_e32 v1, 0x7f800000, v0
	v_cmp_ne_u32_e32 vcc_lo, 0x7f800000, v1
	v_mov_b32_e32 v1, 0x8000
	s_and_saveexec_b32 s72, vcc_lo
	s_cbranch_execz .LBB6_566
; %bb.559:                              ;   in Loop: Header=BB6_138 Depth=3
	v_mov_b32_e32 v1, 0
	s_mov_b32 s73, exec_lo
	v_cmpx_ne_u32_e32 0, v0
	s_cbranch_execz .LBB6_565
; %bb.560:                              ;   in Loop: Header=BB6_138 Depth=3
	v_bfe_u32 v1, v0, 23, 8
	v_and_b32_e32 v3, 0x7fffff, v0
	v_sub_nc_u32_e32 v4, 0x70, v1
	v_cmp_gt_u32_e32 vcc_lo, 0x71, v1
	v_or_b32_e32 v5, 0x800000, v3
	v_cndmask_b32_e32 v4, 0, v4, vcc_lo
	v_cmp_eq_u32_e32 vcc_lo, 0, v1
	v_add_nc_u32_e32 v1, 0xffffff91, v1
	v_cndmask_b32_e64 v4, v4, 0x6f, vcc_lo
	v_cndmask_b32_e32 v3, v5, v3, vcc_lo
	v_cndmask_b32_e64 v1, v1, 0xffffff92, vcc_lo
	v_lshl_add_u32 v5, 0x200000, v4, -1
	v_lshrrev_b32_e32 v6, v4, v3
	v_lshlrev_b32_e64 v8, v4, 0x100000
	v_add_nc_u32_e32 v4, v4, v1
	v_and_b32_e32 v3, v5, v3
	v_bfe_u32 v7, v6, 21, 1
	v_cmp_eq_u32_e64 s16, v3, v8
	v_add_nc_u32_e32 v5, -1, v7
	v_cndmask_b32_e64 v3, 0, v5, s16
	v_lshrrev_b32_e32 v5, 23, v6
	s_mov_b32 s16, exec_lo
	v_add_nc_u32_e32 v3, v3, v6
	v_xor_b32_e32 v5, 1, v5
	v_and_b32_e32 v1, 0x1fffff, v3
	v_add_nc_u32_e32 v3, v1, v6
                                        ; implicit-def: $vgpr1
	v_cmpx_ne_u32_e64 v4, v5
	s_xor_b32 s16, exec_lo, s16
; %bb.561:                              ;   in Loop: Header=BB6_138 Depth=3
	v_cmp_lt_u32_e32 vcc_lo, 0xffffff, v3
	v_sub_nc_u32_e32 v1, v4, v5
	v_cndmask_b32_e64 v4, 0, 1, vcc_lo
	v_add_co_ci_u32_e64 v1, null, 0, v1, vcc_lo
	v_lshrrev_b32_e32 v3, v4, v3
; %bb.562:                              ;   in Loop: Header=BB6_138 Depth=3
	s_andn2_saveexec_b32 s16, s16
; %bb.563:                              ;   in Loop: Header=BB6_138 Depth=3
	v_bfe_u32 v1, v3, 23, 1
; %bb.564:                              ;   in Loop: Header=BB6_138 Depth=3
	s_or_b32 exec_lo, exec_lo, s16
	v_lshrrev_b32_e32 v3, 21, v3
	v_min_i32_e32 v4, 31, v1
	v_cmp_gt_i32_e32 vcc_lo, 32, v1
	v_and_b32_sdwa v0, v0, v117 dst_sel:DWORD dst_unused:UNUSED_PAD src0_sel:BYTE_3 src1_sel:DWORD
	v_lshlrev_b32_e32 v4, 2, v4
	v_cndmask_b32_e32 v3, 3, v3, vcc_lo
	v_and_b32_e32 v4, 0xfc, v4
	v_and_b32_e32 v5, 3, v3
	v_or_b32_e32 v1, v1, v3
	v_or3_b32 v0, v0, v4, v5
	v_cmp_ne_u32_e32 vcc_lo, 0, v1
	v_lshlrev_b32_e32 v0, 8, v0
	v_cndmask_b32_e32 v1, 0, v0, vcc_lo
.LBB6_565:                              ;   in Loop: Header=BB6_138 Depth=3
	s_or_b32 exec_lo, exec_lo, s73
.LBB6_566:                              ;   in Loop: Header=BB6_138 Depth=3
	s_or_b32 exec_lo, exec_lo, s72
	buffer_store_dword v1, off, s[0:3], s33 offset:392 ; 4-byte Folded Spill
	v_and_b32_sdwa v1, v11, v40 dst_sel:DWORD dst_unused:UNUSED_PAD src0_sel:WORD_1 src1_sel:DWORD
	s_mov_b32 s16, 0
	s_mov_b32 s72, exec_lo
	v_cmpx_lt_i16_e32 0x7f, v1
	s_xor_b32 s72, exec_lo, s72
	s_cbranch_execz .LBB6_1996
; %bb.567:                              ;   in Loop: Header=BB6_138 Depth=3
	s_mov_b32 s16, -1
	s_mov_b32 s73, exec_lo
	v_cmpx_eq_u16_e32 0x80, v1
; %bb.568:                              ;   in Loop: Header=BB6_138 Depth=3
	s_xor_b32 s16, exec_lo, -1
; %bb.569:                              ;   in Loop: Header=BB6_138 Depth=3
	s_or_b32 exec_lo, exec_lo, s73
	s_and_b32 s16, s16, exec_lo
                                        ; implicit-def: $vgpr1
	s_or_saveexec_b32 s72, s72
	v_mov_b32_e32 v0, 0x7f800001
	s_xor_b32 exec_lo, exec_lo, s72
	s_cbranch_execnz .LBB6_1997
.LBB6_570:                              ;   in Loop: Header=BB6_138 Depth=3
	s_or_b32 exec_lo, exec_lo, s72
	s_and_saveexec_b32 s72, s16
	s_cbranch_execz .LBB6_572
.LBB6_571:                              ;   in Loop: Header=BB6_138 Depth=3
	v_bfe_u32 v0, v11, 16, 2
	v_bfe_u32 v4, v11, 18, 5
	v_lshlrev_b32_e32 v5, 8, v11
	v_ffbh_u32_e32 v1, v0
	v_cmp_eq_u32_e32 vcc_lo, 0, v4
	v_min_u32_e32 v1, 32, v1
	v_subrev_nc_u32_e32 v3, 29, v1
	v_sub_nc_u32_e32 v1, 30, v1
	v_lshlrev_b32_sdwa v3, v3, v11 dst_sel:DWORD dst_unused:UNUSED_PAD src0_sel:DWORD src1_sel:WORD_1
	v_cndmask_b32_e32 v1, v4, v1, vcc_lo
	v_and_b32_e32 v3, 3, v3
	v_lshl_add_u32 v1, v1, 23, 0x37800000
	v_cndmask_b32_e32 v0, v0, v3, vcc_lo
	v_and_b32_e32 v3, 0x80000000, v5
	v_lshlrev_b32_e32 v0, 21, v0
	v_or3_b32 v0, v3, v1, v0
.LBB6_572:                              ;   in Loop: Header=BB6_138 Depth=3
	s_or_b32 exec_lo, exec_lo, s72
	v_mul_f32_e32 v0, s63, v0
	v_mov_b32_e32 v5, 0x80
	s_mov_b32 s72, exec_lo
	v_and_b32_e32 v1, 0x7f800000, v0
	v_cmpx_ne_u32_e32 0x7f800000, v1
	s_cbranch_execz .LBB6_580
; %bb.573:                              ;   in Loop: Header=BB6_138 Depth=3
	v_mov_b32_e32 v5, 0
	s_mov_b32 s73, exec_lo
	v_cmpx_ne_u32_e32 0, v0
	s_cbranch_execz .LBB6_579
; %bb.574:                              ;   in Loop: Header=BB6_138 Depth=3
	v_bfe_u32 v1, v0, 23, 8
	v_and_b32_e32 v3, 0x7fffff, v0
	v_sub_nc_u32_e32 v4, 0x70, v1
	v_cmp_gt_u32_e32 vcc_lo, 0x71, v1
	v_or_b32_e32 v5, 0x800000, v3
	v_cndmask_b32_e32 v4, 0, v4, vcc_lo
	v_cmp_eq_u32_e32 vcc_lo, 0, v1
	v_add_nc_u32_e32 v1, 0xffffff91, v1
	v_cndmask_b32_e64 v4, v4, 0x6f, vcc_lo
	v_cndmask_b32_e32 v3, v5, v3, vcc_lo
	v_cndmask_b32_e64 v1, v1, 0xffffff92, vcc_lo
	v_lshl_add_u32 v5, 0x200000, v4, -1
	v_lshrrev_b32_e32 v6, v4, v3
	v_lshlrev_b32_e64 v8, v4, 0x100000
	v_add_nc_u32_e32 v4, v4, v1
	v_and_b32_e32 v3, v5, v3
	v_bfe_u32 v7, v6, 21, 1
	v_cmp_eq_u32_e64 s16, v3, v8
	v_add_nc_u32_e32 v5, -1, v7
	v_cndmask_b32_e64 v3, 0, v5, s16
	v_lshrrev_b32_e32 v5, 23, v6
	s_mov_b32 s16, exec_lo
	v_add_nc_u32_e32 v3, v3, v6
	v_xor_b32_e32 v5, 1, v5
	v_and_b32_e32 v1, 0x1fffff, v3
	v_add_nc_u32_e32 v3, v1, v6
                                        ; implicit-def: $vgpr1
	v_cmpx_ne_u32_e64 v4, v5
	s_xor_b32 s16, exec_lo, s16
; %bb.575:                              ;   in Loop: Header=BB6_138 Depth=3
	v_cmp_lt_u32_e32 vcc_lo, 0xffffff, v3
	v_sub_nc_u32_e32 v1, v4, v5
	v_cndmask_b32_e64 v4, 0, 1, vcc_lo
	v_add_co_ci_u32_e64 v1, null, 0, v1, vcc_lo
	v_lshrrev_b32_e32 v3, v4, v3
; %bb.576:                              ;   in Loop: Header=BB6_138 Depth=3
	s_andn2_saveexec_b32 s16, s16
; %bb.577:                              ;   in Loop: Header=BB6_138 Depth=3
	v_bfe_u32 v1, v3, 23, 1
; %bb.578:                              ;   in Loop: Header=BB6_138 Depth=3
	s_or_b32 exec_lo, exec_lo, s16
	v_lshrrev_b32_e32 v3, 21, v3
	v_min_i32_e32 v4, 31, v1
	v_cmp_gt_i32_e32 vcc_lo, 32, v1
	v_and_b32_sdwa v0, v0, v117 dst_sel:DWORD dst_unused:UNUSED_PAD src0_sel:BYTE_3 src1_sel:DWORD
	v_lshlrev_b32_e32 v4, 2, v4
	v_cndmask_b32_e32 v3, 3, v3, vcc_lo
	v_and_b32_e32 v4, 0xfc, v4
	v_and_b32_e32 v5, 3, v3
	v_or_b32_e32 v1, v1, v3
	v_or3_b32 v0, v4, v0, v5
	v_cmp_ne_u32_e32 vcc_lo, 0, v1
	v_cndmask_b32_e32 v5, 0, v0, vcc_lo
.LBB6_579:                              ;   in Loop: Header=BB6_138 Depth=3
	s_or_b32 exec_lo, exec_lo, s73
.LBB6_580:                              ;   in Loop: Header=BB6_138 Depth=3
	s_or_b32 exec_lo, exec_lo, s72
	v_cmp_gt_i16_sdwa s72, v11, v116 src0_sel:BYTE_3 src1_sel:DWORD
	s_mov_b32 s16, 0
	s_and_saveexec_b32 s73, s72
	s_xor_b32 s72, exec_lo, s73
	s_cbranch_execz .LBB6_1998
; %bb.581:                              ;   in Loop: Header=BB6_138 Depth=3
	v_cmp_eq_u16_sdwa s74, v11, v117 src0_sel:BYTE_3 src1_sel:DWORD
	s_mov_b32 s16, -1
	s_and_saveexec_b32 s73, s74
; %bb.582:                              ;   in Loop: Header=BB6_138 Depth=3
	s_xor_b32 s16, exec_lo, -1
; %bb.583:                              ;   in Loop: Header=BB6_138 Depth=3
	s_or_b32 exec_lo, exec_lo, s73
	s_and_b32 s16, s16, exec_lo
	s_or_saveexec_b32 s72, s72
	v_mov_b32_e32 v0, 0x7f800001
	s_xor_b32 exec_lo, exec_lo, s72
	s_cbranch_execnz .LBB6_1999
.LBB6_584:                              ;   in Loop: Header=BB6_138 Depth=3
	s_or_b32 exec_lo, exec_lo, s72
	s_and_saveexec_b32 s72, s16
	s_cbranch_execz .LBB6_586
.LBB6_585:                              ;   in Loop: Header=BB6_138 Depth=3
	v_bfe_u32 v0, v11, 24, 2
	v_bfe_u32 v4, v11, 26, 5
	v_ffbh_u32_e32 v1, v0
	v_cmp_eq_u32_e32 vcc_lo, 0, v4
	v_min_u32_e32 v1, 32, v1
	v_subrev_nc_u32_e32 v3, 29, v1
	v_sub_nc_u32_e32 v1, 30, v1
	v_lshlrev_b32_sdwa v3, v3, v11 dst_sel:DWORD dst_unused:UNUSED_PAD src0_sel:DWORD src1_sel:BYTE_3
	v_cndmask_b32_e32 v1, v4, v1, vcc_lo
	v_and_b32_e32 v3, 3, v3
	v_lshl_add_u32 v1, v1, 23, 0x37800000
	v_cndmask_b32_e32 v0, v0, v3, vcc_lo
	v_and_b32_e32 v3, 0x80000000, v11
	v_lshlrev_b32_e32 v0, 21, v0
	v_or3_b32 v0, v3, v1, v0
.LBB6_586:                              ;   in Loop: Header=BB6_138 Depth=3
	s_or_b32 exec_lo, exec_lo, s72
	v_mul_f32_e32 v0, s63, v0
	v_and_b32_e32 v1, 0x7f800000, v0
	v_cmp_ne_u32_e32 vcc_lo, 0x7f800000, v1
	v_mov_b32_e32 v1, 0x8000
	s_and_saveexec_b32 s72, vcc_lo
	s_cbranch_execz .LBB6_594
; %bb.587:                              ;   in Loop: Header=BB6_138 Depth=3
	v_mov_b32_e32 v1, 0
	s_mov_b32 s73, exec_lo
	v_cmpx_ne_u32_e32 0, v0
	s_cbranch_execz .LBB6_593
; %bb.588:                              ;   in Loop: Header=BB6_138 Depth=3
	v_bfe_u32 v1, v0, 23, 8
	v_and_b32_e32 v3, 0x7fffff, v0
	v_mov_b32_e32 v11, v5
	v_sub_nc_u32_e32 v4, 0x70, v1
	v_cmp_gt_u32_e32 vcc_lo, 0x71, v1
	v_or_b32_e32 v5, 0x800000, v3
	v_cndmask_b32_e32 v4, 0, v4, vcc_lo
	v_cmp_eq_u32_e32 vcc_lo, 0, v1
	v_add_nc_u32_e32 v1, 0xffffff91, v1
	v_cndmask_b32_e64 v4, v4, 0x6f, vcc_lo
	v_cndmask_b32_e32 v3, v5, v3, vcc_lo
	v_cndmask_b32_e64 v1, v1, 0xffffff92, vcc_lo
	v_lshl_add_u32 v5, 0x200000, v4, -1
	v_lshrrev_b32_e32 v6, v4, v3
	v_lshlrev_b32_e64 v8, v4, 0x100000
	v_add_nc_u32_e32 v4, v4, v1
	v_and_b32_e32 v3, v5, v3
	v_bfe_u32 v7, v6, 21, 1
	v_cmp_eq_u32_e64 s16, v3, v8
	v_add_nc_u32_e32 v5, -1, v7
	v_cndmask_b32_e64 v3, 0, v5, s16
	v_lshrrev_b32_e32 v5, 23, v6
	s_mov_b32 s16, exec_lo
	v_add_nc_u32_e32 v3, v3, v6
	v_xor_b32_e32 v5, 1, v5
	v_and_b32_e32 v1, 0x1fffff, v3
	v_add_nc_u32_e32 v3, v1, v6
                                        ; implicit-def: $vgpr1
	v_cmpx_ne_u32_e64 v4, v5
	s_xor_b32 s16, exec_lo, s16
; %bb.589:                              ;   in Loop: Header=BB6_138 Depth=3
	v_cmp_lt_u32_e32 vcc_lo, 0xffffff, v3
	v_sub_nc_u32_e32 v1, v4, v5
	v_cndmask_b32_e64 v4, 0, 1, vcc_lo
	v_add_co_ci_u32_e64 v1, null, 0, v1, vcc_lo
	v_lshrrev_b32_e32 v3, v4, v3
; %bb.590:                              ;   in Loop: Header=BB6_138 Depth=3
	s_andn2_saveexec_b32 s16, s16
; %bb.591:                              ;   in Loop: Header=BB6_138 Depth=3
	v_bfe_u32 v1, v3, 23, 1
; %bb.592:                              ;   in Loop: Header=BB6_138 Depth=3
	s_or_b32 exec_lo, exec_lo, s16
	v_lshrrev_b32_e32 v3, 21, v3
	v_min_i32_e32 v4, 31, v1
	v_cmp_gt_i32_e32 vcc_lo, 32, v1
	v_and_b32_sdwa v0, v0, v117 dst_sel:DWORD dst_unused:UNUSED_PAD src0_sel:BYTE_3 src1_sel:DWORD
	v_lshlrev_b32_e32 v4, 2, v4
	v_cndmask_b32_e32 v3, 3, v3, vcc_lo
	v_and_b32_e32 v4, 0xfc, v4
	v_and_b32_e32 v5, 3, v3
	v_or_b32_e32 v1, v1, v3
	v_or3_b32 v0, v0, v4, v5
	v_cmp_ne_u32_e32 vcc_lo, 0, v1
	v_mov_b32_e32 v5, v11
	v_lshlrev_b32_e32 v0, 8, v0
	v_cndmask_b32_e32 v1, 0, v0, vcc_lo
.LBB6_593:                              ;   in Loop: Header=BB6_138 Depth=3
	s_or_b32 exec_lo, exec_lo, s73
.LBB6_594:                              ;   in Loop: Header=BB6_138 Depth=3
	s_or_b32 exec_lo, exec_lo, s72
	buffer_store_dword v1, off, s[0:3], s33 offset:400 ; 4-byte Folded Spill
	buffer_store_dword v5, off, s[0:3], s33 offset:396 ; 4-byte Folded Spill
	;; [unrolled: 1-line block ×4, first 2 shown]
	global_load_dwordx4 v[8:11], v[68:69], off offset:1024 slc
	s_mov_b32 s16, 0
	s_waitcnt vmcnt(0)
	v_cmp_gt_i16_sdwa s72, v8, v116 src0_sel:BYTE_0 src1_sel:DWORD
	s_and_saveexec_b32 s73, s72
	s_xor_b32 s72, exec_lo, s73
	s_cbranch_execz .LBB6_2000
; %bb.595:                              ;   in Loop: Header=BB6_138 Depth=3
	v_cmp_eq_u16_sdwa s74, v8, v117 src0_sel:BYTE_0 src1_sel:DWORD
	s_mov_b32 s16, -1
	s_and_saveexec_b32 s73, s74
; %bb.596:                              ;   in Loop: Header=BB6_138 Depth=3
	s_xor_b32 s16, exec_lo, -1
; %bb.597:                              ;   in Loop: Header=BB6_138 Depth=3
	s_or_b32 exec_lo, exec_lo, s73
	s_and_b32 s16, s16, exec_lo
	s_or_saveexec_b32 s72, s72
	v_mov_b32_e32 v0, 0x7f800001
	s_xor_b32 exec_lo, exec_lo, s72
	s_cbranch_execnz .LBB6_2001
.LBB6_598:                              ;   in Loop: Header=BB6_138 Depth=3
	s_or_b32 exec_lo, exec_lo, s72
	s_and_saveexec_b32 s72, s16
	s_cbranch_execz .LBB6_600
.LBB6_599:                              ;   in Loop: Header=BB6_138 Depth=3
	v_and_b32_e32 v0, 3, v8
	v_bfe_u32 v4, v8, 2, 5
	v_lshlrev_b32_e32 v5, 24, v8
	v_ffbh_u32_e32 v1, v0
	v_cmp_eq_u32_e32 vcc_lo, 0, v4
	v_min_u32_e32 v1, 32, v1
	v_subrev_nc_u32_e32 v3, 29, v1
	v_sub_nc_u32_e32 v1, 30, v1
	v_lshlrev_b32_e32 v3, v3, v8
	v_cndmask_b32_e32 v1, v4, v1, vcc_lo
	v_and_b32_e32 v3, 3, v3
	v_lshl_add_u32 v1, v1, 23, 0x37800000
	v_cndmask_b32_e32 v0, v0, v3, vcc_lo
	v_and_b32_e32 v3, 0x80000000, v5
	v_lshlrev_b32_e32 v0, 21, v0
	v_or3_b32 v0, v3, v1, v0
.LBB6_600:                              ;   in Loop: Header=BB6_138 Depth=3
	s_or_b32 exec_lo, exec_lo, s72
	v_mul_f32_e32 v0, s63, v0
	v_and_b32_e32 v1, 0x7f800000, v0
	v_cmp_ne_u32_e32 vcc_lo, 0x7f800000, v1
	v_mov_b32_e32 v1, 0x80
	buffer_store_dword v1, off, s[0:3], s33 offset:324 ; 4-byte Folded Spill
	s_and_saveexec_b32 s72, vcc_lo
	s_cbranch_execz .LBB6_608
; %bb.601:                              ;   in Loop: Header=BB6_138 Depth=3
	v_mov_b32_e32 v1, 0
	s_mov_b32 s73, exec_lo
	buffer_store_dword v1, off, s[0:3], s33 offset:324 ; 4-byte Folded Spill
	v_cmpx_ne_u32_e32 0, v0
	s_cbranch_execz .LBB6_607
; %bb.602:                              ;   in Loop: Header=BB6_138 Depth=3
	v_bfe_u32 v3, v0, 23, 8
	v_and_b32_e32 v1, 0x7fffff, v0
	v_cmp_gt_u32_e64 s16, 0x71, v3
	v_sub_nc_u32_e32 v4, 0x70, v3
	v_cmp_eq_u32_e32 vcc_lo, 0, v3
	v_or_b32_e32 v5, 0x800000, v1
	v_cndmask_b32_e64 v4, 0, v4, s16
	v_cndmask_b32_e32 v1, v5, v1, vcc_lo
	v_cndmask_b32_e64 v4, v4, 0x6f, vcc_lo
	v_lshl_add_u32 v5, 0x200000, v4, -1
	v_lshlrev_b32_e64 v6, v4, 0x100000
	v_and_b32_e32 v5, v5, v1
	v_cmp_eq_u32_e64 s16, v5, v6
	v_lshrrev_b32_e32 v5, v4, v1
	v_add_nc_u32_e32 v1, 0xffffff91, v3
	v_lshrrev_b32_e32 v3, 23, v5
	v_cndmask_b32_e64 v1, v1, 0xffffff92, vcc_lo
	v_xor_b32_e32 v3, 1, v3
	v_add_nc_u32_e32 v1, v4, v1
	v_bfe_u32 v4, v5, 21, 1
	v_add_nc_u32_e32 v4, -1, v4
	v_cndmask_b32_e64 v4, 0, v4, s16
	s_mov_b32 s16, exec_lo
	v_add_nc_u32_e32 v4, v4, v5
	v_and_b32_e32 v4, 0x1fffff, v4
	v_add_nc_u32_e32 v5, v4, v5
                                        ; implicit-def: $vgpr4
	v_cmpx_ne_u32_e64 v1, v3
	s_xor_b32 s16, exec_lo, s16
; %bb.603:                              ;   in Loop: Header=BB6_138 Depth=3
	v_cmp_lt_u32_e32 vcc_lo, 0xffffff, v5
	v_sub_nc_u32_e32 v1, v1, v3
	v_cndmask_b32_e64 v3, 0, 1, vcc_lo
	v_add_co_ci_u32_e64 v4, null, 0, v1, vcc_lo
	v_lshrrev_b32_e32 v5, v3, v5
; %bb.604:                              ;   in Loop: Header=BB6_138 Depth=3
	s_andn2_saveexec_b32 s16, s16
; %bb.605:                              ;   in Loop: Header=BB6_138 Depth=3
	v_bfe_u32 v4, v5, 23, 1
; %bb.606:                              ;   in Loop: Header=BB6_138 Depth=3
	s_or_b32 exec_lo, exec_lo, s16
	v_lshrrev_b32_e32 v1, 21, v5
	v_min_i32_e32 v3, 31, v4
	v_cmp_gt_i32_e32 vcc_lo, 32, v4
	v_and_b32_sdwa v0, v0, v117 dst_sel:DWORD dst_unused:UNUSED_PAD src0_sel:BYTE_3 src1_sel:DWORD
	v_lshlrev_b32_e32 v3, 2, v3
	v_cndmask_b32_e32 v1, 3, v1, vcc_lo
	v_and_b32_e32 v3, 0xfc, v3
	v_and_b32_e32 v5, 3, v1
	v_or_b32_e32 v1, v4, v1
	v_or3_b32 v0, v3, v0, v5
	v_cmp_ne_u32_e32 vcc_lo, 0, v1
	v_cndmask_b32_e32 v0, 0, v0, vcc_lo
	buffer_store_dword v0, off, s[0:3], s33 offset:324 ; 4-byte Folded Spill
.LBB6_607:                              ;   in Loop: Header=BB6_138 Depth=3
	s_or_b32 exec_lo, exec_lo, s73
.LBB6_608:                              ;   in Loop: Header=BB6_138 Depth=3
	s_or_b32 exec_lo, exec_lo, s72
	v_cmp_gt_i16_sdwa s72, v8, v116 src0_sel:BYTE_1 src1_sel:DWORD
	s_mov_b32 s16, 0
	s_and_saveexec_b32 s73, s72
	s_xor_b32 s72, exec_lo, s73
	s_cbranch_execz .LBB6_2002
; %bb.609:                              ;   in Loop: Header=BB6_138 Depth=3
	v_cmp_eq_u16_sdwa s74, v8, v117 src0_sel:BYTE_1 src1_sel:DWORD
	s_mov_b32 s16, -1
	s_and_saveexec_b32 s73, s74
; %bb.610:                              ;   in Loop: Header=BB6_138 Depth=3
	s_xor_b32 s16, exec_lo, -1
; %bb.611:                              ;   in Loop: Header=BB6_138 Depth=3
	s_or_b32 exec_lo, exec_lo, s73
	s_and_b32 s16, s16, exec_lo
	s_or_saveexec_b32 s72, s72
	v_mov_b32_e32 v0, 0x7f800001
	s_xor_b32 exec_lo, exec_lo, s72
	s_cbranch_execnz .LBB6_2003
.LBB6_612:                              ;   in Loop: Header=BB6_138 Depth=3
	s_or_b32 exec_lo, exec_lo, s72
	s_and_saveexec_b32 s72, s16
	s_cbranch_execz .LBB6_614
.LBB6_613:                              ;   in Loop: Header=BB6_138 Depth=3
	v_and_b32_sdwa v0, v118, v8 dst_sel:DWORD dst_unused:UNUSED_PAD src0_sel:DWORD src1_sel:BYTE_1
	v_and_b32_e32 v1, 3, v0
	v_bfe_u32 v5, v0, 2, 5
	v_ffbh_u32_e32 v3, v1
	v_cmp_eq_u32_e32 vcc_lo, 0, v5
	v_min_u32_e32 v3, 32, v3
	v_subrev_nc_u32_e32 v4, 29, v3
	v_sub_nc_u32_e32 v3, 30, v3
	v_lshlrev_b32_e32 v0, v4, v0
	v_lshlrev_b32_sdwa v4, v119, v8 dst_sel:DWORD dst_unused:UNUSED_PAD src0_sel:DWORD src1_sel:BYTE_1
	v_cndmask_b32_e32 v3, v5, v3, vcc_lo
	v_and_b32_e32 v0, 3, v0
	v_lshl_add_u32 v3, v3, 23, 0x37800000
	v_cndmask_b32_e32 v0, v1, v0, vcc_lo
	v_and_b32_e32 v1, 0x80000000, v4
	v_lshlrev_b32_e32 v0, 21, v0
	v_or3_b32 v0, v1, v3, v0
.LBB6_614:                              ;   in Loop: Header=BB6_138 Depth=3
	s_or_b32 exec_lo, exec_lo, s72
	v_mul_f32_e32 v0, s63, v0
	v_and_b32_e32 v1, 0x7f800000, v0
	v_cmp_ne_u32_e32 vcc_lo, 0x7f800000, v1
	v_mov_b32_e32 v1, 0x8000
	s_and_saveexec_b32 s72, vcc_lo
	s_cbranch_execz .LBB6_622
; %bb.615:                              ;   in Loop: Header=BB6_138 Depth=3
	v_mov_b32_e32 v1, 0
	s_mov_b32 s73, exec_lo
	v_cmpx_ne_u32_e32 0, v0
	s_cbranch_execz .LBB6_621
; %bb.616:                              ;   in Loop: Header=BB6_138 Depth=3
	v_bfe_u32 v3, v0, 23, 8
	v_and_b32_e32 v1, 0x7fffff, v0
	v_cmp_gt_u32_e64 s16, 0x71, v3
	v_sub_nc_u32_e32 v4, 0x70, v3
	v_cmp_eq_u32_e32 vcc_lo, 0, v3
	v_or_b32_e32 v5, 0x800000, v1
	v_cndmask_b32_e64 v4, 0, v4, s16
	v_cndmask_b32_e32 v1, v5, v1, vcc_lo
	v_cndmask_b32_e64 v4, v4, 0x6f, vcc_lo
	v_lshl_add_u32 v5, 0x200000, v4, -1
	v_lshlrev_b32_e64 v6, v4, 0x100000
	v_and_b32_e32 v5, v5, v1
	v_cmp_eq_u32_e64 s16, v5, v6
	v_lshrrev_b32_e32 v5, v4, v1
	v_add_nc_u32_e32 v1, 0xffffff91, v3
	v_lshrrev_b32_e32 v3, 23, v5
	v_cndmask_b32_e64 v1, v1, 0xffffff92, vcc_lo
	v_xor_b32_e32 v3, 1, v3
	v_add_nc_u32_e32 v1, v4, v1
	v_bfe_u32 v4, v5, 21, 1
	v_add_nc_u32_e32 v4, -1, v4
	v_cndmask_b32_e64 v4, 0, v4, s16
	s_mov_b32 s16, exec_lo
	v_add_nc_u32_e32 v4, v4, v5
	v_and_b32_e32 v4, 0x1fffff, v4
	v_add_nc_u32_e32 v5, v4, v5
                                        ; implicit-def: $vgpr4
	v_cmpx_ne_u32_e64 v1, v3
	s_xor_b32 s16, exec_lo, s16
; %bb.617:                              ;   in Loop: Header=BB6_138 Depth=3
	v_cmp_lt_u32_e32 vcc_lo, 0xffffff, v5
	v_sub_nc_u32_e32 v1, v1, v3
	v_cndmask_b32_e64 v3, 0, 1, vcc_lo
	v_add_co_ci_u32_e64 v4, null, 0, v1, vcc_lo
	v_lshrrev_b32_e32 v5, v3, v5
; %bb.618:                              ;   in Loop: Header=BB6_138 Depth=3
	s_andn2_saveexec_b32 s16, s16
; %bb.619:                              ;   in Loop: Header=BB6_138 Depth=3
	v_bfe_u32 v4, v5, 23, 1
; %bb.620:                              ;   in Loop: Header=BB6_138 Depth=3
	s_or_b32 exec_lo, exec_lo, s16
	v_lshrrev_b32_e32 v1, 21, v5
	v_min_i32_e32 v3, 31, v4
	v_cmp_gt_i32_e32 vcc_lo, 32, v4
	v_and_b32_sdwa v0, v0, v117 dst_sel:DWORD dst_unused:UNUSED_PAD src0_sel:BYTE_3 src1_sel:DWORD
	v_lshlrev_b32_e32 v3, 2, v3
	v_cndmask_b32_e32 v1, 3, v1, vcc_lo
	v_and_b32_e32 v3, 0xfc, v3
	v_and_b32_e32 v5, 3, v1
	v_or_b32_e32 v1, v4, v1
	v_or3_b32 v0, v0, v3, v5
	v_cmp_ne_u32_e32 vcc_lo, 0, v1
	v_lshlrev_b32_e32 v0, 8, v0
	v_cndmask_b32_e32 v1, 0, v0, vcc_lo
.LBB6_621:                              ;   in Loop: Header=BB6_138 Depth=3
	s_or_b32 exec_lo, exec_lo, s73
.LBB6_622:                              ;   in Loop: Header=BB6_138 Depth=3
	s_or_b32 exec_lo, exec_lo, s72
	buffer_store_dword v1, off, s[0:3], s33 offset:404 ; 4-byte Folded Spill
	v_and_b32_sdwa v1, v8, v40 dst_sel:DWORD dst_unused:UNUSED_PAD src0_sel:WORD_1 src1_sel:DWORD
	s_mov_b32 s72, 0
	s_mov_b32 s16, exec_lo
	v_cmpx_lt_i16_e32 0x7f, v1
	s_xor_b32 s16, exec_lo, s16
	s_cbranch_execz .LBB6_2004
; %bb.623:                              ;   in Loop: Header=BB6_138 Depth=3
	s_mov_b32 s72, -1
	s_mov_b32 s73, exec_lo
	v_cmpx_eq_u16_e32 0x80, v1
; %bb.624:                              ;   in Loop: Header=BB6_138 Depth=3
	s_xor_b32 s72, exec_lo, -1
; %bb.625:                              ;   in Loop: Header=BB6_138 Depth=3
	s_or_b32 exec_lo, exec_lo, s73
	s_and_b32 s72, s72, exec_lo
                                        ; implicit-def: $vgpr1
	s_or_saveexec_b32 s16, s16
	v_mov_b32_e32 v0, 0x7f800001
	s_xor_b32 exec_lo, exec_lo, s16
	s_cbranch_execnz .LBB6_2005
.LBB6_626:                              ;   in Loop: Header=BB6_138 Depth=3
	s_or_b32 exec_lo, exec_lo, s16
	s_and_saveexec_b32 s16, s72
	s_cbranch_execz .LBB6_628
.LBB6_627:                              ;   in Loop: Header=BB6_138 Depth=3
	v_bfe_u32 v0, v8, 16, 2
	v_bfe_u32 v1, v8, 18, 5
	v_ffbh_u32_e32 v3, v0
	v_cmp_eq_u32_e32 vcc_lo, 0, v1
	v_min_u32_e32 v3, 32, v3
	v_subrev_nc_u32_e32 v4, 29, v3
	v_sub_nc_u32_e32 v3, 30, v3
	v_lshlrev_b32_sdwa v4, v4, v8 dst_sel:DWORD dst_unused:UNUSED_PAD src0_sel:DWORD src1_sel:WORD_1
	v_cndmask_b32_e32 v1, v1, v3, vcc_lo
	v_lshlrev_b32_e32 v3, 8, v8
	v_and_b32_e32 v4, 3, v4
	v_lshl_add_u32 v1, v1, 23, 0x37800000
	v_and_b32_e32 v3, 0x80000000, v3
	v_cndmask_b32_e32 v0, v0, v4, vcc_lo
	v_lshlrev_b32_e32 v0, 21, v0
	v_or3_b32 v0, v3, v1, v0
.LBB6_628:                              ;   in Loop: Header=BB6_138 Depth=3
	s_or_b32 exec_lo, exec_lo, s16
	v_mul_f32_e32 v0, s63, v0
	v_and_b32_e32 v1, 0x7f800000, v0
	v_cmp_ne_u32_e32 vcc_lo, 0x7f800000, v1
	v_mov_b32_e32 v1, 0x80
	buffer_store_dword v1, off, s[0:3], s33 offset:328 ; 4-byte Folded Spill
	s_and_saveexec_b32 s72, vcc_lo
	s_cbranch_execz .LBB6_636
; %bb.629:                              ;   in Loop: Header=BB6_138 Depth=3
	v_mov_b32_e32 v1, 0
	s_mov_b32 s73, exec_lo
	buffer_store_dword v1, off, s[0:3], s33 offset:328 ; 4-byte Folded Spill
	v_cmpx_ne_u32_e32 0, v0
	s_cbranch_execz .LBB6_635
; %bb.630:                              ;   in Loop: Header=BB6_138 Depth=3
	v_bfe_u32 v3, v0, 23, 8
	v_and_b32_e32 v1, 0x7fffff, v0
	v_cmp_gt_u32_e64 s16, 0x71, v3
	v_sub_nc_u32_e32 v4, 0x70, v3
	v_cmp_eq_u32_e32 vcc_lo, 0, v3
	v_or_b32_e32 v5, 0x800000, v1
	v_cndmask_b32_e64 v4, 0, v4, s16
	v_cndmask_b32_e32 v1, v5, v1, vcc_lo
	v_cndmask_b32_e64 v4, v4, 0x6f, vcc_lo
	v_lshl_add_u32 v5, 0x200000, v4, -1
	v_lshlrev_b32_e64 v6, v4, 0x100000
	v_and_b32_e32 v5, v5, v1
	v_cmp_eq_u32_e64 s16, v5, v6
	v_lshrrev_b32_e32 v5, v4, v1
	v_add_nc_u32_e32 v1, 0xffffff91, v3
	v_lshrrev_b32_e32 v3, 23, v5
	v_cndmask_b32_e64 v1, v1, 0xffffff92, vcc_lo
	v_xor_b32_e32 v3, 1, v3
	v_add_nc_u32_e32 v1, v4, v1
	v_bfe_u32 v4, v5, 21, 1
	v_add_nc_u32_e32 v4, -1, v4
	v_cndmask_b32_e64 v4, 0, v4, s16
	s_mov_b32 s16, exec_lo
	v_add_nc_u32_e32 v4, v4, v5
	v_and_b32_e32 v4, 0x1fffff, v4
	v_add_nc_u32_e32 v4, v4, v5
                                        ; implicit-def: $vgpr5
	v_cmpx_ne_u32_e64 v1, v3
	s_xor_b32 s16, exec_lo, s16
; %bb.631:                              ;   in Loop: Header=BB6_138 Depth=3
	v_cmp_lt_u32_e32 vcc_lo, 0xffffff, v4
	v_sub_nc_u32_e32 v1, v1, v3
	v_cndmask_b32_e64 v3, 0, 1, vcc_lo
	v_add_co_ci_u32_e64 v5, null, 0, v1, vcc_lo
	v_lshrrev_b32_e32 v4, v3, v4
; %bb.632:                              ;   in Loop: Header=BB6_138 Depth=3
	s_andn2_saveexec_b32 s16, s16
; %bb.633:                              ;   in Loop: Header=BB6_138 Depth=3
	v_bfe_u32 v5, v4, 23, 1
; %bb.634:                              ;   in Loop: Header=BB6_138 Depth=3
	s_or_b32 exec_lo, exec_lo, s16
	v_lshrrev_b32_e32 v1, 21, v4
	v_min_i32_e32 v3, 31, v5
	v_cmp_gt_i32_e32 vcc_lo, 32, v5
	v_and_b32_sdwa v0, v0, v117 dst_sel:DWORD dst_unused:UNUSED_PAD src0_sel:BYTE_3 src1_sel:DWORD
	v_lshlrev_b32_e32 v3, 2, v3
	v_cndmask_b32_e32 v1, 3, v1, vcc_lo
	v_and_b32_e32 v3, 0xfc, v3
	v_or_b32_e32 v4, v5, v1
	v_and_b32_e32 v1, 3, v1
	v_cmp_ne_u32_e32 vcc_lo, 0, v4
	v_or3_b32 v0, v3, v0, v1
	v_cndmask_b32_e32 v0, 0, v0, vcc_lo
	buffer_store_dword v0, off, s[0:3], s33 offset:328 ; 4-byte Folded Spill
.LBB6_635:                              ;   in Loop: Header=BB6_138 Depth=3
	s_or_b32 exec_lo, exec_lo, s73
.LBB6_636:                              ;   in Loop: Header=BB6_138 Depth=3
	s_or_b32 exec_lo, exec_lo, s72
	v_cmp_gt_i16_sdwa s72, v8, v116 src0_sel:BYTE_3 src1_sel:DWORD
	s_mov_b32 s16, 0
	s_and_saveexec_b32 s73, s72
	s_xor_b32 s72, exec_lo, s73
	s_cbranch_execz .LBB6_2006
; %bb.637:                              ;   in Loop: Header=BB6_138 Depth=3
	v_cmp_eq_u16_sdwa s74, v8, v117 src0_sel:BYTE_3 src1_sel:DWORD
	s_mov_b32 s16, -1
	s_and_saveexec_b32 s73, s74
; %bb.638:                              ;   in Loop: Header=BB6_138 Depth=3
	s_xor_b32 s16, exec_lo, -1
; %bb.639:                              ;   in Loop: Header=BB6_138 Depth=3
	s_or_b32 exec_lo, exec_lo, s73
	s_and_b32 s16, s16, exec_lo
	s_or_saveexec_b32 s72, s72
	v_mov_b32_e32 v0, 0x7f800001
	s_xor_b32 exec_lo, exec_lo, s72
	s_cbranch_execnz .LBB6_2007
.LBB6_640:                              ;   in Loop: Header=BB6_138 Depth=3
	s_or_b32 exec_lo, exec_lo, s72
	s_and_saveexec_b32 s72, s16
	s_cbranch_execz .LBB6_642
.LBB6_641:                              ;   in Loop: Header=BB6_138 Depth=3
	v_bfe_u32 v0, v8, 24, 2
	v_bfe_u32 v4, v8, 26, 5
	v_ffbh_u32_e32 v1, v0
	v_cmp_eq_u32_e32 vcc_lo, 0, v4
	v_min_u32_e32 v1, 32, v1
	v_subrev_nc_u32_e32 v3, 29, v1
	v_sub_nc_u32_e32 v1, 30, v1
	v_lshlrev_b32_sdwa v3, v3, v8 dst_sel:DWORD dst_unused:UNUSED_PAD src0_sel:DWORD src1_sel:BYTE_3
	v_cndmask_b32_e32 v1, v4, v1, vcc_lo
	v_and_b32_e32 v3, 3, v3
	v_lshl_add_u32 v1, v1, 23, 0x37800000
	v_cndmask_b32_e32 v0, v0, v3, vcc_lo
	v_and_b32_e32 v3, 0x80000000, v8
	v_lshlrev_b32_e32 v0, 21, v0
	v_or3_b32 v0, v3, v1, v0
.LBB6_642:                              ;   in Loop: Header=BB6_138 Depth=3
	s_or_b32 exec_lo, exec_lo, s72
	v_mul_f32_e32 v0, s63, v0
	v_mov_b32_e32 v7, 0x8000
	s_mov_b32 s72, exec_lo
	v_and_b32_e32 v1, 0x7f800000, v0
	v_cmpx_ne_u32_e32 0x7f800000, v1
	s_cbranch_execz .LBB6_650
; %bb.643:                              ;   in Loop: Header=BB6_138 Depth=3
	v_mov_b32_e32 v7, 0
	s_mov_b32 s73, exec_lo
	v_cmpx_ne_u32_e32 0, v0
	s_cbranch_execz .LBB6_649
; %bb.644:                              ;   in Loop: Header=BB6_138 Depth=3
	v_bfe_u32 v3, v0, 23, 8
	v_and_b32_e32 v1, 0x7fffff, v0
	v_cmp_gt_u32_e64 s16, 0x71, v3
	v_sub_nc_u32_e32 v4, 0x70, v3
	v_cmp_eq_u32_e32 vcc_lo, 0, v3
	v_or_b32_e32 v5, 0x800000, v1
	v_cndmask_b32_e64 v4, 0, v4, s16
	v_cndmask_b32_e32 v1, v5, v1, vcc_lo
	v_cndmask_b32_e64 v4, v4, 0x6f, vcc_lo
	v_lshl_add_u32 v5, 0x200000, v4, -1
	v_lshlrev_b32_e64 v6, v4, 0x100000
	v_and_b32_e32 v5, v5, v1
	v_cmp_eq_u32_e64 s16, v5, v6
	v_lshrrev_b32_e32 v5, v4, v1
	v_add_nc_u32_e32 v1, 0xffffff91, v3
	v_lshrrev_b32_e32 v3, 23, v5
	v_cndmask_b32_e64 v1, v1, 0xffffff92, vcc_lo
	v_xor_b32_e32 v3, 1, v3
	v_add_nc_u32_e32 v1, v4, v1
	v_bfe_u32 v4, v5, 21, 1
	v_add_nc_u32_e32 v4, -1, v4
	v_cndmask_b32_e64 v4, 0, v4, s16
	s_mov_b32 s16, exec_lo
	v_add_nc_u32_e32 v4, v4, v5
	v_and_b32_e32 v4, 0x1fffff, v4
	v_add_nc_u32_e32 v4, v4, v5
                                        ; implicit-def: $vgpr5
	v_cmpx_ne_u32_e64 v1, v3
	s_xor_b32 s16, exec_lo, s16
; %bb.645:                              ;   in Loop: Header=BB6_138 Depth=3
	v_cmp_lt_u32_e32 vcc_lo, 0xffffff, v4
	v_sub_nc_u32_e32 v1, v1, v3
	v_cndmask_b32_e64 v3, 0, 1, vcc_lo
	v_add_co_ci_u32_e64 v5, null, 0, v1, vcc_lo
	v_lshrrev_b32_e32 v4, v3, v4
; %bb.646:                              ;   in Loop: Header=BB6_138 Depth=3
	s_andn2_saveexec_b32 s16, s16
; %bb.647:                              ;   in Loop: Header=BB6_138 Depth=3
	v_bfe_u32 v5, v4, 23, 1
; %bb.648:                              ;   in Loop: Header=BB6_138 Depth=3
	s_or_b32 exec_lo, exec_lo, s16
	v_lshrrev_b32_e32 v1, 21, v4
	v_min_i32_e32 v3, 31, v5
	v_cmp_gt_i32_e32 vcc_lo, 32, v5
	v_and_b32_sdwa v0, v0, v117 dst_sel:DWORD dst_unused:UNUSED_PAD src0_sel:BYTE_3 src1_sel:DWORD
	v_lshlrev_b32_e32 v3, 2, v3
	v_cndmask_b32_e32 v1, 3, v1, vcc_lo
	v_and_b32_e32 v3, 0xfc, v3
	v_or_b32_e32 v4, v5, v1
	v_and_b32_e32 v1, 3, v1
	v_cmp_ne_u32_e32 vcc_lo, 0, v4
	v_or3_b32 v0, v0, v3, v1
	v_lshlrev_b32_e32 v0, 8, v0
	v_cndmask_b32_e32 v7, 0, v0, vcc_lo
.LBB6_649:                              ;   in Loop: Header=BB6_138 Depth=3
	s_or_b32 exec_lo, exec_lo, s73
.LBB6_650:                              ;   in Loop: Header=BB6_138 Depth=3
	s_or_b32 exec_lo, exec_lo, s72
	v_cmp_gt_i16_sdwa s16, v9, v116 src0_sel:BYTE_0 src1_sel:DWORD
	s_mov_b32 s72, 0
	s_and_saveexec_b32 s73, s16
	s_xor_b32 s16, exec_lo, s73
	s_cbranch_execz .LBB6_2008
; %bb.651:                              ;   in Loop: Header=BB6_138 Depth=3
	v_cmp_eq_u16_sdwa s74, v9, v117 src0_sel:BYTE_0 src1_sel:DWORD
	s_mov_b32 s72, -1
	s_and_saveexec_b32 s73, s74
; %bb.652:                              ;   in Loop: Header=BB6_138 Depth=3
	s_xor_b32 s72, exec_lo, -1
; %bb.653:                              ;   in Loop: Header=BB6_138 Depth=3
	s_or_b32 exec_lo, exec_lo, s73
	s_and_b32 s72, s72, exec_lo
	s_or_saveexec_b32 s16, s16
	v_mov_b32_e32 v0, 0x7f800001
	s_xor_b32 exec_lo, exec_lo, s16
	s_cbranch_execnz .LBB6_2009
.LBB6_654:                              ;   in Loop: Header=BB6_138 Depth=3
	s_or_b32 exec_lo, exec_lo, s16
	s_and_saveexec_b32 s16, s72
	s_cbranch_execz .LBB6_656
.LBB6_655:                              ;   in Loop: Header=BB6_138 Depth=3
	v_and_b32_e32 v0, 3, v9
	v_bfe_u32 v1, v9, 2, 5
	v_ffbh_u32_e32 v3, v0
	v_cmp_eq_u32_e32 vcc_lo, 0, v1
	v_min_u32_e32 v3, 32, v3
	v_subrev_nc_u32_e32 v4, 29, v3
	v_sub_nc_u32_e32 v3, 30, v3
	v_lshlrev_b32_e32 v4, v4, v9
	v_cndmask_b32_e32 v1, v1, v3, vcc_lo
	v_lshlrev_b32_e32 v3, 24, v9
	v_and_b32_e32 v4, 3, v4
	v_lshl_add_u32 v1, v1, 23, 0x37800000
	v_and_b32_e32 v3, 0x80000000, v3
	v_cndmask_b32_e32 v0, v0, v4, vcc_lo
	v_lshlrev_b32_e32 v0, 21, v0
	v_or3_b32 v0, v3, v1, v0
.LBB6_656:                              ;   in Loop: Header=BB6_138 Depth=3
	s_or_b32 exec_lo, exec_lo, s16
	v_mul_f32_e32 v0, s63, v0
	v_mov_b32_e32 v8, 0x80
	s_mov_b32 s72, exec_lo
	v_and_b32_e32 v1, 0x7f800000, v0
	v_cmpx_ne_u32_e32 0x7f800000, v1
	s_cbranch_execz .LBB6_664
; %bb.657:                              ;   in Loop: Header=BB6_138 Depth=3
	v_mov_b32_e32 v8, 0
	s_mov_b32 s73, exec_lo
	v_cmpx_ne_u32_e32 0, v0
	s_cbranch_execz .LBB6_663
; %bb.658:                              ;   in Loop: Header=BB6_138 Depth=3
	v_bfe_u32 v3, v0, 23, 8
	v_and_b32_e32 v1, 0x7fffff, v0
	v_cmp_gt_u32_e64 s16, 0x71, v3
	v_sub_nc_u32_e32 v4, 0x70, v3
	v_cmp_eq_u32_e32 vcc_lo, 0, v3
	v_or_b32_e32 v5, 0x800000, v1
	v_cndmask_b32_e64 v4, 0, v4, s16
	v_cndmask_b32_e32 v1, v5, v1, vcc_lo
	v_cndmask_b32_e64 v4, v4, 0x6f, vcc_lo
	v_lshl_add_u32 v5, 0x200000, v4, -1
	v_lshlrev_b32_e64 v6, v4, 0x100000
	v_and_b32_e32 v5, v5, v1
	v_cmp_eq_u32_e64 s16, v5, v6
	v_lshrrev_b32_e32 v5, v4, v1
	v_add_nc_u32_e32 v1, 0xffffff91, v3
	v_lshrrev_b32_e32 v3, 23, v5
	v_cndmask_b32_e64 v1, v1, 0xffffff92, vcc_lo
	v_xor_b32_e32 v3, 1, v3
	v_add_nc_u32_e32 v1, v4, v1
	v_bfe_u32 v4, v5, 21, 1
	v_add_nc_u32_e32 v4, -1, v4
	v_cndmask_b32_e64 v4, 0, v4, s16
	s_mov_b32 s16, exec_lo
	v_add_nc_u32_e32 v4, v4, v5
	v_and_b32_e32 v4, 0x1fffff, v4
	v_add_nc_u32_e32 v4, v4, v5
                                        ; implicit-def: $vgpr5
	v_cmpx_ne_u32_e64 v1, v3
	s_xor_b32 s16, exec_lo, s16
; %bb.659:                              ;   in Loop: Header=BB6_138 Depth=3
	v_cmp_lt_u32_e32 vcc_lo, 0xffffff, v4
	v_sub_nc_u32_e32 v1, v1, v3
	v_cndmask_b32_e64 v3, 0, 1, vcc_lo
	v_add_co_ci_u32_e64 v5, null, 0, v1, vcc_lo
	v_lshrrev_b32_e32 v4, v3, v4
; %bb.660:                              ;   in Loop: Header=BB6_138 Depth=3
	s_andn2_saveexec_b32 s16, s16
; %bb.661:                              ;   in Loop: Header=BB6_138 Depth=3
	v_bfe_u32 v5, v4, 23, 1
; %bb.662:                              ;   in Loop: Header=BB6_138 Depth=3
	s_or_b32 exec_lo, exec_lo, s16
	v_lshrrev_b32_e32 v1, 21, v4
	v_min_i32_e32 v3, 31, v5
	v_cmp_gt_i32_e32 vcc_lo, 32, v5
	v_and_b32_sdwa v0, v0, v117 dst_sel:DWORD dst_unused:UNUSED_PAD src0_sel:BYTE_3 src1_sel:DWORD
	v_lshlrev_b32_e32 v3, 2, v3
	v_cndmask_b32_e32 v1, 3, v1, vcc_lo
	v_and_b32_e32 v3, 0xfc, v3
	v_or_b32_e32 v4, v5, v1
	v_and_b32_e32 v1, 3, v1
	v_cmp_ne_u32_e32 vcc_lo, 0, v4
	v_or3_b32 v0, v3, v0, v1
	v_cndmask_b32_e32 v8, 0, v0, vcc_lo
.LBB6_663:                              ;   in Loop: Header=BB6_138 Depth=3
	s_or_b32 exec_lo, exec_lo, s73
.LBB6_664:                              ;   in Loop: Header=BB6_138 Depth=3
	s_or_b32 exec_lo, exec_lo, s72
	v_cmp_gt_i16_sdwa s72, v9, v116 src0_sel:BYTE_1 src1_sel:DWORD
	s_mov_b32 s16, 0
	s_and_saveexec_b32 s73, s72
	s_xor_b32 s72, exec_lo, s73
	s_cbranch_execz .LBB6_2010
; %bb.665:                              ;   in Loop: Header=BB6_138 Depth=3
	v_cmp_eq_u16_sdwa s74, v9, v117 src0_sel:BYTE_1 src1_sel:DWORD
	s_mov_b32 s16, -1
	s_and_saveexec_b32 s73, s74
; %bb.666:                              ;   in Loop: Header=BB6_138 Depth=3
	s_xor_b32 s16, exec_lo, -1
; %bb.667:                              ;   in Loop: Header=BB6_138 Depth=3
	s_or_b32 exec_lo, exec_lo, s73
	s_and_b32 s16, s16, exec_lo
	s_or_saveexec_b32 s72, s72
	v_mov_b32_e32 v0, 0x7f800001
	s_xor_b32 exec_lo, exec_lo, s72
	s_cbranch_execnz .LBB6_2011
.LBB6_668:                              ;   in Loop: Header=BB6_138 Depth=3
	s_or_b32 exec_lo, exec_lo, s72
	s_and_saveexec_b32 s72, s16
	s_cbranch_execz .LBB6_670
.LBB6_669:                              ;   in Loop: Header=BB6_138 Depth=3
	v_and_b32_sdwa v0, v118, v9 dst_sel:DWORD dst_unused:UNUSED_PAD src0_sel:DWORD src1_sel:BYTE_1
	v_and_b32_e32 v1, 3, v0
	v_bfe_u32 v5, v0, 2, 5
	v_ffbh_u32_e32 v3, v1
	v_cmp_eq_u32_e32 vcc_lo, 0, v5
	v_min_u32_e32 v3, 32, v3
	v_subrev_nc_u32_e32 v4, 29, v3
	v_sub_nc_u32_e32 v3, 30, v3
	v_lshlrev_b32_e32 v0, v4, v0
	v_lshlrev_b32_sdwa v4, v119, v9 dst_sel:DWORD dst_unused:UNUSED_PAD src0_sel:DWORD src1_sel:BYTE_1
	v_cndmask_b32_e32 v3, v5, v3, vcc_lo
	v_and_b32_e32 v0, 3, v0
	v_lshl_add_u32 v3, v3, 23, 0x37800000
	v_cndmask_b32_e32 v0, v1, v0, vcc_lo
	v_and_b32_e32 v1, 0x80000000, v4
	v_lshlrev_b32_e32 v0, 21, v0
	v_or3_b32 v0, v1, v3, v0
.LBB6_670:                              ;   in Loop: Header=BB6_138 Depth=3
	s_or_b32 exec_lo, exec_lo, s72
	v_mul_f32_e32 v0, s63, v0
	v_and_b32_e32 v1, 0x7f800000, v0
	v_cmp_ne_u32_e32 vcc_lo, 0x7f800000, v1
	v_mov_b32_e32 v1, 0x8000
	s_and_saveexec_b32 s72, vcc_lo
	s_cbranch_execz .LBB6_678
; %bb.671:                              ;   in Loop: Header=BB6_138 Depth=3
	v_mov_b32_e32 v1, 0
	s_mov_b32 s73, exec_lo
	v_cmpx_ne_u32_e32 0, v0
	s_cbranch_execz .LBB6_677
; %bb.672:                              ;   in Loop: Header=BB6_138 Depth=3
	v_bfe_u32 v3, v0, 23, 8
	v_and_b32_e32 v1, 0x7fffff, v0
	v_cmp_gt_u32_e64 s16, 0x71, v3
	v_sub_nc_u32_e32 v4, 0x70, v3
	v_cmp_eq_u32_e32 vcc_lo, 0, v3
	v_or_b32_e32 v5, 0x800000, v1
	v_cndmask_b32_e64 v4, 0, v4, s16
	v_cndmask_b32_e32 v1, v5, v1, vcc_lo
	v_cndmask_b32_e64 v4, v4, 0x6f, vcc_lo
	v_lshl_add_u32 v5, 0x200000, v4, -1
	v_lshlrev_b32_e64 v6, v4, 0x100000
	v_and_b32_e32 v5, v5, v1
	v_cmp_eq_u32_e64 s16, v5, v6
	v_lshrrev_b32_e32 v5, v4, v1
	v_add_nc_u32_e32 v1, 0xffffff91, v3
	v_lshrrev_b32_e32 v3, 23, v5
	v_cndmask_b32_e64 v1, v1, 0xffffff92, vcc_lo
	v_xor_b32_e32 v3, 1, v3
	v_add_nc_u32_e32 v1, v4, v1
	v_bfe_u32 v4, v5, 21, 1
	v_add_nc_u32_e32 v4, -1, v4
	v_cndmask_b32_e64 v4, 0, v4, s16
	s_mov_b32 s16, exec_lo
	v_add_nc_u32_e32 v4, v4, v5
	v_and_b32_e32 v4, 0x1fffff, v4
	v_add_nc_u32_e32 v4, v4, v5
                                        ; implicit-def: $vgpr5
	v_cmpx_ne_u32_e64 v1, v3
	s_xor_b32 s16, exec_lo, s16
; %bb.673:                              ;   in Loop: Header=BB6_138 Depth=3
	v_cmp_lt_u32_e32 vcc_lo, 0xffffff, v4
	v_sub_nc_u32_e32 v1, v1, v3
	v_cndmask_b32_e64 v3, 0, 1, vcc_lo
	v_add_co_ci_u32_e64 v5, null, 0, v1, vcc_lo
	v_lshrrev_b32_e32 v4, v3, v4
; %bb.674:                              ;   in Loop: Header=BB6_138 Depth=3
	s_andn2_saveexec_b32 s16, s16
; %bb.675:                              ;   in Loop: Header=BB6_138 Depth=3
	v_bfe_u32 v5, v4, 23, 1
; %bb.676:                              ;   in Loop: Header=BB6_138 Depth=3
	s_or_b32 exec_lo, exec_lo, s16
	v_lshrrev_b32_e32 v1, 21, v4
	v_min_i32_e32 v3, 31, v5
	v_cmp_gt_i32_e32 vcc_lo, 32, v5
	v_and_b32_sdwa v0, v0, v117 dst_sel:DWORD dst_unused:UNUSED_PAD src0_sel:BYTE_3 src1_sel:DWORD
	v_lshlrev_b32_e32 v3, 2, v3
	v_cndmask_b32_e32 v1, 3, v1, vcc_lo
	v_and_b32_e32 v3, 0xfc, v3
	v_or_b32_e32 v4, v5, v1
	v_and_b32_e32 v1, 3, v1
	v_cmp_ne_u32_e32 vcc_lo, 0, v4
	v_or3_b32 v0, v0, v3, v1
	v_lshlrev_b32_e32 v0, 8, v0
	v_cndmask_b32_e32 v1, 0, v0, vcc_lo
.LBB6_677:                              ;   in Loop: Header=BB6_138 Depth=3
	s_or_b32 exec_lo, exec_lo, s73
.LBB6_678:                              ;   in Loop: Header=BB6_138 Depth=3
	s_or_b32 exec_lo, exec_lo, s72
	buffer_store_dword v1, off, s[0:3], s33 offset:416 ; 4-byte Folded Spill
	v_and_b32_sdwa v1, v9, v40 dst_sel:DWORD dst_unused:UNUSED_PAD src0_sel:WORD_1 src1_sel:DWORD
	s_mov_b32 s72, 0
	s_mov_b32 s16, exec_lo
	v_cmpx_lt_i16_e32 0x7f, v1
	s_xor_b32 s16, exec_lo, s16
	s_cbranch_execz .LBB6_2012
; %bb.679:                              ;   in Loop: Header=BB6_138 Depth=3
	s_mov_b32 s72, -1
	s_mov_b32 s73, exec_lo
	v_cmpx_eq_u16_e32 0x80, v1
; %bb.680:                              ;   in Loop: Header=BB6_138 Depth=3
	s_xor_b32 s72, exec_lo, -1
; %bb.681:                              ;   in Loop: Header=BB6_138 Depth=3
	s_or_b32 exec_lo, exec_lo, s73
	s_and_b32 s72, s72, exec_lo
                                        ; implicit-def: $vgpr1
	s_or_saveexec_b32 s16, s16
	v_mov_b32_e32 v0, 0x7f800001
	s_xor_b32 exec_lo, exec_lo, s16
	s_cbranch_execnz .LBB6_2013
.LBB6_682:                              ;   in Loop: Header=BB6_138 Depth=3
	s_or_b32 exec_lo, exec_lo, s16
	s_and_saveexec_b32 s16, s72
	s_cbranch_execz .LBB6_684
.LBB6_683:                              ;   in Loop: Header=BB6_138 Depth=3
	v_bfe_u32 v0, v9, 16, 2
	v_bfe_u32 v1, v9, 18, 5
	v_ffbh_u32_e32 v3, v0
	v_cmp_eq_u32_e32 vcc_lo, 0, v1
	v_min_u32_e32 v3, 32, v3
	v_subrev_nc_u32_e32 v4, 29, v3
	v_sub_nc_u32_e32 v3, 30, v3
	v_lshlrev_b32_sdwa v4, v4, v9 dst_sel:DWORD dst_unused:UNUSED_PAD src0_sel:DWORD src1_sel:WORD_1
	v_cndmask_b32_e32 v1, v1, v3, vcc_lo
	v_lshlrev_b32_e32 v3, 8, v9
	v_and_b32_e32 v4, 3, v4
	v_lshl_add_u32 v1, v1, 23, 0x37800000
	v_and_b32_e32 v3, 0x80000000, v3
	v_cndmask_b32_e32 v0, v0, v4, vcc_lo
	v_lshlrev_b32_e32 v0, 21, v0
	v_or3_b32 v0, v3, v1, v0
.LBB6_684:                              ;   in Loop: Header=BB6_138 Depth=3
	s_or_b32 exec_lo, exec_lo, s16
	v_mul_f32_e32 v0, s63, v0
	v_mov_b32_e32 v26, 0x80
	s_mov_b32 s72, exec_lo
	v_and_b32_e32 v1, 0x7f800000, v0
	v_cmpx_ne_u32_e32 0x7f800000, v1
	s_cbranch_execz .LBB6_692
; %bb.685:                              ;   in Loop: Header=BB6_138 Depth=3
	v_mov_b32_e32 v26, 0
	s_mov_b32 s73, exec_lo
	v_cmpx_ne_u32_e32 0, v0
	s_cbranch_execz .LBB6_691
; %bb.686:                              ;   in Loop: Header=BB6_138 Depth=3
	v_bfe_u32 v3, v0, 23, 8
	v_and_b32_e32 v1, 0x7fffff, v0
	v_cmp_gt_u32_e64 s16, 0x71, v3
	v_sub_nc_u32_e32 v4, 0x70, v3
	v_cmp_eq_u32_e32 vcc_lo, 0, v3
	v_or_b32_e32 v5, 0x800000, v1
	v_cndmask_b32_e64 v4, 0, v4, s16
	v_cndmask_b32_e32 v1, v5, v1, vcc_lo
	v_cndmask_b32_e64 v4, v4, 0x6f, vcc_lo
	v_lshl_add_u32 v5, 0x200000, v4, -1
	v_lshlrev_b32_e64 v6, v4, 0x100000
	v_and_b32_e32 v5, v5, v1
	v_cmp_eq_u32_e64 s16, v5, v6
	v_lshrrev_b32_e32 v5, v4, v1
	v_add_nc_u32_e32 v1, 0xffffff91, v3
	v_lshrrev_b32_e32 v3, 23, v5
	v_cndmask_b32_e64 v1, v1, 0xffffff92, vcc_lo
	v_xor_b32_e32 v3, 1, v3
	v_add_nc_u32_e32 v1, v4, v1
	v_bfe_u32 v4, v5, 21, 1
	v_add_nc_u32_e32 v4, -1, v4
	v_cndmask_b32_e64 v4, 0, v4, s16
	s_mov_b32 s16, exec_lo
	v_add_nc_u32_e32 v4, v4, v5
	v_and_b32_e32 v4, 0x1fffff, v4
	v_add_nc_u32_e32 v4, v4, v5
                                        ; implicit-def: $vgpr5
	v_cmpx_ne_u32_e64 v1, v3
	s_xor_b32 s16, exec_lo, s16
; %bb.687:                              ;   in Loop: Header=BB6_138 Depth=3
	v_cmp_lt_u32_e32 vcc_lo, 0xffffff, v4
	v_sub_nc_u32_e32 v1, v1, v3
	v_cndmask_b32_e64 v3, 0, 1, vcc_lo
	v_add_co_ci_u32_e64 v5, null, 0, v1, vcc_lo
	v_lshrrev_b32_e32 v4, v3, v4
; %bb.688:                              ;   in Loop: Header=BB6_138 Depth=3
	s_andn2_saveexec_b32 s16, s16
; %bb.689:                              ;   in Loop: Header=BB6_138 Depth=3
	v_bfe_u32 v5, v4, 23, 1
; %bb.690:                              ;   in Loop: Header=BB6_138 Depth=3
	s_or_b32 exec_lo, exec_lo, s16
	v_lshrrev_b32_e32 v1, 21, v4
	v_min_i32_e32 v3, 31, v5
	v_cmp_gt_i32_e32 vcc_lo, 32, v5
	v_and_b32_sdwa v0, v0, v117 dst_sel:DWORD dst_unused:UNUSED_PAD src0_sel:BYTE_3 src1_sel:DWORD
	v_lshlrev_b32_e32 v3, 2, v3
	v_cndmask_b32_e32 v1, 3, v1, vcc_lo
	v_and_b32_e32 v3, 0xfc, v3
	v_or_b32_e32 v4, v5, v1
	v_and_b32_e32 v1, 3, v1
	v_cmp_ne_u32_e32 vcc_lo, 0, v4
	v_or3_b32 v0, v3, v0, v1
	v_cndmask_b32_e32 v26, 0, v0, vcc_lo
.LBB6_691:                              ;   in Loop: Header=BB6_138 Depth=3
	s_or_b32 exec_lo, exec_lo, s73
.LBB6_692:                              ;   in Loop: Header=BB6_138 Depth=3
	s_or_b32 exec_lo, exec_lo, s72
	v_cmp_gt_i16_sdwa s72, v9, v116 src0_sel:BYTE_3 src1_sel:DWORD
	s_mov_b32 s16, 0
	s_and_saveexec_b32 s73, s72
	s_xor_b32 s72, exec_lo, s73
	s_cbranch_execz .LBB6_2014
; %bb.693:                              ;   in Loop: Header=BB6_138 Depth=3
	v_cmp_eq_u16_sdwa s74, v9, v117 src0_sel:BYTE_3 src1_sel:DWORD
	s_mov_b32 s16, -1
	s_and_saveexec_b32 s73, s74
; %bb.694:                              ;   in Loop: Header=BB6_138 Depth=3
	s_xor_b32 s16, exec_lo, -1
; %bb.695:                              ;   in Loop: Header=BB6_138 Depth=3
	s_or_b32 exec_lo, exec_lo, s73
	s_and_b32 s16, s16, exec_lo
	s_or_saveexec_b32 s72, s72
	v_mov_b32_e32 v0, 0x7f800001
	s_xor_b32 exec_lo, exec_lo, s72
	s_cbranch_execnz .LBB6_2015
.LBB6_696:                              ;   in Loop: Header=BB6_138 Depth=3
	s_or_b32 exec_lo, exec_lo, s72
	s_and_saveexec_b32 s72, s16
	s_cbranch_execz .LBB6_698
.LBB6_697:                              ;   in Loop: Header=BB6_138 Depth=3
	v_bfe_u32 v0, v9, 24, 2
	v_bfe_u32 v4, v9, 26, 5
	v_ffbh_u32_e32 v1, v0
	v_cmp_eq_u32_e32 vcc_lo, 0, v4
	v_min_u32_e32 v1, 32, v1
	v_subrev_nc_u32_e32 v3, 29, v1
	v_sub_nc_u32_e32 v1, 30, v1
	v_lshlrev_b32_sdwa v3, v3, v9 dst_sel:DWORD dst_unused:UNUSED_PAD src0_sel:DWORD src1_sel:BYTE_3
	v_cndmask_b32_e32 v1, v4, v1, vcc_lo
	v_and_b32_e32 v3, 3, v3
	v_lshl_add_u32 v1, v1, 23, 0x37800000
	v_cndmask_b32_e32 v0, v0, v3, vcc_lo
	v_and_b32_e32 v3, 0x80000000, v9
	v_lshlrev_b32_e32 v0, 21, v0
	v_or3_b32 v0, v3, v1, v0
.LBB6_698:                              ;   in Loop: Header=BB6_138 Depth=3
	s_or_b32 exec_lo, exec_lo, s72
	v_mul_f32_e32 v0, s63, v0
	v_mov_b32_e32 v27, 0x8000
	s_mov_b32 s72, exec_lo
	v_and_b32_e32 v1, 0x7f800000, v0
	v_cmpx_ne_u32_e32 0x7f800000, v1
	s_cbranch_execz .LBB6_706
; %bb.699:                              ;   in Loop: Header=BB6_138 Depth=3
	v_mov_b32_e32 v27, 0
	s_mov_b32 s73, exec_lo
	v_cmpx_ne_u32_e32 0, v0
	s_cbranch_execz .LBB6_705
; %bb.700:                              ;   in Loop: Header=BB6_138 Depth=3
	v_bfe_u32 v3, v0, 23, 8
	v_and_b32_e32 v1, 0x7fffff, v0
	v_cmp_gt_u32_e64 s16, 0x71, v3
	v_sub_nc_u32_e32 v4, 0x70, v3
	v_cmp_eq_u32_e32 vcc_lo, 0, v3
	v_or_b32_e32 v5, 0x800000, v1
	v_cndmask_b32_e64 v4, 0, v4, s16
	v_cndmask_b32_e32 v1, v5, v1, vcc_lo
	v_cndmask_b32_e64 v4, v4, 0x6f, vcc_lo
	v_lshl_add_u32 v5, 0x200000, v4, -1
	v_lshlrev_b32_e64 v6, v4, 0x100000
	v_and_b32_e32 v5, v5, v1
	v_cmp_eq_u32_e64 s16, v5, v6
	v_lshrrev_b32_e32 v5, v4, v1
	v_add_nc_u32_e32 v1, 0xffffff91, v3
	v_lshrrev_b32_e32 v3, 23, v5
	v_cndmask_b32_e64 v1, v1, 0xffffff92, vcc_lo
	v_xor_b32_e32 v3, 1, v3
	v_add_nc_u32_e32 v1, v4, v1
	v_bfe_u32 v4, v5, 21, 1
	v_add_nc_u32_e32 v4, -1, v4
	v_cndmask_b32_e64 v4, 0, v4, s16
	s_mov_b32 s16, exec_lo
	v_add_nc_u32_e32 v4, v4, v5
	v_and_b32_e32 v4, 0x1fffff, v4
	v_add_nc_u32_e32 v4, v4, v5
                                        ; implicit-def: $vgpr5
	v_cmpx_ne_u32_e64 v1, v3
	s_xor_b32 s16, exec_lo, s16
; %bb.701:                              ;   in Loop: Header=BB6_138 Depth=3
	v_cmp_lt_u32_e32 vcc_lo, 0xffffff, v4
	v_sub_nc_u32_e32 v1, v1, v3
	v_cndmask_b32_e64 v3, 0, 1, vcc_lo
	v_add_co_ci_u32_e64 v5, null, 0, v1, vcc_lo
	v_lshrrev_b32_e32 v4, v3, v4
; %bb.702:                              ;   in Loop: Header=BB6_138 Depth=3
	s_andn2_saveexec_b32 s16, s16
; %bb.703:                              ;   in Loop: Header=BB6_138 Depth=3
	v_bfe_u32 v5, v4, 23, 1
; %bb.704:                              ;   in Loop: Header=BB6_138 Depth=3
	s_or_b32 exec_lo, exec_lo, s16
	v_lshrrev_b32_e32 v1, 21, v4
	v_min_i32_e32 v3, 31, v5
	v_cmp_gt_i32_e32 vcc_lo, 32, v5
	v_and_b32_sdwa v0, v0, v117 dst_sel:DWORD dst_unused:UNUSED_PAD src0_sel:BYTE_3 src1_sel:DWORD
	v_lshlrev_b32_e32 v3, 2, v3
	v_cndmask_b32_e32 v1, 3, v1, vcc_lo
	v_and_b32_e32 v3, 0xfc, v3
	v_or_b32_e32 v4, v5, v1
	v_and_b32_e32 v1, 3, v1
	v_cmp_ne_u32_e32 vcc_lo, 0, v4
	v_or3_b32 v0, v0, v3, v1
	v_lshlrev_b32_e32 v0, 8, v0
	v_cndmask_b32_e32 v27, 0, v0, vcc_lo
.LBB6_705:                              ;   in Loop: Header=BB6_138 Depth=3
	s_or_b32 exec_lo, exec_lo, s73
.LBB6_706:                              ;   in Loop: Header=BB6_138 Depth=3
	s_or_b32 exec_lo, exec_lo, s72
	v_cmp_gt_i16_sdwa s16, v10, v116 src0_sel:BYTE_0 src1_sel:DWORD
	s_mov_b32 s72, 0
	s_and_saveexec_b32 s73, s16
	s_xor_b32 s16, exec_lo, s73
	s_cbranch_execz .LBB6_2016
; %bb.707:                              ;   in Loop: Header=BB6_138 Depth=3
	v_cmp_eq_u16_sdwa s74, v10, v117 src0_sel:BYTE_0 src1_sel:DWORD
	s_mov_b32 s72, -1
	s_and_saveexec_b32 s73, s74
; %bb.708:                              ;   in Loop: Header=BB6_138 Depth=3
	s_xor_b32 s72, exec_lo, -1
; %bb.709:                              ;   in Loop: Header=BB6_138 Depth=3
	s_or_b32 exec_lo, exec_lo, s73
	s_and_b32 s72, s72, exec_lo
	s_or_saveexec_b32 s16, s16
	v_mov_b32_e32 v0, 0x7f800001
	s_xor_b32 exec_lo, exec_lo, s16
	s_cbranch_execnz .LBB6_2017
.LBB6_710:                              ;   in Loop: Header=BB6_138 Depth=3
	s_or_b32 exec_lo, exec_lo, s16
	s_and_saveexec_b32 s16, s72
	s_cbranch_execz .LBB6_712
.LBB6_711:                              ;   in Loop: Header=BB6_138 Depth=3
	v_and_b32_e32 v0, 3, v10
	v_bfe_u32 v1, v10, 2, 5
	v_ffbh_u32_e32 v3, v0
	v_cmp_eq_u32_e32 vcc_lo, 0, v1
	v_min_u32_e32 v3, 32, v3
	v_subrev_nc_u32_e32 v4, 29, v3
	v_sub_nc_u32_e32 v3, 30, v3
	v_lshlrev_b32_e32 v4, v4, v10
	v_cndmask_b32_e32 v1, v1, v3, vcc_lo
	v_lshlrev_b32_e32 v3, 24, v10
	v_and_b32_e32 v4, 3, v4
	v_lshl_add_u32 v1, v1, 23, 0x37800000
	v_and_b32_e32 v3, 0x80000000, v3
	v_cndmask_b32_e32 v0, v0, v4, vcc_lo
	v_lshlrev_b32_e32 v0, 21, v0
	v_or3_b32 v0, v3, v1, v0
.LBB6_712:                              ;   in Loop: Header=BB6_138 Depth=3
	s_or_b32 exec_lo, exec_lo, s16
	v_mul_f32_e32 v0, s63, v0
	v_mov_b32_e32 v30, 0x80
	s_mov_b32 s72, exec_lo
	v_and_b32_e32 v1, 0x7f800000, v0
	v_cmpx_ne_u32_e32 0x7f800000, v1
	s_cbranch_execz .LBB6_720
; %bb.713:                              ;   in Loop: Header=BB6_138 Depth=3
	v_mov_b32_e32 v30, 0
	s_mov_b32 s73, exec_lo
	v_cmpx_ne_u32_e32 0, v0
	s_cbranch_execz .LBB6_719
; %bb.714:                              ;   in Loop: Header=BB6_138 Depth=3
	v_bfe_u32 v3, v0, 23, 8
	v_and_b32_e32 v1, 0x7fffff, v0
	v_cmp_gt_u32_e64 s16, 0x71, v3
	v_sub_nc_u32_e32 v4, 0x70, v3
	v_cmp_eq_u32_e32 vcc_lo, 0, v3
	v_or_b32_e32 v5, 0x800000, v1
	v_cndmask_b32_e64 v4, 0, v4, s16
	v_cndmask_b32_e32 v1, v5, v1, vcc_lo
	v_cndmask_b32_e64 v4, v4, 0x6f, vcc_lo
	v_lshl_add_u32 v5, 0x200000, v4, -1
	v_lshlrev_b32_e64 v6, v4, 0x100000
	v_and_b32_e32 v5, v5, v1
	v_cmp_eq_u32_e64 s16, v5, v6
	v_lshrrev_b32_e32 v5, v4, v1
	v_add_nc_u32_e32 v1, 0xffffff91, v3
	v_lshrrev_b32_e32 v3, 23, v5
	v_cndmask_b32_e64 v1, v1, 0xffffff92, vcc_lo
	v_xor_b32_e32 v3, 1, v3
	v_add_nc_u32_e32 v1, v4, v1
	v_bfe_u32 v4, v5, 21, 1
	v_add_nc_u32_e32 v4, -1, v4
	v_cndmask_b32_e64 v4, 0, v4, s16
	s_mov_b32 s16, exec_lo
	v_add_nc_u32_e32 v4, v4, v5
	v_and_b32_e32 v4, 0x1fffff, v4
	v_add_nc_u32_e32 v4, v4, v5
                                        ; implicit-def: $vgpr5
	v_cmpx_ne_u32_e64 v1, v3
	s_xor_b32 s16, exec_lo, s16
; %bb.715:                              ;   in Loop: Header=BB6_138 Depth=3
	v_cmp_lt_u32_e32 vcc_lo, 0xffffff, v4
	v_sub_nc_u32_e32 v1, v1, v3
	v_cndmask_b32_e64 v3, 0, 1, vcc_lo
	v_add_co_ci_u32_e64 v5, null, 0, v1, vcc_lo
	v_lshrrev_b32_e32 v4, v3, v4
; %bb.716:                              ;   in Loop: Header=BB6_138 Depth=3
	s_andn2_saveexec_b32 s16, s16
; %bb.717:                              ;   in Loop: Header=BB6_138 Depth=3
	v_bfe_u32 v5, v4, 23, 1
; %bb.718:                              ;   in Loop: Header=BB6_138 Depth=3
	s_or_b32 exec_lo, exec_lo, s16
	v_lshrrev_b32_e32 v1, 21, v4
	v_min_i32_e32 v3, 31, v5
	v_cmp_gt_i32_e32 vcc_lo, 32, v5
	v_and_b32_sdwa v0, v0, v117 dst_sel:DWORD dst_unused:UNUSED_PAD src0_sel:BYTE_3 src1_sel:DWORD
	v_lshlrev_b32_e32 v3, 2, v3
	v_cndmask_b32_e32 v1, 3, v1, vcc_lo
	v_and_b32_e32 v3, 0xfc, v3
	v_or_b32_e32 v4, v5, v1
	v_and_b32_e32 v1, 3, v1
	v_cmp_ne_u32_e32 vcc_lo, 0, v4
	v_or3_b32 v0, v3, v0, v1
	v_cndmask_b32_e32 v30, 0, v0, vcc_lo
.LBB6_719:                              ;   in Loop: Header=BB6_138 Depth=3
	s_or_b32 exec_lo, exec_lo, s73
.LBB6_720:                              ;   in Loop: Header=BB6_138 Depth=3
	s_or_b32 exec_lo, exec_lo, s72
	v_cmp_gt_i16_sdwa s72, v10, v116 src0_sel:BYTE_1 src1_sel:DWORD
	s_mov_b32 s16, 0
	s_and_saveexec_b32 s73, s72
	s_xor_b32 s72, exec_lo, s73
	s_cbranch_execz .LBB6_2018
; %bb.721:                              ;   in Loop: Header=BB6_138 Depth=3
	v_cmp_eq_u16_sdwa s74, v10, v117 src0_sel:BYTE_1 src1_sel:DWORD
	s_mov_b32 s16, -1
	s_and_saveexec_b32 s73, s74
; %bb.722:                              ;   in Loop: Header=BB6_138 Depth=3
	s_xor_b32 s16, exec_lo, -1
; %bb.723:                              ;   in Loop: Header=BB6_138 Depth=3
	s_or_b32 exec_lo, exec_lo, s73
	s_and_b32 s16, s16, exec_lo
	s_or_saveexec_b32 s72, s72
	v_mov_b32_e32 v0, 0x7f800001
	s_xor_b32 exec_lo, exec_lo, s72
	s_cbranch_execnz .LBB6_2019
.LBB6_724:                              ;   in Loop: Header=BB6_138 Depth=3
	s_or_b32 exec_lo, exec_lo, s72
	s_and_saveexec_b32 s72, s16
	s_cbranch_execz .LBB6_726
.LBB6_725:                              ;   in Loop: Header=BB6_138 Depth=3
	v_and_b32_sdwa v0, v118, v10 dst_sel:DWORD dst_unused:UNUSED_PAD src0_sel:DWORD src1_sel:BYTE_1
	v_and_b32_e32 v1, 3, v0
	v_bfe_u32 v5, v0, 2, 5
	v_ffbh_u32_e32 v3, v1
	v_cmp_eq_u32_e32 vcc_lo, 0, v5
	v_min_u32_e32 v3, 32, v3
	v_subrev_nc_u32_e32 v4, 29, v3
	v_sub_nc_u32_e32 v3, 30, v3
	v_lshlrev_b32_e32 v0, v4, v0
	v_lshlrev_b32_sdwa v4, v119, v10 dst_sel:DWORD dst_unused:UNUSED_PAD src0_sel:DWORD src1_sel:BYTE_1
	v_cndmask_b32_e32 v3, v5, v3, vcc_lo
	v_and_b32_e32 v0, 3, v0
	v_lshl_add_u32 v3, v3, 23, 0x37800000
	v_cndmask_b32_e32 v0, v1, v0, vcc_lo
	v_and_b32_e32 v1, 0x80000000, v4
	v_lshlrev_b32_e32 v0, 21, v0
	v_or3_b32 v0, v1, v3, v0
.LBB6_726:                              ;   in Loop: Header=BB6_138 Depth=3
	s_or_b32 exec_lo, exec_lo, s72
	v_mul_f32_e32 v0, s63, v0
	v_mov_b32_e32 v28, 0x8000
	s_mov_b32 s72, exec_lo
	v_and_b32_e32 v1, 0x7f800000, v0
	v_cmpx_ne_u32_e32 0x7f800000, v1
	s_cbranch_execz .LBB6_734
; %bb.727:                              ;   in Loop: Header=BB6_138 Depth=3
	v_mov_b32_e32 v28, 0
	s_mov_b32 s73, exec_lo
	v_cmpx_ne_u32_e32 0, v0
	s_cbranch_execz .LBB6_733
; %bb.728:                              ;   in Loop: Header=BB6_138 Depth=3
	v_bfe_u32 v3, v0, 23, 8
	v_and_b32_e32 v1, 0x7fffff, v0
	v_cmp_gt_u32_e64 s16, 0x71, v3
	v_sub_nc_u32_e32 v4, 0x70, v3
	v_cmp_eq_u32_e32 vcc_lo, 0, v3
	v_or_b32_e32 v5, 0x800000, v1
	v_cndmask_b32_e64 v4, 0, v4, s16
	v_cndmask_b32_e32 v1, v5, v1, vcc_lo
	v_cndmask_b32_e64 v4, v4, 0x6f, vcc_lo
	v_lshl_add_u32 v5, 0x200000, v4, -1
	v_lshlrev_b32_e64 v6, v4, 0x100000
	v_and_b32_e32 v5, v5, v1
	v_cmp_eq_u32_e64 s16, v5, v6
	v_lshrrev_b32_e32 v5, v4, v1
	v_add_nc_u32_e32 v1, 0xffffff91, v3
	v_lshrrev_b32_e32 v3, 23, v5
	v_cndmask_b32_e64 v1, v1, 0xffffff92, vcc_lo
	v_xor_b32_e32 v3, 1, v3
	v_add_nc_u32_e32 v1, v4, v1
	v_bfe_u32 v4, v5, 21, 1
	v_add_nc_u32_e32 v4, -1, v4
	v_cndmask_b32_e64 v4, 0, v4, s16
	s_mov_b32 s16, exec_lo
	v_add_nc_u32_e32 v4, v4, v5
	v_and_b32_e32 v4, 0x1fffff, v4
	v_add_nc_u32_e32 v4, v4, v5
                                        ; implicit-def: $vgpr5
	v_cmpx_ne_u32_e64 v1, v3
	s_xor_b32 s16, exec_lo, s16
; %bb.729:                              ;   in Loop: Header=BB6_138 Depth=3
	v_cmp_lt_u32_e32 vcc_lo, 0xffffff, v4
	v_sub_nc_u32_e32 v1, v1, v3
	v_cndmask_b32_e64 v3, 0, 1, vcc_lo
	v_add_co_ci_u32_e64 v5, null, 0, v1, vcc_lo
	v_lshrrev_b32_e32 v4, v3, v4
; %bb.730:                              ;   in Loop: Header=BB6_138 Depth=3
	s_andn2_saveexec_b32 s16, s16
; %bb.731:                              ;   in Loop: Header=BB6_138 Depth=3
	v_bfe_u32 v5, v4, 23, 1
; %bb.732:                              ;   in Loop: Header=BB6_138 Depth=3
	s_or_b32 exec_lo, exec_lo, s16
	v_lshrrev_b32_e32 v1, 21, v4
	v_min_i32_e32 v3, 31, v5
	v_cmp_gt_i32_e32 vcc_lo, 32, v5
	v_and_b32_sdwa v0, v0, v117 dst_sel:DWORD dst_unused:UNUSED_PAD src0_sel:BYTE_3 src1_sel:DWORD
	v_lshlrev_b32_e32 v3, 2, v3
	v_cndmask_b32_e32 v1, 3, v1, vcc_lo
	v_and_b32_e32 v3, 0xfc, v3
	v_or_b32_e32 v4, v5, v1
	v_and_b32_e32 v1, 3, v1
	v_cmp_ne_u32_e32 vcc_lo, 0, v4
	v_or3_b32 v0, v0, v3, v1
	v_lshlrev_b32_e32 v0, 8, v0
	v_cndmask_b32_e32 v28, 0, v0, vcc_lo
.LBB6_733:                              ;   in Loop: Header=BB6_138 Depth=3
	s_or_b32 exec_lo, exec_lo, s73
.LBB6_734:                              ;   in Loop: Header=BB6_138 Depth=3
	s_or_b32 exec_lo, exec_lo, s72
	v_and_b32_sdwa v1, v10, v40 dst_sel:DWORD dst_unused:UNUSED_PAD src0_sel:WORD_1 src1_sel:DWORD
	s_mov_b32 s72, 0
	s_mov_b32 s16, exec_lo
	v_cmpx_lt_i16_e32 0x7f, v1
	s_xor_b32 s16, exec_lo, s16
	s_cbranch_execz .LBB6_2020
; %bb.735:                              ;   in Loop: Header=BB6_138 Depth=3
	s_mov_b32 s72, -1
	s_mov_b32 s73, exec_lo
	v_cmpx_eq_u16_e32 0x80, v1
; %bb.736:                              ;   in Loop: Header=BB6_138 Depth=3
	s_xor_b32 s72, exec_lo, -1
; %bb.737:                              ;   in Loop: Header=BB6_138 Depth=3
	s_or_b32 exec_lo, exec_lo, s73
	s_and_b32 s72, s72, exec_lo
                                        ; implicit-def: $vgpr1
	s_or_saveexec_b32 s16, s16
	v_mov_b32_e32 v0, 0x7f800001
	s_xor_b32 exec_lo, exec_lo, s16
	s_cbranch_execnz .LBB6_2021
.LBB6_738:                              ;   in Loop: Header=BB6_138 Depth=3
	s_or_b32 exec_lo, exec_lo, s16
	s_and_saveexec_b32 s16, s72
	s_cbranch_execz .LBB6_740
.LBB6_739:                              ;   in Loop: Header=BB6_138 Depth=3
	v_bfe_u32 v0, v10, 16, 2
	v_bfe_u32 v1, v10, 18, 5
	v_ffbh_u32_e32 v3, v0
	v_cmp_eq_u32_e32 vcc_lo, 0, v1
	v_min_u32_e32 v3, 32, v3
	v_subrev_nc_u32_e32 v4, 29, v3
	v_sub_nc_u32_e32 v3, 30, v3
	v_lshlrev_b32_sdwa v4, v4, v10 dst_sel:DWORD dst_unused:UNUSED_PAD src0_sel:DWORD src1_sel:WORD_1
	v_cndmask_b32_e32 v1, v1, v3, vcc_lo
	v_lshlrev_b32_e32 v3, 8, v10
	v_and_b32_e32 v4, 3, v4
	v_lshl_add_u32 v1, v1, 23, 0x37800000
	v_and_b32_e32 v3, 0x80000000, v3
	v_cndmask_b32_e32 v0, v0, v4, vcc_lo
	v_lshlrev_b32_e32 v0, 21, v0
	v_or3_b32 v0, v3, v1, v0
.LBB6_740:                              ;   in Loop: Header=BB6_138 Depth=3
	s_or_b32 exec_lo, exec_lo, s16
	v_mul_f32_e32 v0, s63, v0
	v_mov_b32_e32 v29, 0x80
	s_mov_b32 s72, exec_lo
	v_and_b32_e32 v1, 0x7f800000, v0
	v_cmpx_ne_u32_e32 0x7f800000, v1
	s_cbranch_execz .LBB6_748
; %bb.741:                              ;   in Loop: Header=BB6_138 Depth=3
	v_mov_b32_e32 v29, 0
	s_mov_b32 s73, exec_lo
	v_cmpx_ne_u32_e32 0, v0
	s_cbranch_execz .LBB6_747
; %bb.742:                              ;   in Loop: Header=BB6_138 Depth=3
	v_bfe_u32 v3, v0, 23, 8
	v_and_b32_e32 v1, 0x7fffff, v0
	v_cmp_gt_u32_e64 s16, 0x71, v3
	v_sub_nc_u32_e32 v4, 0x70, v3
	v_cmp_eq_u32_e32 vcc_lo, 0, v3
	v_or_b32_e32 v5, 0x800000, v1
	v_cndmask_b32_e64 v4, 0, v4, s16
	v_cndmask_b32_e32 v1, v5, v1, vcc_lo
	v_cndmask_b32_e64 v4, v4, 0x6f, vcc_lo
	v_lshl_add_u32 v5, 0x200000, v4, -1
	v_lshlrev_b32_e64 v6, v4, 0x100000
	v_and_b32_e32 v5, v5, v1
	v_cmp_eq_u32_e64 s16, v5, v6
	v_lshrrev_b32_e32 v5, v4, v1
	v_add_nc_u32_e32 v1, 0xffffff91, v3
	v_lshrrev_b32_e32 v3, 23, v5
	v_cndmask_b32_e64 v1, v1, 0xffffff92, vcc_lo
	v_xor_b32_e32 v3, 1, v3
	v_add_nc_u32_e32 v1, v4, v1
	v_bfe_u32 v4, v5, 21, 1
	v_add_nc_u32_e32 v4, -1, v4
	v_cndmask_b32_e64 v4, 0, v4, s16
	s_mov_b32 s16, exec_lo
	v_add_nc_u32_e32 v4, v4, v5
	v_and_b32_e32 v4, 0x1fffff, v4
	v_add_nc_u32_e32 v4, v4, v5
                                        ; implicit-def: $vgpr5
	v_cmpx_ne_u32_e64 v1, v3
	s_xor_b32 s16, exec_lo, s16
; %bb.743:                              ;   in Loop: Header=BB6_138 Depth=3
	v_cmp_lt_u32_e32 vcc_lo, 0xffffff, v4
	v_sub_nc_u32_e32 v1, v1, v3
	v_cndmask_b32_e64 v3, 0, 1, vcc_lo
	v_add_co_ci_u32_e64 v5, null, 0, v1, vcc_lo
	v_lshrrev_b32_e32 v4, v3, v4
; %bb.744:                              ;   in Loop: Header=BB6_138 Depth=3
	s_andn2_saveexec_b32 s16, s16
; %bb.745:                              ;   in Loop: Header=BB6_138 Depth=3
	v_bfe_u32 v5, v4, 23, 1
; %bb.746:                              ;   in Loop: Header=BB6_138 Depth=3
	s_or_b32 exec_lo, exec_lo, s16
	v_lshrrev_b32_e32 v1, 21, v4
	v_min_i32_e32 v3, 31, v5
	v_cmp_gt_i32_e32 vcc_lo, 32, v5
	v_and_b32_sdwa v0, v0, v117 dst_sel:DWORD dst_unused:UNUSED_PAD src0_sel:BYTE_3 src1_sel:DWORD
	v_lshlrev_b32_e32 v3, 2, v3
	v_cndmask_b32_e32 v1, 3, v1, vcc_lo
	v_and_b32_e32 v3, 0xfc, v3
	v_or_b32_e32 v4, v5, v1
	v_and_b32_e32 v1, 3, v1
	v_cmp_ne_u32_e32 vcc_lo, 0, v4
	v_or3_b32 v0, v3, v0, v1
	v_cndmask_b32_e32 v29, 0, v0, vcc_lo
.LBB6_747:                              ;   in Loop: Header=BB6_138 Depth=3
	s_or_b32 exec_lo, exec_lo, s73
.LBB6_748:                              ;   in Loop: Header=BB6_138 Depth=3
	s_or_b32 exec_lo, exec_lo, s72
	v_cmp_gt_i16_sdwa s72, v10, v116 src0_sel:BYTE_3 src1_sel:DWORD
	s_mov_b32 s16, 0
	s_and_saveexec_b32 s73, s72
	s_xor_b32 s72, exec_lo, s73
	s_cbranch_execz .LBB6_2022
; %bb.749:                              ;   in Loop: Header=BB6_138 Depth=3
	v_cmp_eq_u16_sdwa s74, v10, v117 src0_sel:BYTE_3 src1_sel:DWORD
	s_mov_b32 s16, -1
	s_and_saveexec_b32 s73, s74
; %bb.750:                              ;   in Loop: Header=BB6_138 Depth=3
	s_xor_b32 s16, exec_lo, -1
; %bb.751:                              ;   in Loop: Header=BB6_138 Depth=3
	s_or_b32 exec_lo, exec_lo, s73
	s_and_b32 s16, s16, exec_lo
	s_or_saveexec_b32 s72, s72
	v_mov_b32_e32 v0, 0x7f800001
	s_xor_b32 exec_lo, exec_lo, s72
	s_cbranch_execnz .LBB6_2023
.LBB6_752:                              ;   in Loop: Header=BB6_138 Depth=3
	s_or_b32 exec_lo, exec_lo, s72
	s_and_saveexec_b32 s72, s16
	s_cbranch_execz .LBB6_754
.LBB6_753:                              ;   in Loop: Header=BB6_138 Depth=3
	v_bfe_u32 v0, v10, 24, 2
	v_bfe_u32 v4, v10, 26, 5
	v_ffbh_u32_e32 v1, v0
	v_cmp_eq_u32_e32 vcc_lo, 0, v4
	v_min_u32_e32 v1, 32, v1
	v_subrev_nc_u32_e32 v3, 29, v1
	v_sub_nc_u32_e32 v1, 30, v1
	v_lshlrev_b32_sdwa v3, v3, v10 dst_sel:DWORD dst_unused:UNUSED_PAD src0_sel:DWORD src1_sel:BYTE_3
	v_cndmask_b32_e32 v1, v4, v1, vcc_lo
	v_and_b32_e32 v3, 3, v3
	v_lshl_add_u32 v1, v1, 23, 0x37800000
	v_cndmask_b32_e32 v0, v0, v3, vcc_lo
	v_and_b32_e32 v3, 0x80000000, v10
	v_lshlrev_b32_e32 v0, 21, v0
	v_or3_b32 v0, v3, v1, v0
.LBB6_754:                              ;   in Loop: Header=BB6_138 Depth=3
	s_or_b32 exec_lo, exec_lo, s72
	v_mul_f32_e32 v0, s63, v0
	v_mov_b32_e32 v24, 0x8000
	s_mov_b32 s72, exec_lo
	v_and_b32_e32 v1, 0x7f800000, v0
	v_cmpx_ne_u32_e32 0x7f800000, v1
	s_cbranch_execz .LBB6_762
; %bb.755:                              ;   in Loop: Header=BB6_138 Depth=3
	v_mov_b32_e32 v24, 0
	s_mov_b32 s73, exec_lo
	v_cmpx_ne_u32_e32 0, v0
	s_cbranch_execz .LBB6_761
; %bb.756:                              ;   in Loop: Header=BB6_138 Depth=3
	v_bfe_u32 v3, v0, 23, 8
	v_and_b32_e32 v1, 0x7fffff, v0
	v_cmp_gt_u32_e64 s16, 0x71, v3
	v_sub_nc_u32_e32 v4, 0x70, v3
	v_cmp_eq_u32_e32 vcc_lo, 0, v3
	v_or_b32_e32 v5, 0x800000, v1
	v_cndmask_b32_e64 v4, 0, v4, s16
	v_cndmask_b32_e32 v1, v5, v1, vcc_lo
	v_cndmask_b32_e64 v4, v4, 0x6f, vcc_lo
	v_lshl_add_u32 v5, 0x200000, v4, -1
	v_lshlrev_b32_e64 v6, v4, 0x100000
	v_and_b32_e32 v5, v5, v1
	v_cmp_eq_u32_e64 s16, v5, v6
	v_lshrrev_b32_e32 v5, v4, v1
	v_add_nc_u32_e32 v1, 0xffffff91, v3
	v_lshrrev_b32_e32 v3, 23, v5
	v_cndmask_b32_e64 v1, v1, 0xffffff92, vcc_lo
	v_xor_b32_e32 v3, 1, v3
	v_add_nc_u32_e32 v1, v4, v1
	v_bfe_u32 v4, v5, 21, 1
	v_add_nc_u32_e32 v4, -1, v4
	v_cndmask_b32_e64 v4, 0, v4, s16
	s_mov_b32 s16, exec_lo
	v_add_nc_u32_e32 v4, v4, v5
	v_and_b32_e32 v4, 0x1fffff, v4
	v_add_nc_u32_e32 v4, v4, v5
                                        ; implicit-def: $vgpr5
	v_cmpx_ne_u32_e64 v1, v3
	s_xor_b32 s16, exec_lo, s16
; %bb.757:                              ;   in Loop: Header=BB6_138 Depth=3
	v_cmp_lt_u32_e32 vcc_lo, 0xffffff, v4
	v_sub_nc_u32_e32 v1, v1, v3
	v_cndmask_b32_e64 v3, 0, 1, vcc_lo
	v_add_co_ci_u32_e64 v5, null, 0, v1, vcc_lo
	v_lshrrev_b32_e32 v4, v3, v4
; %bb.758:                              ;   in Loop: Header=BB6_138 Depth=3
	s_andn2_saveexec_b32 s16, s16
; %bb.759:                              ;   in Loop: Header=BB6_138 Depth=3
	v_bfe_u32 v5, v4, 23, 1
; %bb.760:                              ;   in Loop: Header=BB6_138 Depth=3
	s_or_b32 exec_lo, exec_lo, s16
	v_lshrrev_b32_e32 v1, 21, v4
	v_min_i32_e32 v3, 31, v5
	v_cmp_gt_i32_e32 vcc_lo, 32, v5
	v_and_b32_sdwa v0, v0, v117 dst_sel:DWORD dst_unused:UNUSED_PAD src0_sel:BYTE_3 src1_sel:DWORD
	v_lshlrev_b32_e32 v3, 2, v3
	v_cndmask_b32_e32 v1, 3, v1, vcc_lo
	v_and_b32_e32 v3, 0xfc, v3
	v_or_b32_e32 v4, v5, v1
	v_and_b32_e32 v1, 3, v1
	v_cmp_ne_u32_e32 vcc_lo, 0, v4
	v_or3_b32 v0, v0, v3, v1
	v_lshlrev_b32_e32 v0, 8, v0
	v_cndmask_b32_e32 v24, 0, v0, vcc_lo
.LBB6_761:                              ;   in Loop: Header=BB6_138 Depth=3
	s_or_b32 exec_lo, exec_lo, s73
.LBB6_762:                              ;   in Loop: Header=BB6_138 Depth=3
	s_or_b32 exec_lo, exec_lo, s72
	v_cmp_gt_i16_sdwa s16, v11, v116 src0_sel:BYTE_0 src1_sel:DWORD
	s_mov_b32 s72, 0
	s_and_saveexec_b32 s73, s16
	s_xor_b32 s16, exec_lo, s73
	s_cbranch_execz .LBB6_2024
; %bb.763:                              ;   in Loop: Header=BB6_138 Depth=3
	v_cmp_eq_u16_sdwa s74, v11, v117 src0_sel:BYTE_0 src1_sel:DWORD
	s_mov_b32 s72, -1
	s_and_saveexec_b32 s73, s74
; %bb.764:                              ;   in Loop: Header=BB6_138 Depth=3
	s_xor_b32 s72, exec_lo, -1
; %bb.765:                              ;   in Loop: Header=BB6_138 Depth=3
	s_or_b32 exec_lo, exec_lo, s73
	s_and_b32 s72, s72, exec_lo
	s_or_saveexec_b32 s16, s16
	v_mov_b32_e32 v0, 0x7f800001
	s_xor_b32 exec_lo, exec_lo, s16
	s_cbranch_execnz .LBB6_2025
.LBB6_766:                              ;   in Loop: Header=BB6_138 Depth=3
	s_or_b32 exec_lo, exec_lo, s16
	s_and_saveexec_b32 s16, s72
	s_cbranch_execz .LBB6_768
.LBB6_767:                              ;   in Loop: Header=BB6_138 Depth=3
	v_and_b32_e32 v0, 3, v11
	v_bfe_u32 v1, v11, 2, 5
	v_ffbh_u32_e32 v3, v0
	v_cmp_eq_u32_e32 vcc_lo, 0, v1
	v_min_u32_e32 v3, 32, v3
	v_subrev_nc_u32_e32 v4, 29, v3
	v_sub_nc_u32_e32 v3, 30, v3
	v_lshlrev_b32_e32 v4, v4, v11
	v_cndmask_b32_e32 v1, v1, v3, vcc_lo
	v_lshlrev_b32_e32 v3, 24, v11
	v_and_b32_e32 v4, 3, v4
	v_lshl_add_u32 v1, v1, 23, 0x37800000
	v_and_b32_e32 v3, 0x80000000, v3
	v_cndmask_b32_e32 v0, v0, v4, vcc_lo
	v_lshlrev_b32_e32 v0, 21, v0
	v_or3_b32 v0, v3, v1, v0
.LBB6_768:                              ;   in Loop: Header=BB6_138 Depth=3
	s_or_b32 exec_lo, exec_lo, s16
	v_mul_f32_e32 v0, s63, v0
	v_mov_b32_e32 v25, 0x80
	s_mov_b32 s72, exec_lo
	v_and_b32_e32 v1, 0x7f800000, v0
	v_cmpx_ne_u32_e32 0x7f800000, v1
	s_cbranch_execz .LBB6_776
; %bb.769:                              ;   in Loop: Header=BB6_138 Depth=3
	v_mov_b32_e32 v25, 0
	s_mov_b32 s73, exec_lo
	v_cmpx_ne_u32_e32 0, v0
	s_cbranch_execz .LBB6_775
; %bb.770:                              ;   in Loop: Header=BB6_138 Depth=3
	v_bfe_u32 v3, v0, 23, 8
	v_and_b32_e32 v1, 0x7fffff, v0
	v_cmp_gt_u32_e64 s16, 0x71, v3
	v_sub_nc_u32_e32 v4, 0x70, v3
	v_cmp_eq_u32_e32 vcc_lo, 0, v3
	v_or_b32_e32 v5, 0x800000, v1
	v_cndmask_b32_e64 v4, 0, v4, s16
	v_cndmask_b32_e32 v1, v5, v1, vcc_lo
	v_cndmask_b32_e64 v4, v4, 0x6f, vcc_lo
	v_lshl_add_u32 v5, 0x200000, v4, -1
	v_lshlrev_b32_e64 v6, v4, 0x100000
	v_and_b32_e32 v5, v5, v1
	v_cmp_eq_u32_e64 s16, v5, v6
	v_lshrrev_b32_e32 v5, v4, v1
	v_add_nc_u32_e32 v1, 0xffffff91, v3
	v_lshrrev_b32_e32 v3, 23, v5
	v_cndmask_b32_e64 v1, v1, 0xffffff92, vcc_lo
	v_xor_b32_e32 v3, 1, v3
	v_add_nc_u32_e32 v1, v4, v1
	v_bfe_u32 v4, v5, 21, 1
	v_add_nc_u32_e32 v4, -1, v4
	v_cndmask_b32_e64 v4, 0, v4, s16
	s_mov_b32 s16, exec_lo
	v_add_nc_u32_e32 v4, v4, v5
	v_and_b32_e32 v4, 0x1fffff, v4
	v_add_nc_u32_e32 v4, v4, v5
                                        ; implicit-def: $vgpr5
	v_cmpx_ne_u32_e64 v1, v3
	s_xor_b32 s16, exec_lo, s16
; %bb.771:                              ;   in Loop: Header=BB6_138 Depth=3
	v_cmp_lt_u32_e32 vcc_lo, 0xffffff, v4
	v_sub_nc_u32_e32 v1, v1, v3
	v_cndmask_b32_e64 v3, 0, 1, vcc_lo
	v_add_co_ci_u32_e64 v5, null, 0, v1, vcc_lo
	v_lshrrev_b32_e32 v4, v3, v4
; %bb.772:                              ;   in Loop: Header=BB6_138 Depth=3
	s_andn2_saveexec_b32 s16, s16
; %bb.773:                              ;   in Loop: Header=BB6_138 Depth=3
	v_bfe_u32 v5, v4, 23, 1
; %bb.774:                              ;   in Loop: Header=BB6_138 Depth=3
	s_or_b32 exec_lo, exec_lo, s16
	v_lshrrev_b32_e32 v1, 21, v4
	v_min_i32_e32 v3, 31, v5
	v_cmp_gt_i32_e32 vcc_lo, 32, v5
	v_and_b32_sdwa v0, v0, v117 dst_sel:DWORD dst_unused:UNUSED_PAD src0_sel:BYTE_3 src1_sel:DWORD
	v_lshlrev_b32_e32 v3, 2, v3
	v_cndmask_b32_e32 v1, 3, v1, vcc_lo
	v_and_b32_e32 v3, 0xfc, v3
	v_or_b32_e32 v4, v5, v1
	v_and_b32_e32 v1, 3, v1
	v_cmp_ne_u32_e32 vcc_lo, 0, v4
	v_or3_b32 v0, v3, v0, v1
	v_cndmask_b32_e32 v25, 0, v0, vcc_lo
.LBB6_775:                              ;   in Loop: Header=BB6_138 Depth=3
	s_or_b32 exec_lo, exec_lo, s73
.LBB6_776:                              ;   in Loop: Header=BB6_138 Depth=3
	s_or_b32 exec_lo, exec_lo, s72
	v_cmp_gt_i16_sdwa s72, v11, v116 src0_sel:BYTE_1 src1_sel:DWORD
	s_mov_b32 s16, 0
	s_and_saveexec_b32 s73, s72
	s_xor_b32 s72, exec_lo, s73
	s_cbranch_execz .LBB6_2026
; %bb.777:                              ;   in Loop: Header=BB6_138 Depth=3
	v_cmp_eq_u16_sdwa s74, v11, v117 src0_sel:BYTE_1 src1_sel:DWORD
	s_mov_b32 s16, -1
	s_and_saveexec_b32 s73, s74
; %bb.778:                              ;   in Loop: Header=BB6_138 Depth=3
	s_xor_b32 s16, exec_lo, -1
; %bb.779:                              ;   in Loop: Header=BB6_138 Depth=3
	s_or_b32 exec_lo, exec_lo, s73
	s_and_b32 s16, s16, exec_lo
	s_or_saveexec_b32 s72, s72
	v_mov_b32_e32 v0, 0x7f800001
	s_xor_b32 exec_lo, exec_lo, s72
	s_cbranch_execnz .LBB6_2027
.LBB6_780:                              ;   in Loop: Header=BB6_138 Depth=3
	s_or_b32 exec_lo, exec_lo, s72
	s_and_saveexec_b32 s72, s16
	s_cbranch_execz .LBB6_782
.LBB6_781:                              ;   in Loop: Header=BB6_138 Depth=3
	v_and_b32_sdwa v0, v118, v11 dst_sel:DWORD dst_unused:UNUSED_PAD src0_sel:DWORD src1_sel:BYTE_1
	v_and_b32_e32 v1, 3, v0
	v_bfe_u32 v5, v0, 2, 5
	v_ffbh_u32_e32 v3, v1
	v_cmp_eq_u32_e32 vcc_lo, 0, v5
	v_min_u32_e32 v3, 32, v3
	v_subrev_nc_u32_e32 v4, 29, v3
	v_sub_nc_u32_e32 v3, 30, v3
	v_lshlrev_b32_e32 v0, v4, v0
	v_lshlrev_b32_sdwa v4, v119, v11 dst_sel:DWORD dst_unused:UNUSED_PAD src0_sel:DWORD src1_sel:BYTE_1
	v_cndmask_b32_e32 v3, v5, v3, vcc_lo
	v_and_b32_e32 v0, 3, v0
	v_lshl_add_u32 v3, v3, 23, 0x37800000
	v_cndmask_b32_e32 v0, v1, v0, vcc_lo
	v_and_b32_e32 v1, 0x80000000, v4
	v_lshlrev_b32_e32 v0, 21, v0
	v_or3_b32 v0, v1, v3, v0
.LBB6_782:                              ;   in Loop: Header=BB6_138 Depth=3
	s_or_b32 exec_lo, exec_lo, s72
	v_mul_f32_e32 v0, s63, v0
	v_mov_b32_e32 v52, 0x8000
	s_mov_b32 s72, exec_lo
	v_and_b32_e32 v1, 0x7f800000, v0
	v_cmpx_ne_u32_e32 0x7f800000, v1
	s_cbranch_execz .LBB6_790
; %bb.783:                              ;   in Loop: Header=BB6_138 Depth=3
	v_mov_b32_e32 v52, 0
	s_mov_b32 s73, exec_lo
	v_cmpx_ne_u32_e32 0, v0
	s_cbranch_execz .LBB6_789
; %bb.784:                              ;   in Loop: Header=BB6_138 Depth=3
	v_bfe_u32 v3, v0, 23, 8
	v_and_b32_e32 v1, 0x7fffff, v0
	v_cmp_gt_u32_e64 s16, 0x71, v3
	v_sub_nc_u32_e32 v4, 0x70, v3
	v_cmp_eq_u32_e32 vcc_lo, 0, v3
	v_or_b32_e32 v5, 0x800000, v1
	v_cndmask_b32_e64 v4, 0, v4, s16
	v_cndmask_b32_e32 v1, v5, v1, vcc_lo
	v_cndmask_b32_e64 v4, v4, 0x6f, vcc_lo
	v_lshl_add_u32 v5, 0x200000, v4, -1
	v_lshlrev_b32_e64 v6, v4, 0x100000
	v_and_b32_e32 v5, v5, v1
	v_cmp_eq_u32_e64 s16, v5, v6
	v_lshrrev_b32_e32 v5, v4, v1
	v_add_nc_u32_e32 v1, 0xffffff91, v3
	v_lshrrev_b32_e32 v3, 23, v5
	v_cndmask_b32_e64 v1, v1, 0xffffff92, vcc_lo
	v_xor_b32_e32 v3, 1, v3
	v_add_nc_u32_e32 v1, v4, v1
	v_bfe_u32 v4, v5, 21, 1
	v_add_nc_u32_e32 v4, -1, v4
	v_cndmask_b32_e64 v4, 0, v4, s16
	s_mov_b32 s16, exec_lo
	v_add_nc_u32_e32 v4, v4, v5
	v_and_b32_e32 v4, 0x1fffff, v4
	v_add_nc_u32_e32 v4, v4, v5
                                        ; implicit-def: $vgpr5
	v_cmpx_ne_u32_e64 v1, v3
	s_xor_b32 s16, exec_lo, s16
; %bb.785:                              ;   in Loop: Header=BB6_138 Depth=3
	v_cmp_lt_u32_e32 vcc_lo, 0xffffff, v4
	v_sub_nc_u32_e32 v1, v1, v3
	v_cndmask_b32_e64 v3, 0, 1, vcc_lo
	v_add_co_ci_u32_e64 v5, null, 0, v1, vcc_lo
	v_lshrrev_b32_e32 v4, v3, v4
; %bb.786:                              ;   in Loop: Header=BB6_138 Depth=3
	s_andn2_saveexec_b32 s16, s16
; %bb.787:                              ;   in Loop: Header=BB6_138 Depth=3
	v_bfe_u32 v5, v4, 23, 1
; %bb.788:                              ;   in Loop: Header=BB6_138 Depth=3
	s_or_b32 exec_lo, exec_lo, s16
	v_lshrrev_b32_e32 v1, 21, v4
	v_min_i32_e32 v3, 31, v5
	v_cmp_gt_i32_e32 vcc_lo, 32, v5
	v_and_b32_sdwa v0, v0, v117 dst_sel:DWORD dst_unused:UNUSED_PAD src0_sel:BYTE_3 src1_sel:DWORD
	v_lshlrev_b32_e32 v3, 2, v3
	v_cndmask_b32_e32 v1, 3, v1, vcc_lo
	v_and_b32_e32 v3, 0xfc, v3
	v_or_b32_e32 v4, v5, v1
	v_and_b32_e32 v1, 3, v1
	v_cmp_ne_u32_e32 vcc_lo, 0, v4
	v_or3_b32 v0, v0, v3, v1
	v_lshlrev_b32_e32 v0, 8, v0
	v_cndmask_b32_e32 v52, 0, v0, vcc_lo
.LBB6_789:                              ;   in Loop: Header=BB6_138 Depth=3
	s_or_b32 exec_lo, exec_lo, s73
.LBB6_790:                              ;   in Loop: Header=BB6_138 Depth=3
	s_or_b32 exec_lo, exec_lo, s72
	v_and_b32_sdwa v1, v11, v40 dst_sel:DWORD dst_unused:UNUSED_PAD src0_sel:WORD_1 src1_sel:DWORD
	s_mov_b32 s72, 0
	s_mov_b32 s16, exec_lo
	v_cmpx_lt_i16_e32 0x7f, v1
	s_xor_b32 s16, exec_lo, s16
	s_cbranch_execz .LBB6_2028
; %bb.791:                              ;   in Loop: Header=BB6_138 Depth=3
	s_mov_b32 s72, -1
	s_mov_b32 s73, exec_lo
	v_cmpx_eq_u16_e32 0x80, v1
; %bb.792:                              ;   in Loop: Header=BB6_138 Depth=3
	s_xor_b32 s72, exec_lo, -1
; %bb.793:                              ;   in Loop: Header=BB6_138 Depth=3
	s_or_b32 exec_lo, exec_lo, s73
	s_and_b32 s72, s72, exec_lo
                                        ; implicit-def: $vgpr1
	s_or_saveexec_b32 s16, s16
	v_mov_b32_e32 v0, 0x7f800001
	s_xor_b32 exec_lo, exec_lo, s16
	s_cbranch_execnz .LBB6_2029
.LBB6_794:                              ;   in Loop: Header=BB6_138 Depth=3
	s_or_b32 exec_lo, exec_lo, s16
	s_and_saveexec_b32 s16, s72
	s_cbranch_execz .LBB6_796
.LBB6_795:                              ;   in Loop: Header=BB6_138 Depth=3
	v_bfe_u32 v0, v11, 16, 2
	v_bfe_u32 v1, v11, 18, 5
	v_ffbh_u32_e32 v3, v0
	v_cmp_eq_u32_e32 vcc_lo, 0, v1
	v_min_u32_e32 v3, 32, v3
	v_subrev_nc_u32_e32 v4, 29, v3
	v_sub_nc_u32_e32 v3, 30, v3
	v_lshlrev_b32_sdwa v4, v4, v11 dst_sel:DWORD dst_unused:UNUSED_PAD src0_sel:DWORD src1_sel:WORD_1
	v_cndmask_b32_e32 v1, v1, v3, vcc_lo
	v_lshlrev_b32_e32 v3, 8, v11
	v_and_b32_e32 v4, 3, v4
	v_lshl_add_u32 v1, v1, 23, 0x37800000
	v_and_b32_e32 v3, 0x80000000, v3
	v_cndmask_b32_e32 v0, v0, v4, vcc_lo
	v_lshlrev_b32_e32 v0, 21, v0
	v_or3_b32 v0, v3, v1, v0
.LBB6_796:                              ;   in Loop: Header=BB6_138 Depth=3
	s_or_b32 exec_lo, exec_lo, s16
	v_mul_f32_e32 v0, s63, v0
	v_mov_b32_e32 v53, 0x80
	s_mov_b32 s72, exec_lo
	v_and_b32_e32 v1, 0x7f800000, v0
	v_cmpx_ne_u32_e32 0x7f800000, v1
	s_cbranch_execz .LBB6_804
; %bb.797:                              ;   in Loop: Header=BB6_138 Depth=3
	v_mov_b32_e32 v53, 0
	s_mov_b32 s73, exec_lo
	v_cmpx_ne_u32_e32 0, v0
	s_cbranch_execz .LBB6_803
; %bb.798:                              ;   in Loop: Header=BB6_138 Depth=3
	v_bfe_u32 v3, v0, 23, 8
	v_and_b32_e32 v1, 0x7fffff, v0
	v_cmp_gt_u32_e64 s16, 0x71, v3
	v_sub_nc_u32_e32 v4, 0x70, v3
	v_cmp_eq_u32_e32 vcc_lo, 0, v3
	v_or_b32_e32 v5, 0x800000, v1
	v_cndmask_b32_e64 v4, 0, v4, s16
	v_cndmask_b32_e32 v1, v5, v1, vcc_lo
	v_cndmask_b32_e64 v4, v4, 0x6f, vcc_lo
	v_lshl_add_u32 v5, 0x200000, v4, -1
	v_lshlrev_b32_e64 v6, v4, 0x100000
	v_and_b32_e32 v5, v5, v1
	v_cmp_eq_u32_e64 s16, v5, v6
	v_lshrrev_b32_e32 v5, v4, v1
	v_add_nc_u32_e32 v1, 0xffffff91, v3
	v_lshrrev_b32_e32 v3, 23, v5
	v_cndmask_b32_e64 v1, v1, 0xffffff92, vcc_lo
	v_xor_b32_e32 v3, 1, v3
	v_add_nc_u32_e32 v1, v4, v1
	v_bfe_u32 v4, v5, 21, 1
	v_add_nc_u32_e32 v4, -1, v4
	v_cndmask_b32_e64 v4, 0, v4, s16
	s_mov_b32 s16, exec_lo
	v_add_nc_u32_e32 v4, v4, v5
	v_and_b32_e32 v4, 0x1fffff, v4
	v_add_nc_u32_e32 v4, v4, v5
                                        ; implicit-def: $vgpr5
	v_cmpx_ne_u32_e64 v1, v3
	s_xor_b32 s16, exec_lo, s16
; %bb.799:                              ;   in Loop: Header=BB6_138 Depth=3
	v_cmp_lt_u32_e32 vcc_lo, 0xffffff, v4
	v_sub_nc_u32_e32 v1, v1, v3
	v_cndmask_b32_e64 v3, 0, 1, vcc_lo
	v_add_co_ci_u32_e64 v5, null, 0, v1, vcc_lo
	v_lshrrev_b32_e32 v4, v3, v4
; %bb.800:                              ;   in Loop: Header=BB6_138 Depth=3
	s_andn2_saveexec_b32 s16, s16
; %bb.801:                              ;   in Loop: Header=BB6_138 Depth=3
	v_bfe_u32 v5, v4, 23, 1
; %bb.802:                              ;   in Loop: Header=BB6_138 Depth=3
	s_or_b32 exec_lo, exec_lo, s16
	v_lshrrev_b32_e32 v1, 21, v4
	v_min_i32_e32 v3, 31, v5
	v_cmp_gt_i32_e32 vcc_lo, 32, v5
	v_and_b32_sdwa v0, v0, v117 dst_sel:DWORD dst_unused:UNUSED_PAD src0_sel:BYTE_3 src1_sel:DWORD
	v_lshlrev_b32_e32 v3, 2, v3
	v_cndmask_b32_e32 v1, 3, v1, vcc_lo
	v_and_b32_e32 v3, 0xfc, v3
	v_or_b32_e32 v4, v5, v1
	v_and_b32_e32 v1, 3, v1
	v_cmp_ne_u32_e32 vcc_lo, 0, v4
	v_or3_b32 v0, v3, v0, v1
	v_cndmask_b32_e32 v53, 0, v0, vcc_lo
.LBB6_803:                              ;   in Loop: Header=BB6_138 Depth=3
	s_or_b32 exec_lo, exec_lo, s73
.LBB6_804:                              ;   in Loop: Header=BB6_138 Depth=3
	s_or_b32 exec_lo, exec_lo, s72
	v_cmp_gt_i16_sdwa s72, v11, v116 src0_sel:BYTE_3 src1_sel:DWORD
	s_mov_b32 s16, 0
	s_and_saveexec_b32 s73, s72
	s_xor_b32 s72, exec_lo, s73
	s_cbranch_execz .LBB6_2030
; %bb.805:                              ;   in Loop: Header=BB6_138 Depth=3
	v_cmp_eq_u16_sdwa s74, v11, v117 src0_sel:BYTE_3 src1_sel:DWORD
	s_mov_b32 s16, -1
	s_and_saveexec_b32 s73, s74
; %bb.806:                              ;   in Loop: Header=BB6_138 Depth=3
	s_xor_b32 s16, exec_lo, -1
; %bb.807:                              ;   in Loop: Header=BB6_138 Depth=3
	s_or_b32 exec_lo, exec_lo, s73
	s_and_b32 s16, s16, exec_lo
	s_or_saveexec_b32 s72, s72
	v_mov_b32_e32 v0, 0x7f800001
	s_xor_b32 exec_lo, exec_lo, s72
	s_cbranch_execnz .LBB6_2031
.LBB6_808:                              ;   in Loop: Header=BB6_138 Depth=3
	s_or_b32 exec_lo, exec_lo, s72
	s_and_saveexec_b32 s72, s16
	s_cbranch_execz .LBB6_810
.LBB6_809:                              ;   in Loop: Header=BB6_138 Depth=3
	v_bfe_u32 v0, v11, 24, 2
	v_bfe_u32 v4, v11, 26, 5
	v_ffbh_u32_e32 v1, v0
	v_cmp_eq_u32_e32 vcc_lo, 0, v4
	v_min_u32_e32 v1, 32, v1
	v_subrev_nc_u32_e32 v3, 29, v1
	v_sub_nc_u32_e32 v1, 30, v1
	v_lshlrev_b32_sdwa v3, v3, v11 dst_sel:DWORD dst_unused:UNUSED_PAD src0_sel:DWORD src1_sel:BYTE_3
	v_cndmask_b32_e32 v1, v4, v1, vcc_lo
	v_and_b32_e32 v3, 3, v3
	v_lshl_add_u32 v1, v1, 23, 0x37800000
	v_cndmask_b32_e32 v0, v0, v3, vcc_lo
	v_and_b32_e32 v3, 0x80000000, v11
	v_lshlrev_b32_e32 v0, 21, v0
	v_or3_b32 v0, v3, v1, v0
.LBB6_810:                              ;   in Loop: Header=BB6_138 Depth=3
	s_or_b32 exec_lo, exec_lo, s72
	v_mul_f32_e32 v0, s63, v0
	v_mov_b32_e32 v4, 0x8000
	s_mov_b32 s72, exec_lo
	v_and_b32_e32 v1, 0x7f800000, v0
	v_cmpx_ne_u32_e32 0x7f800000, v1
	s_cbranch_execz .LBB6_818
; %bb.811:                              ;   in Loop: Header=BB6_138 Depth=3
	v_mov_b32_e32 v4, 0
	s_mov_b32 s73, exec_lo
	v_cmpx_ne_u32_e32 0, v0
	s_cbranch_execz .LBB6_817
; %bb.812:                              ;   in Loop: Header=BB6_138 Depth=3
	v_bfe_u32 v3, v0, 23, 8
	v_and_b32_e32 v1, 0x7fffff, v0
	v_cmp_gt_u32_e64 s16, 0x71, v3
	v_sub_nc_u32_e32 v4, 0x70, v3
	v_cmp_eq_u32_e32 vcc_lo, 0, v3
	v_or_b32_e32 v5, 0x800000, v1
	v_cndmask_b32_e64 v4, 0, v4, s16
	v_cndmask_b32_e32 v1, v5, v1, vcc_lo
	v_cndmask_b32_e64 v4, v4, 0x6f, vcc_lo
	v_lshl_add_u32 v5, 0x200000, v4, -1
	v_lshlrev_b32_e64 v6, v4, 0x100000
	v_and_b32_e32 v5, v5, v1
	v_cmp_eq_u32_e64 s16, v5, v6
	v_lshrrev_b32_e32 v5, v4, v1
	v_add_nc_u32_e32 v1, 0xffffff91, v3
	v_lshrrev_b32_e32 v3, 23, v5
	v_cndmask_b32_e64 v1, v1, 0xffffff92, vcc_lo
	v_xor_b32_e32 v3, 1, v3
	v_add_nc_u32_e32 v1, v4, v1
	v_bfe_u32 v4, v5, 21, 1
	v_add_nc_u32_e32 v4, -1, v4
	v_cndmask_b32_e64 v4, 0, v4, s16
	s_mov_b32 s16, exec_lo
	v_add_nc_u32_e32 v4, v4, v5
	v_and_b32_e32 v4, 0x1fffff, v4
	v_add_nc_u32_e32 v4, v4, v5
                                        ; implicit-def: $vgpr5
	v_cmpx_ne_u32_e64 v1, v3
	s_xor_b32 s16, exec_lo, s16
; %bb.813:                              ;   in Loop: Header=BB6_138 Depth=3
	v_cmp_lt_u32_e32 vcc_lo, 0xffffff, v4
	v_sub_nc_u32_e32 v1, v1, v3
	v_cndmask_b32_e64 v3, 0, 1, vcc_lo
	v_add_co_ci_u32_e64 v5, null, 0, v1, vcc_lo
	v_lshrrev_b32_e32 v4, v3, v4
; %bb.814:                              ;   in Loop: Header=BB6_138 Depth=3
	s_andn2_saveexec_b32 s16, s16
; %bb.815:                              ;   in Loop: Header=BB6_138 Depth=3
	v_bfe_u32 v5, v4, 23, 1
; %bb.816:                              ;   in Loop: Header=BB6_138 Depth=3
	s_or_b32 exec_lo, exec_lo, s16
	v_lshrrev_b32_e32 v1, 21, v4
	v_min_i32_e32 v3, 31, v5
	v_cmp_gt_i32_e32 vcc_lo, 32, v5
	v_and_b32_sdwa v0, v0, v117 dst_sel:DWORD dst_unused:UNUSED_PAD src0_sel:BYTE_3 src1_sel:DWORD
	v_lshlrev_b32_e32 v3, 2, v3
	v_cndmask_b32_e32 v1, 3, v1, vcc_lo
	v_and_b32_e32 v3, 0xfc, v3
	v_or_b32_e32 v4, v5, v1
	v_and_b32_e32 v1, 3, v1
	v_cmp_ne_u32_e32 vcc_lo, 0, v4
	v_or3_b32 v0, v0, v3, v1
	v_lshlrev_b32_e32 v0, 8, v0
	v_cndmask_b32_e32 v4, 0, v0, vcc_lo
.LBB6_817:                              ;   in Loop: Header=BB6_138 Depth=3
	s_or_b32 exec_lo, exec_lo, s73
.LBB6_818:                              ;   in Loop: Header=BB6_138 Depth=3
	s_or_b32 exec_lo, exec_lo, s72
	buffer_store_dword v8, off, s[0:3], s33 offset:412 ; 4-byte Folded Spill
	buffer_store_dword v7, off, s[0:3], s33 offset:408 ; 4-byte Folded Spill
	global_load_dwordx4 v[8:11], v[68:69], off offset:1536 slc
	s_mov_b32 s72, 0
	s_waitcnt vmcnt(0)
	v_cmp_gt_i16_sdwa s16, v8, v116 src0_sel:BYTE_0 src1_sel:DWORD
	s_and_saveexec_b32 s73, s16
	s_xor_b32 s16, exec_lo, s73
	s_cbranch_execz .LBB6_2032
; %bb.819:                              ;   in Loop: Header=BB6_138 Depth=3
	v_cmp_eq_u16_sdwa s74, v8, v117 src0_sel:BYTE_0 src1_sel:DWORD
	s_mov_b32 s72, -1
	s_and_saveexec_b32 s73, s74
; %bb.820:                              ;   in Loop: Header=BB6_138 Depth=3
	s_xor_b32 s72, exec_lo, -1
; %bb.821:                              ;   in Loop: Header=BB6_138 Depth=3
	s_or_b32 exec_lo, exec_lo, s73
	s_and_b32 s72, s72, exec_lo
	s_or_saveexec_b32 s16, s16
	v_mov_b32_e32 v0, 0x7f800001
	s_xor_b32 exec_lo, exec_lo, s16
	s_cbranch_execnz .LBB6_2033
.LBB6_822:                              ;   in Loop: Header=BB6_138 Depth=3
	s_or_b32 exec_lo, exec_lo, s16
	s_and_saveexec_b32 s16, s72
	s_cbranch_execz .LBB6_824
.LBB6_823:                              ;   in Loop: Header=BB6_138 Depth=3
	v_and_b32_e32 v0, 3, v8
	v_bfe_u32 v1, v8, 2, 5
	v_ffbh_u32_e32 v3, v0
	v_cmp_eq_u32_e32 vcc_lo, 0, v1
	v_min_u32_e32 v3, 32, v3
	v_subrev_nc_u32_e32 v5, 29, v3
	v_sub_nc_u32_e32 v3, 30, v3
	v_lshlrev_b32_e32 v5, v5, v8
	v_cndmask_b32_e32 v1, v1, v3, vcc_lo
	v_lshlrev_b32_e32 v3, 24, v8
	v_and_b32_e32 v5, 3, v5
	v_lshl_add_u32 v1, v1, 23, 0x37800000
	v_and_b32_e32 v3, 0x80000000, v3
	v_cndmask_b32_e32 v0, v0, v5, vcc_lo
	v_lshlrev_b32_e32 v0, 21, v0
	v_or3_b32 v0, v3, v1, v0
.LBB6_824:                              ;   in Loop: Header=BB6_138 Depth=3
	s_or_b32 exec_lo, exec_lo, s16
	v_mul_f32_e32 v0, s63, v0
	v_mov_b32_e32 v5, 0x80
	s_mov_b32 s72, exec_lo
	v_and_b32_e32 v1, 0x7f800000, v0
	v_cmpx_ne_u32_e32 0x7f800000, v1
	s_cbranch_execz .LBB6_832
; %bb.825:                              ;   in Loop: Header=BB6_138 Depth=3
	v_mov_b32_e32 v5, 0
	s_mov_b32 s73, exec_lo
	v_cmpx_ne_u32_e32 0, v0
	s_cbranch_execz .LBB6_831
; %bb.826:                              ;   in Loop: Header=BB6_138 Depth=3
	v_bfe_u32 v3, v0, 23, 8
	v_and_b32_e32 v1, 0x7fffff, v0
	v_cmp_gt_u32_e64 s16, 0x71, v3
	v_sub_nc_u32_e32 v5, 0x70, v3
	v_cmp_eq_u32_e32 vcc_lo, 0, v3
	v_or_b32_e32 v6, 0x800000, v1
	v_cndmask_b32_e64 v5, 0, v5, s16
	v_cndmask_b32_e32 v1, v6, v1, vcc_lo
	v_cndmask_b32_e64 v5, v5, 0x6f, vcc_lo
	v_lshl_add_u32 v6, 0x200000, v5, -1
	v_lshlrev_b32_e64 v7, v5, 0x100000
	v_and_b32_e32 v6, v6, v1
	v_cmp_eq_u32_e64 s16, v6, v7
	v_lshrrev_b32_e32 v6, v5, v1
	v_add_nc_u32_e32 v1, 0xffffff91, v3
	v_lshrrev_b32_e32 v3, 23, v6
	v_cndmask_b32_e64 v1, v1, 0xffffff92, vcc_lo
	v_xor_b32_e32 v3, 1, v3
	v_add_nc_u32_e32 v1, v5, v1
	v_bfe_u32 v5, v6, 21, 1
	v_add_nc_u32_e32 v5, -1, v5
	v_cndmask_b32_e64 v5, 0, v5, s16
	s_mov_b32 s16, exec_lo
	v_add_nc_u32_e32 v5, v5, v6
	v_and_b32_e32 v5, 0x1fffff, v5
	v_add_nc_u32_e32 v5, v5, v6
                                        ; implicit-def: $vgpr6
	v_cmpx_ne_u32_e64 v1, v3
	s_xor_b32 s16, exec_lo, s16
; %bb.827:                              ;   in Loop: Header=BB6_138 Depth=3
	v_cmp_lt_u32_e32 vcc_lo, 0xffffff, v5
	v_sub_nc_u32_e32 v1, v1, v3
	v_cndmask_b32_e64 v3, 0, 1, vcc_lo
	v_add_co_ci_u32_e64 v6, null, 0, v1, vcc_lo
	v_lshrrev_b32_e32 v5, v3, v5
; %bb.828:                              ;   in Loop: Header=BB6_138 Depth=3
	s_andn2_saveexec_b32 s16, s16
; %bb.829:                              ;   in Loop: Header=BB6_138 Depth=3
	v_bfe_u32 v6, v5, 23, 1
; %bb.830:                              ;   in Loop: Header=BB6_138 Depth=3
	s_or_b32 exec_lo, exec_lo, s16
	v_lshrrev_b32_e32 v1, 21, v5
	v_min_i32_e32 v3, 31, v6
	v_cmp_gt_i32_e32 vcc_lo, 32, v6
	v_and_b32_sdwa v0, v0, v117 dst_sel:DWORD dst_unused:UNUSED_PAD src0_sel:BYTE_3 src1_sel:DWORD
	v_lshlrev_b32_e32 v3, 2, v3
	v_cndmask_b32_e32 v1, 3, v1, vcc_lo
	v_and_b32_e32 v3, 0xfc, v3
	v_or_b32_e32 v5, v6, v1
	v_and_b32_e32 v1, 3, v1
	v_cmp_ne_u32_e32 vcc_lo, 0, v5
	v_or3_b32 v0, v3, v0, v1
	v_cndmask_b32_e32 v5, 0, v0, vcc_lo
.LBB6_831:                              ;   in Loop: Header=BB6_138 Depth=3
	s_or_b32 exec_lo, exec_lo, s73
.LBB6_832:                              ;   in Loop: Header=BB6_138 Depth=3
	s_or_b32 exec_lo, exec_lo, s72
	v_cmp_gt_i16_sdwa s72, v8, v116 src0_sel:BYTE_1 src1_sel:DWORD
	s_mov_b32 s16, 0
	s_and_saveexec_b32 s73, s72
	s_xor_b32 s72, exec_lo, s73
	s_cbranch_execz .LBB6_2034
; %bb.833:                              ;   in Loop: Header=BB6_138 Depth=3
	v_cmp_eq_u16_sdwa s74, v8, v117 src0_sel:BYTE_1 src1_sel:DWORD
	s_mov_b32 s16, -1
	s_and_saveexec_b32 s73, s74
; %bb.834:                              ;   in Loop: Header=BB6_138 Depth=3
	s_xor_b32 s16, exec_lo, -1
; %bb.835:                              ;   in Loop: Header=BB6_138 Depth=3
	s_or_b32 exec_lo, exec_lo, s73
	s_and_b32 s16, s16, exec_lo
	s_or_saveexec_b32 s72, s72
	v_mov_b32_e32 v0, 0x7f800001
	s_xor_b32 exec_lo, exec_lo, s72
	s_cbranch_execnz .LBB6_2035
.LBB6_836:                              ;   in Loop: Header=BB6_138 Depth=3
	s_or_b32 exec_lo, exec_lo, s72
	s_and_saveexec_b32 s72, s16
	s_cbranch_execz .LBB6_838
.LBB6_837:                              ;   in Loop: Header=BB6_138 Depth=3
	v_and_b32_sdwa v0, v118, v8 dst_sel:DWORD dst_unused:UNUSED_PAD src0_sel:DWORD src1_sel:BYTE_1
	v_and_b32_e32 v1, 3, v0
	v_bfe_u32 v7, v0, 2, 5
	v_ffbh_u32_e32 v3, v1
	v_cmp_eq_u32_e32 vcc_lo, 0, v7
	v_min_u32_e32 v3, 32, v3
	v_subrev_nc_u32_e32 v6, 29, v3
	v_sub_nc_u32_e32 v3, 30, v3
	v_lshlrev_b32_e32 v0, v6, v0
	v_lshlrev_b32_sdwa v6, v119, v8 dst_sel:DWORD dst_unused:UNUSED_PAD src0_sel:DWORD src1_sel:BYTE_1
	v_cndmask_b32_e32 v3, v7, v3, vcc_lo
	v_and_b32_e32 v0, 3, v0
	v_lshl_add_u32 v3, v3, 23, 0x37800000
	v_cndmask_b32_e32 v0, v1, v0, vcc_lo
	v_and_b32_e32 v1, 0x80000000, v6
	v_lshlrev_b32_e32 v0, 21, v0
	v_or3_b32 v0, v1, v3, v0
.LBB6_838:                              ;   in Loop: Header=BB6_138 Depth=3
	s_or_b32 exec_lo, exec_lo, s72
	v_mul_f32_e32 v0, s63, v0
	v_mov_b32_e32 v50, 0x8000
	s_mov_b32 s72, exec_lo
	v_and_b32_e32 v1, 0x7f800000, v0
	v_cmpx_ne_u32_e32 0x7f800000, v1
	s_cbranch_execz .LBB6_846
; %bb.839:                              ;   in Loop: Header=BB6_138 Depth=3
	v_mov_b32_e32 v50, 0
	s_mov_b32 s73, exec_lo
	v_cmpx_ne_u32_e32 0, v0
	s_cbranch_execz .LBB6_845
; %bb.840:                              ;   in Loop: Header=BB6_138 Depth=3
	v_bfe_u32 v3, v0, 23, 8
	v_and_b32_e32 v1, 0x7fffff, v0
	v_cmp_gt_u32_e64 s16, 0x71, v3
	v_sub_nc_u32_e32 v6, 0x70, v3
	v_cmp_eq_u32_e32 vcc_lo, 0, v3
	v_or_b32_e32 v7, 0x800000, v1
	v_cndmask_b32_e64 v6, 0, v6, s16
	v_cndmask_b32_e32 v1, v7, v1, vcc_lo
	v_cndmask_b32_e64 v6, v6, 0x6f, vcc_lo
	v_lshl_add_u32 v7, 0x200000, v6, -1
	v_lshlrev_b32_e64 v12, v6, 0x100000
	v_and_b32_e32 v7, v7, v1
	v_cmp_eq_u32_e64 s16, v7, v12
	v_lshrrev_b32_e32 v7, v6, v1
	v_add_nc_u32_e32 v1, 0xffffff91, v3
	v_lshrrev_b32_e32 v3, 23, v7
	v_cndmask_b32_e64 v1, v1, 0xffffff92, vcc_lo
	v_xor_b32_e32 v3, 1, v3
	v_add_nc_u32_e32 v1, v6, v1
	v_bfe_u32 v6, v7, 21, 1
	v_add_nc_u32_e32 v6, -1, v6
	v_cndmask_b32_e64 v6, 0, v6, s16
	s_mov_b32 s16, exec_lo
	v_add_nc_u32_e32 v6, v6, v7
	v_and_b32_e32 v6, 0x1fffff, v6
	v_add_nc_u32_e32 v6, v6, v7
                                        ; implicit-def: $vgpr7
	v_cmpx_ne_u32_e64 v1, v3
	s_xor_b32 s16, exec_lo, s16
; %bb.841:                              ;   in Loop: Header=BB6_138 Depth=3
	v_cmp_lt_u32_e32 vcc_lo, 0xffffff, v6
	v_sub_nc_u32_e32 v1, v1, v3
	v_cndmask_b32_e64 v3, 0, 1, vcc_lo
	v_add_co_ci_u32_e64 v7, null, 0, v1, vcc_lo
	v_lshrrev_b32_e32 v6, v3, v6
; %bb.842:                              ;   in Loop: Header=BB6_138 Depth=3
	s_andn2_saveexec_b32 s16, s16
; %bb.843:                              ;   in Loop: Header=BB6_138 Depth=3
	v_bfe_u32 v7, v6, 23, 1
; %bb.844:                              ;   in Loop: Header=BB6_138 Depth=3
	s_or_b32 exec_lo, exec_lo, s16
	v_lshrrev_b32_e32 v1, 21, v6
	v_min_i32_e32 v3, 31, v7
	v_cmp_gt_i32_e32 vcc_lo, 32, v7
	v_and_b32_sdwa v0, v0, v117 dst_sel:DWORD dst_unused:UNUSED_PAD src0_sel:BYTE_3 src1_sel:DWORD
	v_lshlrev_b32_e32 v3, 2, v3
	v_cndmask_b32_e32 v1, 3, v1, vcc_lo
	v_and_b32_e32 v3, 0xfc, v3
	v_or_b32_e32 v6, v7, v1
	v_and_b32_e32 v1, 3, v1
	v_cmp_ne_u32_e32 vcc_lo, 0, v6
	v_or3_b32 v0, v0, v3, v1
	v_lshlrev_b32_e32 v0, 8, v0
	v_cndmask_b32_e32 v50, 0, v0, vcc_lo
.LBB6_845:                              ;   in Loop: Header=BB6_138 Depth=3
	s_or_b32 exec_lo, exec_lo, s73
.LBB6_846:                              ;   in Loop: Header=BB6_138 Depth=3
	s_or_b32 exec_lo, exec_lo, s72
	v_and_b32_sdwa v1, v8, v40 dst_sel:DWORD dst_unused:UNUSED_PAD src0_sel:WORD_1 src1_sel:DWORD
	s_mov_b32 s72, 0
	s_mov_b32 s16, exec_lo
	v_cmpx_lt_i16_e32 0x7f, v1
	s_xor_b32 s16, exec_lo, s16
	s_cbranch_execz .LBB6_2036
; %bb.847:                              ;   in Loop: Header=BB6_138 Depth=3
	s_mov_b32 s72, -1
	s_mov_b32 s73, exec_lo
	v_cmpx_eq_u16_e32 0x80, v1
; %bb.848:                              ;   in Loop: Header=BB6_138 Depth=3
	s_xor_b32 s72, exec_lo, -1
; %bb.849:                              ;   in Loop: Header=BB6_138 Depth=3
	s_or_b32 exec_lo, exec_lo, s73
	s_and_b32 s72, s72, exec_lo
                                        ; implicit-def: $vgpr1
	s_or_saveexec_b32 s16, s16
	v_mov_b32_e32 v0, 0x7f800001
	s_xor_b32 exec_lo, exec_lo, s16
	s_cbranch_execnz .LBB6_2037
.LBB6_850:                              ;   in Loop: Header=BB6_138 Depth=3
	s_or_b32 exec_lo, exec_lo, s16
	s_and_saveexec_b32 s16, s72
	s_cbranch_execz .LBB6_852
.LBB6_851:                              ;   in Loop: Header=BB6_138 Depth=3
	v_bfe_u32 v0, v8, 16, 2
	v_bfe_u32 v1, v8, 18, 5
	v_ffbh_u32_e32 v3, v0
	v_cmp_eq_u32_e32 vcc_lo, 0, v1
	v_min_u32_e32 v3, 32, v3
	v_subrev_nc_u32_e32 v6, 29, v3
	v_sub_nc_u32_e32 v3, 30, v3
	v_lshlrev_b32_sdwa v6, v6, v8 dst_sel:DWORD dst_unused:UNUSED_PAD src0_sel:DWORD src1_sel:WORD_1
	v_cndmask_b32_e32 v1, v1, v3, vcc_lo
	v_lshlrev_b32_e32 v3, 8, v8
	v_and_b32_e32 v6, 3, v6
	v_lshl_add_u32 v1, v1, 23, 0x37800000
	v_and_b32_e32 v3, 0x80000000, v3
	v_cndmask_b32_e32 v0, v0, v6, vcc_lo
	v_lshlrev_b32_e32 v0, 21, v0
	v_or3_b32 v0, v3, v1, v0
.LBB6_852:                              ;   in Loop: Header=BB6_138 Depth=3
	s_or_b32 exec_lo, exec_lo, s16
	v_mul_f32_e32 v0, s63, v0
	v_mov_b32_e32 v51, 0x80
	s_mov_b32 s72, exec_lo
	v_and_b32_e32 v1, 0x7f800000, v0
	v_cmpx_ne_u32_e32 0x7f800000, v1
	s_cbranch_execz .LBB6_860
; %bb.853:                              ;   in Loop: Header=BB6_138 Depth=3
	v_mov_b32_e32 v51, 0
	s_mov_b32 s73, exec_lo
	v_cmpx_ne_u32_e32 0, v0
	s_cbranch_execz .LBB6_859
; %bb.854:                              ;   in Loop: Header=BB6_138 Depth=3
	v_bfe_u32 v3, v0, 23, 8
	v_and_b32_e32 v1, 0x7fffff, v0
	v_cmp_gt_u32_e64 s16, 0x71, v3
	v_sub_nc_u32_e32 v6, 0x70, v3
	v_cmp_eq_u32_e32 vcc_lo, 0, v3
	v_or_b32_e32 v7, 0x800000, v1
	v_cndmask_b32_e64 v6, 0, v6, s16
	v_cndmask_b32_e32 v1, v7, v1, vcc_lo
	v_cndmask_b32_e64 v6, v6, 0x6f, vcc_lo
	v_lshl_add_u32 v7, 0x200000, v6, -1
	v_lshlrev_b32_e64 v12, v6, 0x100000
	v_and_b32_e32 v7, v7, v1
	v_cmp_eq_u32_e64 s16, v7, v12
	v_lshrrev_b32_e32 v7, v6, v1
	v_add_nc_u32_e32 v1, 0xffffff91, v3
	v_lshrrev_b32_e32 v3, 23, v7
	v_cndmask_b32_e64 v1, v1, 0xffffff92, vcc_lo
	v_xor_b32_e32 v3, 1, v3
	v_add_nc_u32_e32 v1, v6, v1
	v_bfe_u32 v6, v7, 21, 1
	v_add_nc_u32_e32 v6, -1, v6
	v_cndmask_b32_e64 v6, 0, v6, s16
	s_mov_b32 s16, exec_lo
	v_add_nc_u32_e32 v6, v6, v7
	v_and_b32_e32 v6, 0x1fffff, v6
	v_add_nc_u32_e32 v6, v6, v7
                                        ; implicit-def: $vgpr7
	v_cmpx_ne_u32_e64 v1, v3
	s_xor_b32 s16, exec_lo, s16
; %bb.855:                              ;   in Loop: Header=BB6_138 Depth=3
	v_cmp_lt_u32_e32 vcc_lo, 0xffffff, v6
	v_sub_nc_u32_e32 v1, v1, v3
	v_cndmask_b32_e64 v3, 0, 1, vcc_lo
	v_add_co_ci_u32_e64 v7, null, 0, v1, vcc_lo
	v_lshrrev_b32_e32 v6, v3, v6
; %bb.856:                              ;   in Loop: Header=BB6_138 Depth=3
	s_andn2_saveexec_b32 s16, s16
; %bb.857:                              ;   in Loop: Header=BB6_138 Depth=3
	v_bfe_u32 v7, v6, 23, 1
; %bb.858:                              ;   in Loop: Header=BB6_138 Depth=3
	s_or_b32 exec_lo, exec_lo, s16
	v_lshrrev_b32_e32 v1, 21, v6
	v_min_i32_e32 v3, 31, v7
	v_cmp_gt_i32_e32 vcc_lo, 32, v7
	v_and_b32_sdwa v0, v0, v117 dst_sel:DWORD dst_unused:UNUSED_PAD src0_sel:BYTE_3 src1_sel:DWORD
	v_lshlrev_b32_e32 v3, 2, v3
	v_cndmask_b32_e32 v1, 3, v1, vcc_lo
	v_and_b32_e32 v3, 0xfc, v3
	v_or_b32_e32 v6, v7, v1
	v_and_b32_e32 v1, 3, v1
	v_cmp_ne_u32_e32 vcc_lo, 0, v6
	v_or3_b32 v0, v3, v0, v1
	v_cndmask_b32_e32 v51, 0, v0, vcc_lo
.LBB6_859:                              ;   in Loop: Header=BB6_138 Depth=3
	s_or_b32 exec_lo, exec_lo, s73
.LBB6_860:                              ;   in Loop: Header=BB6_138 Depth=3
	s_or_b32 exec_lo, exec_lo, s72
	v_cmp_gt_i16_sdwa s72, v8, v116 src0_sel:BYTE_3 src1_sel:DWORD
	s_mov_b32 s16, 0
	s_and_saveexec_b32 s73, s72
	s_xor_b32 s72, exec_lo, s73
	s_cbranch_execz .LBB6_2038
; %bb.861:                              ;   in Loop: Header=BB6_138 Depth=3
	v_cmp_eq_u16_sdwa s74, v8, v117 src0_sel:BYTE_3 src1_sel:DWORD
	s_mov_b32 s16, -1
	s_and_saveexec_b32 s73, s74
; %bb.862:                              ;   in Loop: Header=BB6_138 Depth=3
	s_xor_b32 s16, exec_lo, -1
; %bb.863:                              ;   in Loop: Header=BB6_138 Depth=3
	s_or_b32 exec_lo, exec_lo, s73
	s_and_b32 s16, s16, exec_lo
	s_or_saveexec_b32 s72, s72
	v_mov_b32_e32 v0, 0x7f800001
	s_xor_b32 exec_lo, exec_lo, s72
	s_cbranch_execnz .LBB6_2039
.LBB6_864:                              ;   in Loop: Header=BB6_138 Depth=3
	s_or_b32 exec_lo, exec_lo, s72
	s_and_saveexec_b32 s72, s16
	s_cbranch_execz .LBB6_866
.LBB6_865:                              ;   in Loop: Header=BB6_138 Depth=3
	v_bfe_u32 v0, v8, 24, 2
	v_bfe_u32 v6, v8, 26, 5
	v_ffbh_u32_e32 v1, v0
	v_cmp_eq_u32_e32 vcc_lo, 0, v6
	v_min_u32_e32 v1, 32, v1
	v_subrev_nc_u32_e32 v3, 29, v1
	v_sub_nc_u32_e32 v1, 30, v1
	v_lshlrev_b32_sdwa v3, v3, v8 dst_sel:DWORD dst_unused:UNUSED_PAD src0_sel:DWORD src1_sel:BYTE_3
	v_cndmask_b32_e32 v1, v6, v1, vcc_lo
	v_and_b32_e32 v3, 3, v3
	v_lshl_add_u32 v1, v1, 23, 0x37800000
	v_cndmask_b32_e32 v0, v0, v3, vcc_lo
	v_and_b32_e32 v3, 0x80000000, v8
	v_lshlrev_b32_e32 v0, 21, v0
	v_or3_b32 v0, v3, v1, v0
.LBB6_866:                              ;   in Loop: Header=BB6_138 Depth=3
	s_or_b32 exec_lo, exec_lo, s72
	v_mul_f32_e32 v0, s63, v0
	v_mov_b32_e32 v112, 0x8000
	s_mov_b32 s72, exec_lo
	v_and_b32_e32 v1, 0x7f800000, v0
	v_cmpx_ne_u32_e32 0x7f800000, v1
	s_cbranch_execz .LBB6_874
; %bb.867:                              ;   in Loop: Header=BB6_138 Depth=3
	v_mov_b32_e32 v112, 0
	s_mov_b32 s73, exec_lo
	v_cmpx_ne_u32_e32 0, v0
	s_cbranch_execz .LBB6_873
; %bb.868:                              ;   in Loop: Header=BB6_138 Depth=3
	v_bfe_u32 v3, v0, 23, 8
	v_and_b32_e32 v1, 0x7fffff, v0
	v_cmp_gt_u32_e64 s16, 0x71, v3
	v_sub_nc_u32_e32 v6, 0x70, v3
	v_cmp_eq_u32_e32 vcc_lo, 0, v3
	v_or_b32_e32 v7, 0x800000, v1
	v_cndmask_b32_e64 v6, 0, v6, s16
	v_cndmask_b32_e32 v1, v7, v1, vcc_lo
	v_cndmask_b32_e64 v6, v6, 0x6f, vcc_lo
	v_lshl_add_u32 v7, 0x200000, v6, -1
	v_lshlrev_b32_e64 v8, v6, 0x100000
	v_and_b32_e32 v7, v7, v1
	v_cmp_eq_u32_e64 s16, v7, v8
	v_lshrrev_b32_e32 v7, v6, v1
	v_add_nc_u32_e32 v1, 0xffffff91, v3
	v_lshrrev_b32_e32 v3, 23, v7
	v_cndmask_b32_e64 v1, v1, 0xffffff92, vcc_lo
	v_xor_b32_e32 v3, 1, v3
	v_add_nc_u32_e32 v1, v6, v1
	v_bfe_u32 v6, v7, 21, 1
	v_add_nc_u32_e32 v6, -1, v6
	v_cndmask_b32_e64 v6, 0, v6, s16
	s_mov_b32 s16, exec_lo
	v_add_nc_u32_e32 v6, v6, v7
	v_and_b32_e32 v6, 0x1fffff, v6
	v_add_nc_u32_e32 v6, v6, v7
                                        ; implicit-def: $vgpr7
	v_cmpx_ne_u32_e64 v1, v3
	s_xor_b32 s16, exec_lo, s16
; %bb.869:                              ;   in Loop: Header=BB6_138 Depth=3
	v_cmp_lt_u32_e32 vcc_lo, 0xffffff, v6
	v_sub_nc_u32_e32 v1, v1, v3
	v_cndmask_b32_e64 v3, 0, 1, vcc_lo
	v_add_co_ci_u32_e64 v7, null, 0, v1, vcc_lo
	v_lshrrev_b32_e32 v6, v3, v6
; %bb.870:                              ;   in Loop: Header=BB6_138 Depth=3
	s_andn2_saveexec_b32 s16, s16
; %bb.871:                              ;   in Loop: Header=BB6_138 Depth=3
	v_bfe_u32 v7, v6, 23, 1
; %bb.872:                              ;   in Loop: Header=BB6_138 Depth=3
	s_or_b32 exec_lo, exec_lo, s16
	v_lshrrev_b32_e32 v1, 21, v6
	v_min_i32_e32 v3, 31, v7
	v_cmp_gt_i32_e32 vcc_lo, 32, v7
	v_and_b32_sdwa v0, v0, v117 dst_sel:DWORD dst_unused:UNUSED_PAD src0_sel:BYTE_3 src1_sel:DWORD
	v_lshlrev_b32_e32 v3, 2, v3
	v_cndmask_b32_e32 v1, 3, v1, vcc_lo
	v_and_b32_e32 v3, 0xfc, v3
	v_or_b32_e32 v6, v7, v1
	v_and_b32_e32 v1, 3, v1
	v_cmp_ne_u32_e32 vcc_lo, 0, v6
	v_or3_b32 v0, v0, v3, v1
	v_lshlrev_b32_e32 v0, 8, v0
	v_cndmask_b32_e32 v112, 0, v0, vcc_lo
.LBB6_873:                              ;   in Loop: Header=BB6_138 Depth=3
	s_or_b32 exec_lo, exec_lo, s73
.LBB6_874:                              ;   in Loop: Header=BB6_138 Depth=3
	s_or_b32 exec_lo, exec_lo, s72
	v_cmp_gt_i16_sdwa s16, v9, v116 src0_sel:BYTE_0 src1_sel:DWORD
	s_mov_b32 s72, 0
	s_and_saveexec_b32 s73, s16
	s_xor_b32 s16, exec_lo, s73
	s_cbranch_execz .LBB6_2040
; %bb.875:                              ;   in Loop: Header=BB6_138 Depth=3
	v_cmp_eq_u16_sdwa s74, v9, v117 src0_sel:BYTE_0 src1_sel:DWORD
	s_mov_b32 s72, -1
	s_and_saveexec_b32 s73, s74
; %bb.876:                              ;   in Loop: Header=BB6_138 Depth=3
	s_xor_b32 s72, exec_lo, -1
; %bb.877:                              ;   in Loop: Header=BB6_138 Depth=3
	s_or_b32 exec_lo, exec_lo, s73
	s_and_b32 s72, s72, exec_lo
	s_or_saveexec_b32 s16, s16
	v_mov_b32_e32 v0, 0x7f800001
	s_xor_b32 exec_lo, exec_lo, s16
	s_cbranch_execnz .LBB6_2041
.LBB6_878:                              ;   in Loop: Header=BB6_138 Depth=3
	s_or_b32 exec_lo, exec_lo, s16
	s_and_saveexec_b32 s16, s72
	s_cbranch_execz .LBB6_880
.LBB6_879:                              ;   in Loop: Header=BB6_138 Depth=3
	v_and_b32_e32 v0, 3, v9
	v_bfe_u32 v1, v9, 2, 5
	v_ffbh_u32_e32 v3, v0
	v_cmp_eq_u32_e32 vcc_lo, 0, v1
	v_min_u32_e32 v3, 32, v3
	v_subrev_nc_u32_e32 v6, 29, v3
	v_sub_nc_u32_e32 v3, 30, v3
	v_lshlrev_b32_e32 v6, v6, v9
	v_cndmask_b32_e32 v1, v1, v3, vcc_lo
	v_lshlrev_b32_e32 v3, 24, v9
	v_and_b32_e32 v6, 3, v6
	v_lshl_add_u32 v1, v1, 23, 0x37800000
	v_and_b32_e32 v3, 0x80000000, v3
	v_cndmask_b32_e32 v0, v0, v6, vcc_lo
	v_lshlrev_b32_e32 v0, 21, v0
	v_or3_b32 v0, v3, v1, v0
.LBB6_880:                              ;   in Loop: Header=BB6_138 Depth=3
	s_or_b32 exec_lo, exec_lo, s16
	v_mul_f32_e32 v0, s63, v0
	v_mov_b32_e32 v31, 0x80
	s_mov_b32 s72, exec_lo
	v_and_b32_e32 v1, 0x7f800000, v0
	v_cmpx_ne_u32_e32 0x7f800000, v1
	s_cbranch_execz .LBB6_888
; %bb.881:                              ;   in Loop: Header=BB6_138 Depth=3
	v_mov_b32_e32 v31, 0
	s_mov_b32 s73, exec_lo
	v_cmpx_ne_u32_e32 0, v0
	s_cbranch_execz .LBB6_887
; %bb.882:                              ;   in Loop: Header=BB6_138 Depth=3
	v_bfe_u32 v3, v0, 23, 8
	v_and_b32_e32 v1, 0x7fffff, v0
	v_cmp_gt_u32_e64 s16, 0x71, v3
	v_sub_nc_u32_e32 v6, 0x70, v3
	v_cmp_eq_u32_e32 vcc_lo, 0, v3
	v_or_b32_e32 v7, 0x800000, v1
	v_cndmask_b32_e64 v6, 0, v6, s16
	v_cndmask_b32_e32 v1, v7, v1, vcc_lo
	v_cndmask_b32_e64 v6, v6, 0x6f, vcc_lo
	v_lshl_add_u32 v7, 0x200000, v6, -1
	v_lshlrev_b32_e64 v8, v6, 0x100000
	v_and_b32_e32 v7, v7, v1
	v_cmp_eq_u32_e64 s16, v7, v8
	v_lshrrev_b32_e32 v7, v6, v1
	v_add_nc_u32_e32 v1, 0xffffff91, v3
	v_lshrrev_b32_e32 v3, 23, v7
	v_cndmask_b32_e64 v1, v1, 0xffffff92, vcc_lo
	v_xor_b32_e32 v3, 1, v3
	v_add_nc_u32_e32 v1, v6, v1
	v_bfe_u32 v6, v7, 21, 1
	v_add_nc_u32_e32 v6, -1, v6
	v_cndmask_b32_e64 v6, 0, v6, s16
	s_mov_b32 s16, exec_lo
	v_add_nc_u32_e32 v6, v6, v7
	v_and_b32_e32 v6, 0x1fffff, v6
	v_add_nc_u32_e32 v6, v6, v7
                                        ; implicit-def: $vgpr7
	v_cmpx_ne_u32_e64 v1, v3
	s_xor_b32 s16, exec_lo, s16
; %bb.883:                              ;   in Loop: Header=BB6_138 Depth=3
	v_cmp_lt_u32_e32 vcc_lo, 0xffffff, v6
	v_sub_nc_u32_e32 v1, v1, v3
	v_cndmask_b32_e64 v3, 0, 1, vcc_lo
	v_add_co_ci_u32_e64 v7, null, 0, v1, vcc_lo
	v_lshrrev_b32_e32 v6, v3, v6
; %bb.884:                              ;   in Loop: Header=BB6_138 Depth=3
	s_andn2_saveexec_b32 s16, s16
; %bb.885:                              ;   in Loop: Header=BB6_138 Depth=3
	v_bfe_u32 v7, v6, 23, 1
; %bb.886:                              ;   in Loop: Header=BB6_138 Depth=3
	s_or_b32 exec_lo, exec_lo, s16
	v_lshrrev_b32_e32 v1, 21, v6
	v_min_i32_e32 v3, 31, v7
	v_cmp_gt_i32_e32 vcc_lo, 32, v7
	v_and_b32_sdwa v0, v0, v117 dst_sel:DWORD dst_unused:UNUSED_PAD src0_sel:BYTE_3 src1_sel:DWORD
	v_lshlrev_b32_e32 v3, 2, v3
	v_cndmask_b32_e32 v1, 3, v1, vcc_lo
	v_and_b32_e32 v3, 0xfc, v3
	v_or_b32_e32 v6, v7, v1
	v_and_b32_e32 v1, 3, v1
	v_cmp_ne_u32_e32 vcc_lo, 0, v6
	v_or3_b32 v0, v3, v0, v1
	v_cndmask_b32_e32 v31, 0, v0, vcc_lo
.LBB6_887:                              ;   in Loop: Header=BB6_138 Depth=3
	s_or_b32 exec_lo, exec_lo, s73
.LBB6_888:                              ;   in Loop: Header=BB6_138 Depth=3
	s_or_b32 exec_lo, exec_lo, s72
	v_cmp_gt_i16_sdwa s72, v9, v116 src0_sel:BYTE_1 src1_sel:DWORD
	s_mov_b32 s16, 0
	s_and_saveexec_b32 s73, s72
	s_xor_b32 s72, exec_lo, s73
	s_cbranch_execz .LBB6_2042
; %bb.889:                              ;   in Loop: Header=BB6_138 Depth=3
	v_cmp_eq_u16_sdwa s74, v9, v117 src0_sel:BYTE_1 src1_sel:DWORD
	s_mov_b32 s16, -1
	s_and_saveexec_b32 s73, s74
; %bb.890:                              ;   in Loop: Header=BB6_138 Depth=3
	s_xor_b32 s16, exec_lo, -1
; %bb.891:                              ;   in Loop: Header=BB6_138 Depth=3
	s_or_b32 exec_lo, exec_lo, s73
	s_and_b32 s16, s16, exec_lo
	s_or_saveexec_b32 s72, s72
	v_mov_b32_e32 v0, 0x7f800001
	s_xor_b32 exec_lo, exec_lo, s72
	s_cbranch_execnz .LBB6_2043
.LBB6_892:                              ;   in Loop: Header=BB6_138 Depth=3
	s_or_b32 exec_lo, exec_lo, s72
	s_and_saveexec_b32 s72, s16
	s_cbranch_execz .LBB6_894
.LBB6_893:                              ;   in Loop: Header=BB6_138 Depth=3
	v_and_b32_sdwa v0, v118, v9 dst_sel:DWORD dst_unused:UNUSED_PAD src0_sel:DWORD src1_sel:BYTE_1
	v_and_b32_e32 v1, 3, v0
	v_bfe_u32 v7, v0, 2, 5
	v_ffbh_u32_e32 v3, v1
	v_cmp_eq_u32_e32 vcc_lo, 0, v7
	v_min_u32_e32 v3, 32, v3
	v_subrev_nc_u32_e32 v6, 29, v3
	v_sub_nc_u32_e32 v3, 30, v3
	v_lshlrev_b32_e32 v0, v6, v0
	v_lshlrev_b32_sdwa v6, v119, v9 dst_sel:DWORD dst_unused:UNUSED_PAD src0_sel:DWORD src1_sel:BYTE_1
	v_cndmask_b32_e32 v3, v7, v3, vcc_lo
	v_and_b32_e32 v0, 3, v0
	v_lshl_add_u32 v3, v3, 23, 0x37800000
	v_cndmask_b32_e32 v0, v1, v0, vcc_lo
	v_and_b32_e32 v1, 0x80000000, v6
	v_lshlrev_b32_e32 v0, 21, v0
	v_or3_b32 v0, v1, v3, v0
.LBB6_894:                              ;   in Loop: Header=BB6_138 Depth=3
	s_or_b32 exec_lo, exec_lo, s72
	v_mul_f32_e32 v0, s63, v0
	v_and_b32_e32 v1, 0x7f800000, v0
	v_cmp_ne_u32_e32 vcc_lo, 0x7f800000, v1
	v_mov_b32_e32 v1, 0x8000
	s_and_saveexec_b32 s72, vcc_lo
	s_cbranch_execz .LBB6_902
; %bb.895:                              ;   in Loop: Header=BB6_138 Depth=3
	v_mov_b32_e32 v1, 0
	s_mov_b32 s73, exec_lo
	v_cmpx_ne_u32_e32 0, v0
	s_cbranch_execz .LBB6_901
; %bb.896:                              ;   in Loop: Header=BB6_138 Depth=3
	v_bfe_u32 v3, v0, 23, 8
	v_and_b32_e32 v1, 0x7fffff, v0
	v_cmp_gt_u32_e64 s16, 0x71, v3
	v_sub_nc_u32_e32 v6, 0x70, v3
	v_cmp_eq_u32_e32 vcc_lo, 0, v3
	v_or_b32_e32 v7, 0x800000, v1
	v_cndmask_b32_e64 v6, 0, v6, s16
	v_cndmask_b32_e32 v1, v7, v1, vcc_lo
	v_cndmask_b32_e64 v6, v6, 0x6f, vcc_lo
	v_lshl_add_u32 v7, 0x200000, v6, -1
	v_lshlrev_b32_e64 v8, v6, 0x100000
	v_and_b32_e32 v7, v7, v1
	v_cmp_eq_u32_e64 s16, v7, v8
	v_lshrrev_b32_e32 v7, v6, v1
	v_add_nc_u32_e32 v1, 0xffffff91, v3
	v_lshrrev_b32_e32 v3, 23, v7
	v_cndmask_b32_e64 v1, v1, 0xffffff92, vcc_lo
	v_xor_b32_e32 v3, 1, v3
	v_add_nc_u32_e32 v1, v6, v1
	v_bfe_u32 v6, v7, 21, 1
	v_add_nc_u32_e32 v6, -1, v6
	v_cndmask_b32_e64 v6, 0, v6, s16
	s_mov_b32 s16, exec_lo
	v_add_nc_u32_e32 v6, v6, v7
	v_and_b32_e32 v6, 0x1fffff, v6
	v_add_nc_u32_e32 v6, v6, v7
                                        ; implicit-def: $vgpr7
	v_cmpx_ne_u32_e64 v1, v3
	s_xor_b32 s16, exec_lo, s16
; %bb.897:                              ;   in Loop: Header=BB6_138 Depth=3
	v_cmp_lt_u32_e32 vcc_lo, 0xffffff, v6
	v_sub_nc_u32_e32 v1, v1, v3
	v_cndmask_b32_e64 v3, 0, 1, vcc_lo
	v_add_co_ci_u32_e64 v7, null, 0, v1, vcc_lo
	v_lshrrev_b32_e32 v6, v3, v6
; %bb.898:                              ;   in Loop: Header=BB6_138 Depth=3
	s_andn2_saveexec_b32 s16, s16
; %bb.899:                              ;   in Loop: Header=BB6_138 Depth=3
	v_bfe_u32 v7, v6, 23, 1
; %bb.900:                              ;   in Loop: Header=BB6_138 Depth=3
	s_or_b32 exec_lo, exec_lo, s16
	v_lshrrev_b32_e32 v1, 21, v6
	v_min_i32_e32 v3, 31, v7
	v_cmp_gt_i32_e32 vcc_lo, 32, v7
	v_and_b32_sdwa v0, v0, v117 dst_sel:DWORD dst_unused:UNUSED_PAD src0_sel:BYTE_3 src1_sel:DWORD
	v_lshlrev_b32_e32 v3, 2, v3
	v_cndmask_b32_e32 v1, 3, v1, vcc_lo
	v_and_b32_e32 v3, 0xfc, v3
	v_or_b32_e32 v6, v7, v1
	v_and_b32_e32 v1, 3, v1
	v_cmp_ne_u32_e32 vcc_lo, 0, v6
	v_or3_b32 v0, v0, v3, v1
	v_lshlrev_b32_e32 v0, 8, v0
	v_cndmask_b32_e32 v1, 0, v0, vcc_lo
.LBB6_901:                              ;   in Loop: Header=BB6_138 Depth=3
	s_or_b32 exec_lo, exec_lo, s73
.LBB6_902:                              ;   in Loop: Header=BB6_138 Depth=3
	s_or_b32 exec_lo, exec_lo, s72
	v_and_b32_sdwa v3, v9, v40 dst_sel:DWORD dst_unused:UNUSED_PAD src0_sel:WORD_1 src1_sel:DWORD
	s_mov_b32 s72, 0
	s_mov_b32 s16, exec_lo
	v_cmpx_lt_i16_e32 0x7f, v3
	s_xor_b32 s16, exec_lo, s16
	s_cbranch_execz .LBB6_2044
; %bb.903:                              ;   in Loop: Header=BB6_138 Depth=3
	s_mov_b32 s72, -1
	s_mov_b32 s73, exec_lo
	v_cmpx_eq_u16_e32 0x80, v3
; %bb.904:                              ;   in Loop: Header=BB6_138 Depth=3
	s_xor_b32 s72, exec_lo, -1
; %bb.905:                              ;   in Loop: Header=BB6_138 Depth=3
	s_or_b32 exec_lo, exec_lo, s73
	s_and_b32 s72, s72, exec_lo
                                        ; implicit-def: $vgpr3
	s_or_saveexec_b32 s16, s16
	v_mov_b32_e32 v0, 0x7f800001
	s_xor_b32 exec_lo, exec_lo, s16
	s_cbranch_execnz .LBB6_2045
.LBB6_906:                              ;   in Loop: Header=BB6_138 Depth=3
	s_or_b32 exec_lo, exec_lo, s16
	s_and_saveexec_b32 s16, s72
	s_cbranch_execz .LBB6_908
.LBB6_907:                              ;   in Loop: Header=BB6_138 Depth=3
	v_bfe_u32 v0, v9, 16, 2
	v_bfe_u32 v3, v9, 18, 5
	v_ffbh_u32_e32 v6, v0
	v_cmp_eq_u32_e32 vcc_lo, 0, v3
	v_min_u32_e32 v6, 32, v6
	v_subrev_nc_u32_e32 v7, 29, v6
	v_sub_nc_u32_e32 v6, 30, v6
	v_lshlrev_b32_sdwa v7, v7, v9 dst_sel:DWORD dst_unused:UNUSED_PAD src0_sel:DWORD src1_sel:WORD_1
	v_cndmask_b32_e32 v3, v3, v6, vcc_lo
	v_lshlrev_b32_e32 v6, 8, v9
	v_and_b32_e32 v7, 3, v7
	v_lshl_add_u32 v3, v3, 23, 0x37800000
	v_and_b32_e32 v6, 0x80000000, v6
	v_cndmask_b32_e32 v0, v0, v7, vcc_lo
	v_lshlrev_b32_e32 v0, 21, v0
	v_or3_b32 v0, v6, v3, v0
.LBB6_908:                              ;   in Loop: Header=BB6_138 Depth=3
	s_or_b32 exec_lo, exec_lo, s16
	v_mul_f32_e32 v0, s63, v0
	v_mov_b32_e32 v113, 0x80
	s_mov_b32 s72, exec_lo
	v_and_b32_e32 v3, 0x7f800000, v0
	v_cmpx_ne_u32_e32 0x7f800000, v3
	s_cbranch_execz .LBB6_916
; %bb.909:                              ;   in Loop: Header=BB6_138 Depth=3
	v_mov_b32_e32 v113, 0
	s_mov_b32 s73, exec_lo
	v_cmpx_ne_u32_e32 0, v0
	s_cbranch_execz .LBB6_915
; %bb.910:                              ;   in Loop: Header=BB6_138 Depth=3
	v_bfe_u32 v6, v0, 23, 8
	v_and_b32_e32 v3, 0x7fffff, v0
	v_cmp_gt_u32_e64 s16, 0x71, v6
	v_sub_nc_u32_e32 v7, 0x70, v6
	v_cmp_eq_u32_e32 vcc_lo, 0, v6
	v_or_b32_e32 v8, 0x800000, v3
	v_cndmask_b32_e64 v7, 0, v7, s16
	v_cndmask_b32_e32 v3, v8, v3, vcc_lo
	v_cndmask_b32_e64 v7, v7, 0x6f, vcc_lo
	v_lshl_add_u32 v8, 0x200000, v7, -1
	v_lshlrev_b32_e64 v12, v7, 0x100000
	v_and_b32_e32 v8, v8, v3
	v_cmp_eq_u32_e64 s16, v8, v12
	v_lshrrev_b32_e32 v8, v7, v3
	v_add_nc_u32_e32 v3, 0xffffff91, v6
	v_lshrrev_b32_e32 v6, 23, v8
	v_cndmask_b32_e64 v3, v3, 0xffffff92, vcc_lo
	v_xor_b32_e32 v6, 1, v6
	v_add_nc_u32_e32 v3, v7, v3
	v_bfe_u32 v7, v8, 21, 1
	v_add_nc_u32_e32 v7, -1, v7
	v_cndmask_b32_e64 v7, 0, v7, s16
	s_mov_b32 s16, exec_lo
	v_add_nc_u32_e32 v7, v7, v8
	v_and_b32_e32 v7, 0x1fffff, v7
	v_add_nc_u32_e32 v7, v7, v8
                                        ; implicit-def: $vgpr8
	v_cmpx_ne_u32_e64 v3, v6
	s_xor_b32 s16, exec_lo, s16
; %bb.911:                              ;   in Loop: Header=BB6_138 Depth=3
	v_cmp_lt_u32_e32 vcc_lo, 0xffffff, v7
	v_sub_nc_u32_e32 v3, v3, v6
	v_cndmask_b32_e64 v6, 0, 1, vcc_lo
	v_add_co_ci_u32_e64 v8, null, 0, v3, vcc_lo
	v_lshrrev_b32_e32 v7, v6, v7
; %bb.912:                              ;   in Loop: Header=BB6_138 Depth=3
	s_andn2_saveexec_b32 s16, s16
; %bb.913:                              ;   in Loop: Header=BB6_138 Depth=3
	v_bfe_u32 v8, v7, 23, 1
; %bb.914:                              ;   in Loop: Header=BB6_138 Depth=3
	s_or_b32 exec_lo, exec_lo, s16
	v_lshrrev_b32_e32 v3, 21, v7
	v_min_i32_e32 v6, 31, v8
	v_cmp_gt_i32_e32 vcc_lo, 32, v8
	v_and_b32_sdwa v0, v0, v117 dst_sel:DWORD dst_unused:UNUSED_PAD src0_sel:BYTE_3 src1_sel:DWORD
	v_lshlrev_b32_e32 v6, 2, v6
	v_cndmask_b32_e32 v3, 3, v3, vcc_lo
	v_and_b32_e32 v6, 0xfc, v6
	v_or_b32_e32 v7, v8, v3
	v_and_b32_e32 v3, 3, v3
	v_cmp_ne_u32_e32 vcc_lo, 0, v7
	v_or3_b32 v0, v6, v0, v3
	v_cndmask_b32_e32 v113, 0, v0, vcc_lo
.LBB6_915:                              ;   in Loop: Header=BB6_138 Depth=3
	s_or_b32 exec_lo, exec_lo, s73
.LBB6_916:                              ;   in Loop: Header=BB6_138 Depth=3
	s_or_b32 exec_lo, exec_lo, s72
	v_cmp_gt_i16_sdwa s72, v9, v116 src0_sel:BYTE_3 src1_sel:DWORD
	s_mov_b32 s16, 0
	s_and_saveexec_b32 s73, s72
	s_xor_b32 s72, exec_lo, s73
	s_cbranch_execz .LBB6_2046
; %bb.917:                              ;   in Loop: Header=BB6_138 Depth=3
	v_cmp_eq_u16_sdwa s74, v9, v117 src0_sel:BYTE_3 src1_sel:DWORD
	s_mov_b32 s16, -1
	s_and_saveexec_b32 s73, s74
; %bb.918:                              ;   in Loop: Header=BB6_138 Depth=3
	s_xor_b32 s16, exec_lo, -1
; %bb.919:                              ;   in Loop: Header=BB6_138 Depth=3
	s_or_b32 exec_lo, exec_lo, s73
	s_and_b32 s16, s16, exec_lo
	s_or_saveexec_b32 s72, s72
	v_mov_b32_e32 v0, 0x7f800001
	s_xor_b32 exec_lo, exec_lo, s72
	s_cbranch_execnz .LBB6_2047
.LBB6_920:                              ;   in Loop: Header=BB6_138 Depth=3
	s_or_b32 exec_lo, exec_lo, s72
	s_and_saveexec_b32 s72, s16
	s_cbranch_execz .LBB6_922
.LBB6_921:                              ;   in Loop: Header=BB6_138 Depth=3
	v_bfe_u32 v0, v9, 24, 2
	v_bfe_u32 v7, v9, 26, 5
	v_ffbh_u32_e32 v3, v0
	v_cmp_eq_u32_e32 vcc_lo, 0, v7
	v_min_u32_e32 v3, 32, v3
	v_subrev_nc_u32_e32 v6, 29, v3
	v_sub_nc_u32_e32 v3, 30, v3
	v_lshlrev_b32_sdwa v6, v6, v9 dst_sel:DWORD dst_unused:UNUSED_PAD src0_sel:DWORD src1_sel:BYTE_3
	v_cndmask_b32_e32 v3, v7, v3, vcc_lo
	v_and_b32_e32 v6, 3, v6
	v_lshl_add_u32 v3, v3, 23, 0x37800000
	v_cndmask_b32_e32 v0, v0, v6, vcc_lo
	v_and_b32_e32 v6, 0x80000000, v9
	v_lshlrev_b32_e32 v0, 21, v0
	v_or3_b32 v0, v6, v3, v0
.LBB6_922:                              ;   in Loop: Header=BB6_138 Depth=3
	s_or_b32 exec_lo, exec_lo, s72
	v_mul_f32_e32 v0, s63, v0
	v_mov_b32_e32 v80, 0x8000
	s_mov_b32 s72, exec_lo
	v_and_b32_e32 v3, 0x7f800000, v0
	v_cmpx_ne_u32_e32 0x7f800000, v3
	s_cbranch_execz .LBB6_930
; %bb.923:                              ;   in Loop: Header=BB6_138 Depth=3
	v_mov_b32_e32 v80, 0
	s_mov_b32 s73, exec_lo
	v_cmpx_ne_u32_e32 0, v0
	s_cbranch_execz .LBB6_929
; %bb.924:                              ;   in Loop: Header=BB6_138 Depth=3
	v_bfe_u32 v6, v0, 23, 8
	v_and_b32_e32 v3, 0x7fffff, v0
	v_cmp_gt_u32_e64 s16, 0x71, v6
	v_sub_nc_u32_e32 v7, 0x70, v6
	v_cmp_eq_u32_e32 vcc_lo, 0, v6
	v_or_b32_e32 v8, 0x800000, v3
	v_cndmask_b32_e64 v7, 0, v7, s16
	v_cndmask_b32_e32 v3, v8, v3, vcc_lo
	v_cndmask_b32_e64 v7, v7, 0x6f, vcc_lo
	v_lshl_add_u32 v8, 0x200000, v7, -1
	v_lshlrev_b32_e64 v9, v7, 0x100000
	v_and_b32_e32 v8, v8, v3
	v_cmp_eq_u32_e64 s16, v8, v9
	v_lshrrev_b32_e32 v8, v7, v3
	v_add_nc_u32_e32 v3, 0xffffff91, v6
	v_lshrrev_b32_e32 v6, 23, v8
	v_cndmask_b32_e64 v3, v3, 0xffffff92, vcc_lo
	v_xor_b32_e32 v6, 1, v6
	v_add_nc_u32_e32 v3, v7, v3
	v_bfe_u32 v7, v8, 21, 1
	v_add_nc_u32_e32 v7, -1, v7
	v_cndmask_b32_e64 v7, 0, v7, s16
	s_mov_b32 s16, exec_lo
	v_add_nc_u32_e32 v7, v7, v8
	v_and_b32_e32 v7, 0x1fffff, v7
	v_add_nc_u32_e32 v7, v7, v8
                                        ; implicit-def: $vgpr8
	v_cmpx_ne_u32_e64 v3, v6
	s_xor_b32 s16, exec_lo, s16
; %bb.925:                              ;   in Loop: Header=BB6_138 Depth=3
	v_cmp_lt_u32_e32 vcc_lo, 0xffffff, v7
	v_sub_nc_u32_e32 v3, v3, v6
	v_cndmask_b32_e64 v6, 0, 1, vcc_lo
	v_add_co_ci_u32_e64 v8, null, 0, v3, vcc_lo
	v_lshrrev_b32_e32 v7, v6, v7
; %bb.926:                              ;   in Loop: Header=BB6_138 Depth=3
	s_andn2_saveexec_b32 s16, s16
; %bb.927:                              ;   in Loop: Header=BB6_138 Depth=3
	v_bfe_u32 v8, v7, 23, 1
; %bb.928:                              ;   in Loop: Header=BB6_138 Depth=3
	s_or_b32 exec_lo, exec_lo, s16
	v_lshrrev_b32_e32 v3, 21, v7
	v_min_i32_e32 v6, 31, v8
	v_cmp_gt_i32_e32 vcc_lo, 32, v8
	v_and_b32_sdwa v0, v0, v117 dst_sel:DWORD dst_unused:UNUSED_PAD src0_sel:BYTE_3 src1_sel:DWORD
	v_lshlrev_b32_e32 v6, 2, v6
	v_cndmask_b32_e32 v3, 3, v3, vcc_lo
	v_and_b32_e32 v6, 0xfc, v6
	v_or_b32_e32 v7, v8, v3
	v_and_b32_e32 v3, 3, v3
	v_cmp_ne_u32_e32 vcc_lo, 0, v7
	v_or3_b32 v0, v0, v6, v3
	v_lshlrev_b32_e32 v0, 8, v0
	v_cndmask_b32_e32 v80, 0, v0, vcc_lo
.LBB6_929:                              ;   in Loop: Header=BB6_138 Depth=3
	s_or_b32 exec_lo, exec_lo, s73
.LBB6_930:                              ;   in Loop: Header=BB6_138 Depth=3
	s_or_b32 exec_lo, exec_lo, s72
	v_cmp_gt_i16_sdwa s16, v10, v116 src0_sel:BYTE_0 src1_sel:DWORD
	s_mov_b32 s72, 0
	s_and_saveexec_b32 s73, s16
	s_xor_b32 s16, exec_lo, s73
	s_cbranch_execz .LBB6_2048
; %bb.931:                              ;   in Loop: Header=BB6_138 Depth=3
	v_cmp_eq_u16_sdwa s74, v10, v117 src0_sel:BYTE_0 src1_sel:DWORD
	s_mov_b32 s72, -1
	s_and_saveexec_b32 s73, s74
; %bb.932:                              ;   in Loop: Header=BB6_138 Depth=3
	s_xor_b32 s72, exec_lo, -1
; %bb.933:                              ;   in Loop: Header=BB6_138 Depth=3
	s_or_b32 exec_lo, exec_lo, s73
	s_and_b32 s72, s72, exec_lo
	s_or_saveexec_b32 s16, s16
	v_mov_b32_e32 v0, 0x7f800001
	s_xor_b32 exec_lo, exec_lo, s16
	s_cbranch_execnz .LBB6_2049
.LBB6_934:                              ;   in Loop: Header=BB6_138 Depth=3
	s_or_b32 exec_lo, exec_lo, s16
	s_and_saveexec_b32 s16, s72
	s_cbranch_execz .LBB6_936
.LBB6_935:                              ;   in Loop: Header=BB6_138 Depth=3
	v_and_b32_e32 v0, 3, v10
	v_bfe_u32 v3, v10, 2, 5
	v_ffbh_u32_e32 v6, v0
	v_cmp_eq_u32_e32 vcc_lo, 0, v3
	v_min_u32_e32 v6, 32, v6
	v_subrev_nc_u32_e32 v7, 29, v6
	v_sub_nc_u32_e32 v6, 30, v6
	v_lshlrev_b32_e32 v7, v7, v10
	v_cndmask_b32_e32 v3, v3, v6, vcc_lo
	v_lshlrev_b32_e32 v6, 24, v10
	v_and_b32_e32 v7, 3, v7
	v_lshl_add_u32 v3, v3, 23, 0x37800000
	v_and_b32_e32 v6, 0x80000000, v6
	v_cndmask_b32_e32 v0, v0, v7, vcc_lo
	v_lshlrev_b32_e32 v0, 21, v0
	v_or3_b32 v0, v6, v3, v0
.LBB6_936:                              ;   in Loop: Header=BB6_138 Depth=3
	s_or_b32 exec_lo, exec_lo, s16
	v_mul_f32_e32 v0, s63, v0
	v_mov_b32_e32 v66, 0x80
	s_mov_b32 s72, exec_lo
	v_and_b32_e32 v3, 0x7f800000, v0
	v_cmpx_ne_u32_e32 0x7f800000, v3
	s_cbranch_execz .LBB6_944
; %bb.937:                              ;   in Loop: Header=BB6_138 Depth=3
	v_mov_b32_e32 v66, 0
	s_mov_b32 s73, exec_lo
	v_cmpx_ne_u32_e32 0, v0
	s_cbranch_execz .LBB6_943
; %bb.938:                              ;   in Loop: Header=BB6_138 Depth=3
	v_bfe_u32 v6, v0, 23, 8
	v_and_b32_e32 v3, 0x7fffff, v0
	v_cmp_gt_u32_e64 s16, 0x71, v6
	v_sub_nc_u32_e32 v7, 0x70, v6
	v_cmp_eq_u32_e32 vcc_lo, 0, v6
	v_or_b32_e32 v8, 0x800000, v3
	v_cndmask_b32_e64 v7, 0, v7, s16
	v_cndmask_b32_e32 v3, v8, v3, vcc_lo
	v_cndmask_b32_e64 v7, v7, 0x6f, vcc_lo
	v_lshl_add_u32 v8, 0x200000, v7, -1
	v_lshlrev_b32_e64 v9, v7, 0x100000
	v_and_b32_e32 v8, v8, v3
	v_cmp_eq_u32_e64 s16, v8, v9
	v_lshrrev_b32_e32 v8, v7, v3
	v_add_nc_u32_e32 v3, 0xffffff91, v6
	v_lshrrev_b32_e32 v6, 23, v8
	v_cndmask_b32_e64 v3, v3, 0xffffff92, vcc_lo
	v_xor_b32_e32 v6, 1, v6
	v_add_nc_u32_e32 v3, v7, v3
	v_bfe_u32 v7, v8, 21, 1
	v_add_nc_u32_e32 v7, -1, v7
	v_cndmask_b32_e64 v7, 0, v7, s16
	s_mov_b32 s16, exec_lo
	v_add_nc_u32_e32 v7, v7, v8
	v_and_b32_e32 v7, 0x1fffff, v7
	v_add_nc_u32_e32 v7, v7, v8
                                        ; implicit-def: $vgpr8
	v_cmpx_ne_u32_e64 v3, v6
	s_xor_b32 s16, exec_lo, s16
; %bb.939:                              ;   in Loop: Header=BB6_138 Depth=3
	v_cmp_lt_u32_e32 vcc_lo, 0xffffff, v7
	v_sub_nc_u32_e32 v3, v3, v6
	v_cndmask_b32_e64 v6, 0, 1, vcc_lo
	v_add_co_ci_u32_e64 v8, null, 0, v3, vcc_lo
	v_lshrrev_b32_e32 v7, v6, v7
; %bb.940:                              ;   in Loop: Header=BB6_138 Depth=3
	s_andn2_saveexec_b32 s16, s16
; %bb.941:                              ;   in Loop: Header=BB6_138 Depth=3
	v_bfe_u32 v8, v7, 23, 1
; %bb.942:                              ;   in Loop: Header=BB6_138 Depth=3
	s_or_b32 exec_lo, exec_lo, s16
	v_lshrrev_b32_e32 v3, 21, v7
	v_min_i32_e32 v6, 31, v8
	v_cmp_gt_i32_e32 vcc_lo, 32, v8
	v_and_b32_sdwa v0, v0, v117 dst_sel:DWORD dst_unused:UNUSED_PAD src0_sel:BYTE_3 src1_sel:DWORD
	v_lshlrev_b32_e32 v6, 2, v6
	v_cndmask_b32_e32 v3, 3, v3, vcc_lo
	v_and_b32_e32 v6, 0xfc, v6
	v_or_b32_e32 v7, v8, v3
	v_and_b32_e32 v3, 3, v3
	v_cmp_ne_u32_e32 vcc_lo, 0, v7
	v_or3_b32 v0, v6, v0, v3
	v_cndmask_b32_e32 v66, 0, v0, vcc_lo
.LBB6_943:                              ;   in Loop: Header=BB6_138 Depth=3
	s_or_b32 exec_lo, exec_lo, s73
.LBB6_944:                              ;   in Loop: Header=BB6_138 Depth=3
	s_or_b32 exec_lo, exec_lo, s72
	v_cmp_gt_i16_sdwa s72, v10, v116 src0_sel:BYTE_1 src1_sel:DWORD
	s_mov_b32 s16, 0
	s_and_saveexec_b32 s73, s72
	s_xor_b32 s72, exec_lo, s73
	s_cbranch_execz .LBB6_2050
; %bb.945:                              ;   in Loop: Header=BB6_138 Depth=3
	v_cmp_eq_u16_sdwa s74, v10, v117 src0_sel:BYTE_1 src1_sel:DWORD
	s_mov_b32 s16, -1
	s_and_saveexec_b32 s73, s74
; %bb.946:                              ;   in Loop: Header=BB6_138 Depth=3
	s_xor_b32 s16, exec_lo, -1
; %bb.947:                              ;   in Loop: Header=BB6_138 Depth=3
	s_or_b32 exec_lo, exec_lo, s73
	s_and_b32 s16, s16, exec_lo
	s_or_saveexec_b32 s72, s72
	v_mov_b32_e32 v0, 0x7f800001
	s_xor_b32 exec_lo, exec_lo, s72
	s_cbranch_execnz .LBB6_2051
.LBB6_948:                              ;   in Loop: Header=BB6_138 Depth=3
	s_or_b32 exec_lo, exec_lo, s72
	s_and_saveexec_b32 s72, s16
	s_cbranch_execz .LBB6_950
.LBB6_949:                              ;   in Loop: Header=BB6_138 Depth=3
	v_and_b32_sdwa v0, v118, v10 dst_sel:DWORD dst_unused:UNUSED_PAD src0_sel:DWORD src1_sel:BYTE_1
	v_and_b32_e32 v3, 3, v0
	v_bfe_u32 v8, v0, 2, 5
	v_ffbh_u32_e32 v6, v3
	v_cmp_eq_u32_e32 vcc_lo, 0, v8
	v_min_u32_e32 v6, 32, v6
	v_subrev_nc_u32_e32 v7, 29, v6
	v_sub_nc_u32_e32 v6, 30, v6
	v_lshlrev_b32_e32 v0, v7, v0
	v_lshlrev_b32_sdwa v7, v119, v10 dst_sel:DWORD dst_unused:UNUSED_PAD src0_sel:DWORD src1_sel:BYTE_1
	v_cndmask_b32_e32 v6, v8, v6, vcc_lo
	v_and_b32_e32 v0, 3, v0
	v_lshl_add_u32 v6, v6, 23, 0x37800000
	v_cndmask_b32_e32 v0, v3, v0, vcc_lo
	v_and_b32_e32 v3, 0x80000000, v7
	v_lshlrev_b32_e32 v0, 21, v0
	v_or3_b32 v0, v3, v6, v0
.LBB6_950:                              ;   in Loop: Header=BB6_138 Depth=3
	s_or_b32 exec_lo, exec_lo, s72
	v_mul_f32_e32 v0, s63, v0
	v_mov_b32_e32 v67, 0x8000
	s_mov_b32 s72, exec_lo
	v_and_b32_e32 v3, 0x7f800000, v0
	v_cmpx_ne_u32_e32 0x7f800000, v3
	s_cbranch_execz .LBB6_958
; %bb.951:                              ;   in Loop: Header=BB6_138 Depth=3
	v_mov_b32_e32 v67, 0
	s_mov_b32 s73, exec_lo
	v_cmpx_ne_u32_e32 0, v0
	s_cbranch_execz .LBB6_957
; %bb.952:                              ;   in Loop: Header=BB6_138 Depth=3
	v_bfe_u32 v6, v0, 23, 8
	v_and_b32_e32 v3, 0x7fffff, v0
	v_cmp_gt_u32_e64 s16, 0x71, v6
	v_sub_nc_u32_e32 v7, 0x70, v6
	v_cmp_eq_u32_e32 vcc_lo, 0, v6
	v_or_b32_e32 v8, 0x800000, v3
	v_cndmask_b32_e64 v7, 0, v7, s16
	v_cndmask_b32_e32 v3, v8, v3, vcc_lo
	v_cndmask_b32_e64 v7, v7, 0x6f, vcc_lo
	v_lshl_add_u32 v8, 0x200000, v7, -1
	v_lshlrev_b32_e64 v9, v7, 0x100000
	v_and_b32_e32 v8, v8, v3
	v_cmp_eq_u32_e64 s16, v8, v9
	v_lshrrev_b32_e32 v8, v7, v3
	v_add_nc_u32_e32 v3, 0xffffff91, v6
	v_lshrrev_b32_e32 v6, 23, v8
	v_cndmask_b32_e64 v3, v3, 0xffffff92, vcc_lo
	v_xor_b32_e32 v6, 1, v6
	v_add_nc_u32_e32 v3, v7, v3
	v_bfe_u32 v7, v8, 21, 1
	v_add_nc_u32_e32 v7, -1, v7
	v_cndmask_b32_e64 v7, 0, v7, s16
	s_mov_b32 s16, exec_lo
	v_add_nc_u32_e32 v7, v7, v8
	v_and_b32_e32 v7, 0x1fffff, v7
	v_add_nc_u32_e32 v7, v7, v8
                                        ; implicit-def: $vgpr8
	v_cmpx_ne_u32_e64 v3, v6
	s_xor_b32 s16, exec_lo, s16
; %bb.953:                              ;   in Loop: Header=BB6_138 Depth=3
	v_cmp_lt_u32_e32 vcc_lo, 0xffffff, v7
	v_sub_nc_u32_e32 v3, v3, v6
	v_cndmask_b32_e64 v6, 0, 1, vcc_lo
	v_add_co_ci_u32_e64 v8, null, 0, v3, vcc_lo
	v_lshrrev_b32_e32 v7, v6, v7
; %bb.954:                              ;   in Loop: Header=BB6_138 Depth=3
	s_andn2_saveexec_b32 s16, s16
; %bb.955:                              ;   in Loop: Header=BB6_138 Depth=3
	v_bfe_u32 v8, v7, 23, 1
; %bb.956:                              ;   in Loop: Header=BB6_138 Depth=3
	s_or_b32 exec_lo, exec_lo, s16
	v_lshrrev_b32_e32 v3, 21, v7
	v_min_i32_e32 v6, 31, v8
	v_cmp_gt_i32_e32 vcc_lo, 32, v8
	v_and_b32_sdwa v0, v0, v117 dst_sel:DWORD dst_unused:UNUSED_PAD src0_sel:BYTE_3 src1_sel:DWORD
	v_lshlrev_b32_e32 v6, 2, v6
	v_cndmask_b32_e32 v3, 3, v3, vcc_lo
	v_and_b32_e32 v6, 0xfc, v6
	v_or_b32_e32 v7, v8, v3
	v_and_b32_e32 v3, 3, v3
	v_cmp_ne_u32_e32 vcc_lo, 0, v7
	v_or3_b32 v0, v0, v6, v3
	v_lshlrev_b32_e32 v0, 8, v0
	v_cndmask_b32_e32 v67, 0, v0, vcc_lo
.LBB6_957:                              ;   in Loop: Header=BB6_138 Depth=3
	s_or_b32 exec_lo, exec_lo, s73
.LBB6_958:                              ;   in Loop: Header=BB6_138 Depth=3
	s_or_b32 exec_lo, exec_lo, s72
	v_and_b32_sdwa v3, v10, v40 dst_sel:DWORD dst_unused:UNUSED_PAD src0_sel:WORD_1 src1_sel:DWORD
	s_mov_b32 s72, 0
	s_mov_b32 s16, exec_lo
	v_cmpx_lt_i16_e32 0x7f, v3
	s_xor_b32 s16, exec_lo, s16
	s_cbranch_execz .LBB6_2052
; %bb.959:                              ;   in Loop: Header=BB6_138 Depth=3
	s_mov_b32 s72, -1
	s_mov_b32 s73, exec_lo
	v_cmpx_eq_u16_e32 0x80, v3
; %bb.960:                              ;   in Loop: Header=BB6_138 Depth=3
	s_xor_b32 s72, exec_lo, -1
; %bb.961:                              ;   in Loop: Header=BB6_138 Depth=3
	s_or_b32 exec_lo, exec_lo, s73
	s_and_b32 s72, s72, exec_lo
                                        ; implicit-def: $vgpr3
	s_or_saveexec_b32 s16, s16
	v_mov_b32_e32 v0, 0x7f800001
	s_xor_b32 exec_lo, exec_lo, s16
	s_cbranch_execnz .LBB6_2053
.LBB6_962:                              ;   in Loop: Header=BB6_138 Depth=3
	s_or_b32 exec_lo, exec_lo, s16
	s_and_saveexec_b32 s16, s72
	s_cbranch_execz .LBB6_964
.LBB6_963:                              ;   in Loop: Header=BB6_138 Depth=3
	v_bfe_u32 v0, v10, 16, 2
	v_bfe_u32 v3, v10, 18, 5
	v_ffbh_u32_e32 v6, v0
	v_cmp_eq_u32_e32 vcc_lo, 0, v3
	v_min_u32_e32 v6, 32, v6
	v_subrev_nc_u32_e32 v7, 29, v6
	v_sub_nc_u32_e32 v6, 30, v6
	v_lshlrev_b32_sdwa v7, v7, v10 dst_sel:DWORD dst_unused:UNUSED_PAD src0_sel:DWORD src1_sel:WORD_1
	v_cndmask_b32_e32 v3, v3, v6, vcc_lo
	v_lshlrev_b32_e32 v6, 8, v10
	v_and_b32_e32 v7, 3, v7
	v_lshl_add_u32 v3, v3, 23, 0x37800000
	v_and_b32_e32 v6, 0x80000000, v6
	v_cndmask_b32_e32 v0, v0, v7, vcc_lo
	v_lshlrev_b32_e32 v0, 21, v0
	v_or3_b32 v0, v6, v3, v0
.LBB6_964:                              ;   in Loop: Header=BB6_138 Depth=3
	s_or_b32 exec_lo, exec_lo, s16
	v_mul_f32_e32 v0, s63, v0
	v_mov_b32_e32 v43, 0x80
	s_mov_b32 s72, exec_lo
	v_and_b32_e32 v3, 0x7f800000, v0
	v_cmpx_ne_u32_e32 0x7f800000, v3
	s_cbranch_execz .LBB6_972
; %bb.965:                              ;   in Loop: Header=BB6_138 Depth=3
	v_mov_b32_e32 v43, 0
	s_mov_b32 s73, exec_lo
	v_cmpx_ne_u32_e32 0, v0
	s_cbranch_execz .LBB6_971
; %bb.966:                              ;   in Loop: Header=BB6_138 Depth=3
	v_bfe_u32 v6, v0, 23, 8
	v_and_b32_e32 v3, 0x7fffff, v0
	v_cmp_gt_u32_e64 s16, 0x71, v6
	v_sub_nc_u32_e32 v7, 0x70, v6
	v_cmp_eq_u32_e32 vcc_lo, 0, v6
	v_or_b32_e32 v8, 0x800000, v3
	v_cndmask_b32_e64 v7, 0, v7, s16
	v_cndmask_b32_e32 v3, v8, v3, vcc_lo
	v_cndmask_b32_e64 v7, v7, 0x6f, vcc_lo
	v_lshl_add_u32 v8, 0x200000, v7, -1
	v_lshlrev_b32_e64 v9, v7, 0x100000
	v_and_b32_e32 v8, v8, v3
	v_cmp_eq_u32_e64 s16, v8, v9
	v_lshrrev_b32_e32 v8, v7, v3
	v_add_nc_u32_e32 v3, 0xffffff91, v6
	v_lshrrev_b32_e32 v6, 23, v8
	v_cndmask_b32_e64 v3, v3, 0xffffff92, vcc_lo
	v_xor_b32_e32 v6, 1, v6
	v_add_nc_u32_e32 v3, v7, v3
	v_bfe_u32 v7, v8, 21, 1
	v_add_nc_u32_e32 v7, -1, v7
	v_cndmask_b32_e64 v7, 0, v7, s16
	s_mov_b32 s16, exec_lo
	v_add_nc_u32_e32 v7, v7, v8
	v_and_b32_e32 v7, 0x1fffff, v7
	v_add_nc_u32_e32 v7, v7, v8
                                        ; implicit-def: $vgpr8
	v_cmpx_ne_u32_e64 v3, v6
	s_xor_b32 s16, exec_lo, s16
; %bb.967:                              ;   in Loop: Header=BB6_138 Depth=3
	v_cmp_lt_u32_e32 vcc_lo, 0xffffff, v7
	v_sub_nc_u32_e32 v3, v3, v6
	v_cndmask_b32_e64 v6, 0, 1, vcc_lo
	v_add_co_ci_u32_e64 v8, null, 0, v3, vcc_lo
	v_lshrrev_b32_e32 v7, v6, v7
; %bb.968:                              ;   in Loop: Header=BB6_138 Depth=3
	s_andn2_saveexec_b32 s16, s16
; %bb.969:                              ;   in Loop: Header=BB6_138 Depth=3
	v_bfe_u32 v8, v7, 23, 1
; %bb.970:                              ;   in Loop: Header=BB6_138 Depth=3
	s_or_b32 exec_lo, exec_lo, s16
	v_lshrrev_b32_e32 v3, 21, v7
	v_min_i32_e32 v6, 31, v8
	v_cmp_gt_i32_e32 vcc_lo, 32, v8
	v_and_b32_sdwa v0, v0, v117 dst_sel:DWORD dst_unused:UNUSED_PAD src0_sel:BYTE_3 src1_sel:DWORD
	v_lshlrev_b32_e32 v6, 2, v6
	v_cndmask_b32_e32 v3, 3, v3, vcc_lo
	v_and_b32_e32 v6, 0xfc, v6
	v_or_b32_e32 v7, v8, v3
	v_and_b32_e32 v3, 3, v3
	v_cmp_ne_u32_e32 vcc_lo, 0, v7
	v_or3_b32 v0, v6, v0, v3
	v_cndmask_b32_e32 v43, 0, v0, vcc_lo
.LBB6_971:                              ;   in Loop: Header=BB6_138 Depth=3
	s_or_b32 exec_lo, exec_lo, s73
.LBB6_972:                              ;   in Loop: Header=BB6_138 Depth=3
	s_or_b32 exec_lo, exec_lo, s72
	v_cmp_gt_i16_sdwa s72, v10, v116 src0_sel:BYTE_3 src1_sel:DWORD
	s_mov_b32 s16, 0
	s_and_saveexec_b32 s73, s72
	s_xor_b32 s72, exec_lo, s73
	s_cbranch_execz .LBB6_2054
; %bb.973:                              ;   in Loop: Header=BB6_138 Depth=3
	v_cmp_eq_u16_sdwa s74, v10, v117 src0_sel:BYTE_3 src1_sel:DWORD
	s_mov_b32 s16, -1
	s_and_saveexec_b32 s73, s74
; %bb.974:                              ;   in Loop: Header=BB6_138 Depth=3
	s_xor_b32 s16, exec_lo, -1
; %bb.975:                              ;   in Loop: Header=BB6_138 Depth=3
	s_or_b32 exec_lo, exec_lo, s73
	s_and_b32 s16, s16, exec_lo
	s_or_saveexec_b32 s72, s72
	v_mov_b32_e32 v0, 0x7f800001
	s_xor_b32 exec_lo, exec_lo, s72
	s_cbranch_execnz .LBB6_2055
.LBB6_976:                              ;   in Loop: Header=BB6_138 Depth=3
	s_or_b32 exec_lo, exec_lo, s72
	s_and_saveexec_b32 s72, s16
	s_cbranch_execz .LBB6_978
.LBB6_977:                              ;   in Loop: Header=BB6_138 Depth=3
	v_bfe_u32 v0, v10, 24, 2
	v_bfe_u32 v7, v10, 26, 5
	v_ffbh_u32_e32 v3, v0
	v_cmp_eq_u32_e32 vcc_lo, 0, v7
	v_min_u32_e32 v3, 32, v3
	v_subrev_nc_u32_e32 v6, 29, v3
	v_sub_nc_u32_e32 v3, 30, v3
	v_lshlrev_b32_sdwa v6, v6, v10 dst_sel:DWORD dst_unused:UNUSED_PAD src0_sel:DWORD src1_sel:BYTE_3
	v_cndmask_b32_e32 v3, v7, v3, vcc_lo
	v_and_b32_e32 v6, 3, v6
	v_lshl_add_u32 v3, v3, 23, 0x37800000
	v_cndmask_b32_e32 v0, v0, v6, vcc_lo
	v_and_b32_e32 v6, 0x80000000, v10
	v_lshlrev_b32_e32 v0, 21, v0
	v_or3_b32 v0, v6, v3, v0
.LBB6_978:                              ;   in Loop: Header=BB6_138 Depth=3
	s_or_b32 exec_lo, exec_lo, s72
	v_mul_f32_e32 v0, s63, v0
	v_mov_b32_e32 v102, 0x8000
	s_mov_b32 s72, exec_lo
	v_and_b32_e32 v3, 0x7f800000, v0
	v_cmpx_ne_u32_e32 0x7f800000, v3
	s_cbranch_execz .LBB6_986
; %bb.979:                              ;   in Loop: Header=BB6_138 Depth=3
	v_mov_b32_e32 v102, 0
	s_mov_b32 s73, exec_lo
	v_cmpx_ne_u32_e32 0, v0
	s_cbranch_execz .LBB6_985
; %bb.980:                              ;   in Loop: Header=BB6_138 Depth=3
	v_bfe_u32 v6, v0, 23, 8
	v_and_b32_e32 v3, 0x7fffff, v0
	v_cmp_gt_u32_e64 s16, 0x71, v6
	v_sub_nc_u32_e32 v7, 0x70, v6
	v_cmp_eq_u32_e32 vcc_lo, 0, v6
	v_or_b32_e32 v8, 0x800000, v3
	v_cndmask_b32_e64 v7, 0, v7, s16
	v_cndmask_b32_e32 v3, v8, v3, vcc_lo
	v_cndmask_b32_e64 v7, v7, 0x6f, vcc_lo
	v_lshl_add_u32 v8, 0x200000, v7, -1
	v_lshlrev_b32_e64 v9, v7, 0x100000
	v_and_b32_e32 v8, v8, v3
	v_cmp_eq_u32_e64 s16, v8, v9
	v_lshrrev_b32_e32 v8, v7, v3
	v_add_nc_u32_e32 v3, 0xffffff91, v6
	v_lshrrev_b32_e32 v6, 23, v8
	v_cndmask_b32_e64 v3, v3, 0xffffff92, vcc_lo
	v_xor_b32_e32 v6, 1, v6
	v_add_nc_u32_e32 v3, v7, v3
	v_bfe_u32 v7, v8, 21, 1
	v_add_nc_u32_e32 v7, -1, v7
	v_cndmask_b32_e64 v7, 0, v7, s16
	s_mov_b32 s16, exec_lo
	v_add_nc_u32_e32 v7, v7, v8
	v_and_b32_e32 v7, 0x1fffff, v7
	v_add_nc_u32_e32 v7, v7, v8
                                        ; implicit-def: $vgpr8
	v_cmpx_ne_u32_e64 v3, v6
	s_xor_b32 s16, exec_lo, s16
; %bb.981:                              ;   in Loop: Header=BB6_138 Depth=3
	v_cmp_lt_u32_e32 vcc_lo, 0xffffff, v7
	v_sub_nc_u32_e32 v3, v3, v6
	v_cndmask_b32_e64 v6, 0, 1, vcc_lo
	v_add_co_ci_u32_e64 v8, null, 0, v3, vcc_lo
	v_lshrrev_b32_e32 v7, v6, v7
; %bb.982:                              ;   in Loop: Header=BB6_138 Depth=3
	s_andn2_saveexec_b32 s16, s16
; %bb.983:                              ;   in Loop: Header=BB6_138 Depth=3
	v_bfe_u32 v8, v7, 23, 1
; %bb.984:                              ;   in Loop: Header=BB6_138 Depth=3
	s_or_b32 exec_lo, exec_lo, s16
	v_lshrrev_b32_e32 v3, 21, v7
	v_min_i32_e32 v6, 31, v8
	v_cmp_gt_i32_e32 vcc_lo, 32, v8
	v_and_b32_sdwa v0, v0, v117 dst_sel:DWORD dst_unused:UNUSED_PAD src0_sel:BYTE_3 src1_sel:DWORD
	v_lshlrev_b32_e32 v6, 2, v6
	v_cndmask_b32_e32 v3, 3, v3, vcc_lo
	v_and_b32_e32 v6, 0xfc, v6
	v_or_b32_e32 v7, v8, v3
	v_and_b32_e32 v3, 3, v3
	v_cmp_ne_u32_e32 vcc_lo, 0, v7
	v_or3_b32 v0, v0, v6, v3
	v_lshlrev_b32_e32 v0, 8, v0
	v_cndmask_b32_e32 v102, 0, v0, vcc_lo
.LBB6_985:                              ;   in Loop: Header=BB6_138 Depth=3
	s_or_b32 exec_lo, exec_lo, s73
.LBB6_986:                              ;   in Loop: Header=BB6_138 Depth=3
	s_or_b32 exec_lo, exec_lo, s72
	v_cmp_gt_i16_sdwa s16, v11, v116 src0_sel:BYTE_0 src1_sel:DWORD
	s_mov_b32 s72, 0
	s_and_saveexec_b32 s73, s16
	s_xor_b32 s16, exec_lo, s73
	s_cbranch_execz .LBB6_2056
; %bb.987:                              ;   in Loop: Header=BB6_138 Depth=3
	v_cmp_eq_u16_sdwa s74, v11, v117 src0_sel:BYTE_0 src1_sel:DWORD
	s_mov_b32 s72, -1
	s_and_saveexec_b32 s73, s74
; %bb.988:                              ;   in Loop: Header=BB6_138 Depth=3
	s_xor_b32 s72, exec_lo, -1
; %bb.989:                              ;   in Loop: Header=BB6_138 Depth=3
	s_or_b32 exec_lo, exec_lo, s73
	s_and_b32 s72, s72, exec_lo
	s_or_saveexec_b32 s16, s16
	v_mov_b32_e32 v0, 0x7f800001
	s_xor_b32 exec_lo, exec_lo, s16
	s_cbranch_execnz .LBB6_2057
.LBB6_990:                              ;   in Loop: Header=BB6_138 Depth=3
	s_or_b32 exec_lo, exec_lo, s16
	s_and_saveexec_b32 s16, s72
	s_cbranch_execz .LBB6_992
.LBB6_991:                              ;   in Loop: Header=BB6_138 Depth=3
	v_and_b32_e32 v0, 3, v11
	v_bfe_u32 v3, v11, 2, 5
	v_ffbh_u32_e32 v6, v0
	v_cmp_eq_u32_e32 vcc_lo, 0, v3
	v_min_u32_e32 v6, 32, v6
	v_subrev_nc_u32_e32 v7, 29, v6
	v_sub_nc_u32_e32 v6, 30, v6
	v_lshlrev_b32_e32 v7, v7, v11
	v_cndmask_b32_e32 v3, v3, v6, vcc_lo
	v_lshlrev_b32_e32 v6, 24, v11
	v_and_b32_e32 v7, 3, v7
	v_lshl_add_u32 v3, v3, 23, 0x37800000
	v_and_b32_e32 v6, 0x80000000, v6
	v_cndmask_b32_e32 v0, v0, v7, vcc_lo
	v_lshlrev_b32_e32 v0, 21, v0
	v_or3_b32 v0, v6, v3, v0
.LBB6_992:                              ;   in Loop: Header=BB6_138 Depth=3
	s_or_b32 exec_lo, exec_lo, s16
	v_mul_f32_e32 v0, s63, v0
	v_mov_b32_e32 v41, 0x80
	s_mov_b32 s72, exec_lo
	v_and_b32_e32 v3, 0x7f800000, v0
	v_cmpx_ne_u32_e32 0x7f800000, v3
	s_cbranch_execz .LBB6_1000
; %bb.993:                              ;   in Loop: Header=BB6_138 Depth=3
	v_mov_b32_e32 v41, 0
	s_mov_b32 s73, exec_lo
	v_cmpx_ne_u32_e32 0, v0
	s_cbranch_execz .LBB6_999
; %bb.994:                              ;   in Loop: Header=BB6_138 Depth=3
	v_bfe_u32 v6, v0, 23, 8
	v_and_b32_e32 v3, 0x7fffff, v0
	v_cmp_gt_u32_e64 s16, 0x71, v6
	v_sub_nc_u32_e32 v7, 0x70, v6
	v_cmp_eq_u32_e32 vcc_lo, 0, v6
	v_or_b32_e32 v8, 0x800000, v3
	v_cndmask_b32_e64 v7, 0, v7, s16
	v_cndmask_b32_e32 v3, v8, v3, vcc_lo
	v_cndmask_b32_e64 v7, v7, 0x6f, vcc_lo
	v_lshl_add_u32 v8, 0x200000, v7, -1
	v_lshlrev_b32_e64 v9, v7, 0x100000
	v_and_b32_e32 v8, v8, v3
	v_cmp_eq_u32_e64 s16, v8, v9
	v_lshrrev_b32_e32 v8, v7, v3
	v_add_nc_u32_e32 v3, 0xffffff91, v6
	v_lshrrev_b32_e32 v6, 23, v8
	v_cndmask_b32_e64 v3, v3, 0xffffff92, vcc_lo
	v_xor_b32_e32 v6, 1, v6
	v_add_nc_u32_e32 v3, v7, v3
	v_bfe_u32 v7, v8, 21, 1
	v_add_nc_u32_e32 v7, -1, v7
	v_cndmask_b32_e64 v7, 0, v7, s16
	s_mov_b32 s16, exec_lo
	v_add_nc_u32_e32 v7, v7, v8
	v_and_b32_e32 v7, 0x1fffff, v7
	v_add_nc_u32_e32 v7, v7, v8
                                        ; implicit-def: $vgpr8
	v_cmpx_ne_u32_e64 v3, v6
	s_xor_b32 s16, exec_lo, s16
; %bb.995:                              ;   in Loop: Header=BB6_138 Depth=3
	v_cmp_lt_u32_e32 vcc_lo, 0xffffff, v7
	v_sub_nc_u32_e32 v3, v3, v6
	v_cndmask_b32_e64 v6, 0, 1, vcc_lo
	v_add_co_ci_u32_e64 v8, null, 0, v3, vcc_lo
	v_lshrrev_b32_e32 v7, v6, v7
; %bb.996:                              ;   in Loop: Header=BB6_138 Depth=3
	s_andn2_saveexec_b32 s16, s16
; %bb.997:                              ;   in Loop: Header=BB6_138 Depth=3
	v_bfe_u32 v8, v7, 23, 1
; %bb.998:                              ;   in Loop: Header=BB6_138 Depth=3
	s_or_b32 exec_lo, exec_lo, s16
	v_lshrrev_b32_e32 v3, 21, v7
	v_min_i32_e32 v6, 31, v8
	v_cmp_gt_i32_e32 vcc_lo, 32, v8
	v_and_b32_sdwa v0, v0, v117 dst_sel:DWORD dst_unused:UNUSED_PAD src0_sel:BYTE_3 src1_sel:DWORD
	v_lshlrev_b32_e32 v6, 2, v6
	v_cndmask_b32_e32 v3, 3, v3, vcc_lo
	v_and_b32_e32 v6, 0xfc, v6
	v_or_b32_e32 v7, v8, v3
	v_and_b32_e32 v3, 3, v3
	v_cmp_ne_u32_e32 vcc_lo, 0, v7
	v_or3_b32 v0, v6, v0, v3
	v_cndmask_b32_e32 v41, 0, v0, vcc_lo
.LBB6_999:                              ;   in Loop: Header=BB6_138 Depth=3
	s_or_b32 exec_lo, exec_lo, s73
.LBB6_1000:                             ;   in Loop: Header=BB6_138 Depth=3
	s_or_b32 exec_lo, exec_lo, s72
	v_cmp_gt_i16_sdwa s72, v11, v116 src0_sel:BYTE_1 src1_sel:DWORD
	s_mov_b32 s16, 0
	s_and_saveexec_b32 s73, s72
	s_xor_b32 s72, exec_lo, s73
	s_cbranch_execz .LBB6_2058
; %bb.1001:                             ;   in Loop: Header=BB6_138 Depth=3
	v_cmp_eq_u16_sdwa s74, v11, v117 src0_sel:BYTE_1 src1_sel:DWORD
	s_mov_b32 s16, -1
	s_and_saveexec_b32 s73, s74
; %bb.1002:                             ;   in Loop: Header=BB6_138 Depth=3
	s_xor_b32 s16, exec_lo, -1
; %bb.1003:                             ;   in Loop: Header=BB6_138 Depth=3
	s_or_b32 exec_lo, exec_lo, s73
	s_and_b32 s16, s16, exec_lo
	s_or_saveexec_b32 s72, s72
	v_mov_b32_e32 v0, 0x7f800001
	s_xor_b32 exec_lo, exec_lo, s72
	s_cbranch_execnz .LBB6_2059
.LBB6_1004:                             ;   in Loop: Header=BB6_138 Depth=3
	s_or_b32 exec_lo, exec_lo, s72
	s_and_saveexec_b32 s72, s16
	s_cbranch_execz .LBB6_1006
.LBB6_1005:                             ;   in Loop: Header=BB6_138 Depth=3
	v_and_b32_sdwa v0, v118, v11 dst_sel:DWORD dst_unused:UNUSED_PAD src0_sel:DWORD src1_sel:BYTE_1
	v_and_b32_e32 v3, 3, v0
	v_bfe_u32 v8, v0, 2, 5
	v_ffbh_u32_e32 v6, v3
	v_cmp_eq_u32_e32 vcc_lo, 0, v8
	v_min_u32_e32 v6, 32, v6
	v_subrev_nc_u32_e32 v7, 29, v6
	v_sub_nc_u32_e32 v6, 30, v6
	v_lshlrev_b32_e32 v0, v7, v0
	v_lshlrev_b32_sdwa v7, v119, v11 dst_sel:DWORD dst_unused:UNUSED_PAD src0_sel:DWORD src1_sel:BYTE_1
	v_cndmask_b32_e32 v6, v8, v6, vcc_lo
	v_and_b32_e32 v0, 3, v0
	v_lshl_add_u32 v6, v6, 23, 0x37800000
	v_cndmask_b32_e32 v0, v3, v0, vcc_lo
	v_and_b32_e32 v3, 0x80000000, v7
	v_lshlrev_b32_e32 v0, 21, v0
	v_or3_b32 v0, v3, v6, v0
.LBB6_1006:                             ;   in Loop: Header=BB6_138 Depth=3
	s_or_b32 exec_lo, exec_lo, s72
	v_mul_f32_e32 v0, s63, v0
	v_mov_b32_e32 v54, 0x8000
	s_mov_b32 s72, exec_lo
	v_and_b32_e32 v3, 0x7f800000, v0
	v_cmpx_ne_u32_e32 0x7f800000, v3
	s_cbranch_execz .LBB6_1014
; %bb.1007:                             ;   in Loop: Header=BB6_138 Depth=3
	v_mov_b32_e32 v54, 0
	s_mov_b32 s73, exec_lo
	v_cmpx_ne_u32_e32 0, v0
	s_cbranch_execz .LBB6_1013
; %bb.1008:                             ;   in Loop: Header=BB6_138 Depth=3
	v_bfe_u32 v6, v0, 23, 8
	v_and_b32_e32 v3, 0x7fffff, v0
	v_cmp_gt_u32_e64 s16, 0x71, v6
	v_sub_nc_u32_e32 v7, 0x70, v6
	v_cmp_eq_u32_e32 vcc_lo, 0, v6
	v_or_b32_e32 v8, 0x800000, v3
	v_cndmask_b32_e64 v7, 0, v7, s16
	v_cndmask_b32_e32 v3, v8, v3, vcc_lo
	v_cndmask_b32_e64 v7, v7, 0x6f, vcc_lo
	v_lshl_add_u32 v8, 0x200000, v7, -1
	v_lshlrev_b32_e64 v9, v7, 0x100000
	v_and_b32_e32 v8, v8, v3
	v_cmp_eq_u32_e64 s16, v8, v9
	v_lshrrev_b32_e32 v8, v7, v3
	v_add_nc_u32_e32 v3, 0xffffff91, v6
	v_lshrrev_b32_e32 v6, 23, v8
	v_cndmask_b32_e64 v3, v3, 0xffffff92, vcc_lo
	v_xor_b32_e32 v6, 1, v6
	v_add_nc_u32_e32 v3, v7, v3
	v_bfe_u32 v7, v8, 21, 1
	v_add_nc_u32_e32 v7, -1, v7
	v_cndmask_b32_e64 v7, 0, v7, s16
	s_mov_b32 s16, exec_lo
	v_add_nc_u32_e32 v7, v7, v8
	v_and_b32_e32 v7, 0x1fffff, v7
	v_add_nc_u32_e32 v7, v7, v8
                                        ; implicit-def: $vgpr8
	v_cmpx_ne_u32_e64 v3, v6
	s_xor_b32 s16, exec_lo, s16
; %bb.1009:                             ;   in Loop: Header=BB6_138 Depth=3
	v_cmp_lt_u32_e32 vcc_lo, 0xffffff, v7
	v_sub_nc_u32_e32 v3, v3, v6
	v_cndmask_b32_e64 v6, 0, 1, vcc_lo
	v_add_co_ci_u32_e64 v8, null, 0, v3, vcc_lo
	v_lshrrev_b32_e32 v7, v6, v7
; %bb.1010:                             ;   in Loop: Header=BB6_138 Depth=3
	s_andn2_saveexec_b32 s16, s16
; %bb.1011:                             ;   in Loop: Header=BB6_138 Depth=3
	v_bfe_u32 v8, v7, 23, 1
; %bb.1012:                             ;   in Loop: Header=BB6_138 Depth=3
	s_or_b32 exec_lo, exec_lo, s16
	v_lshrrev_b32_e32 v3, 21, v7
	v_min_i32_e32 v6, 31, v8
	v_cmp_gt_i32_e32 vcc_lo, 32, v8
	v_and_b32_sdwa v0, v0, v117 dst_sel:DWORD dst_unused:UNUSED_PAD src0_sel:BYTE_3 src1_sel:DWORD
	v_lshlrev_b32_e32 v6, 2, v6
	v_cndmask_b32_e32 v3, 3, v3, vcc_lo
	v_and_b32_e32 v6, 0xfc, v6
	v_or_b32_e32 v7, v8, v3
	v_and_b32_e32 v3, 3, v3
	v_cmp_ne_u32_e32 vcc_lo, 0, v7
	v_or3_b32 v0, v0, v6, v3
	v_lshlrev_b32_e32 v0, 8, v0
	v_cndmask_b32_e32 v54, 0, v0, vcc_lo
.LBB6_1013:                             ;   in Loop: Header=BB6_138 Depth=3
	s_or_b32 exec_lo, exec_lo, s73
.LBB6_1014:                             ;   in Loop: Header=BB6_138 Depth=3
	s_or_b32 exec_lo, exec_lo, s72
	v_and_b32_sdwa v3, v11, v40 dst_sel:DWORD dst_unused:UNUSED_PAD src0_sel:WORD_1 src1_sel:DWORD
	s_mov_b32 s72, 0
	s_mov_b32 s16, exec_lo
	v_cmpx_lt_i16_e32 0x7f, v3
	s_xor_b32 s16, exec_lo, s16
	s_cbranch_execz .LBB6_2060
; %bb.1015:                             ;   in Loop: Header=BB6_138 Depth=3
	s_mov_b32 s72, -1
	s_mov_b32 s73, exec_lo
	v_cmpx_eq_u16_e32 0x80, v3
; %bb.1016:                             ;   in Loop: Header=BB6_138 Depth=3
	s_xor_b32 s72, exec_lo, -1
; %bb.1017:                             ;   in Loop: Header=BB6_138 Depth=3
	s_or_b32 exec_lo, exec_lo, s73
	s_and_b32 s72, s72, exec_lo
                                        ; implicit-def: $vgpr3
	s_or_saveexec_b32 s16, s16
	v_mov_b32_e32 v0, 0x7f800001
	s_xor_b32 exec_lo, exec_lo, s16
	s_cbranch_execnz .LBB6_2061
.LBB6_1018:                             ;   in Loop: Header=BB6_138 Depth=3
	s_or_b32 exec_lo, exec_lo, s16
	s_and_saveexec_b32 s16, s72
	s_cbranch_execz .LBB6_1020
.LBB6_1019:                             ;   in Loop: Header=BB6_138 Depth=3
	v_bfe_u32 v0, v11, 16, 2
	v_bfe_u32 v3, v11, 18, 5
	v_ffbh_u32_e32 v6, v0
	v_cmp_eq_u32_e32 vcc_lo, 0, v3
	v_min_u32_e32 v6, 32, v6
	v_subrev_nc_u32_e32 v7, 29, v6
	v_sub_nc_u32_e32 v6, 30, v6
	v_lshlrev_b32_sdwa v7, v7, v11 dst_sel:DWORD dst_unused:UNUSED_PAD src0_sel:DWORD src1_sel:WORD_1
	v_cndmask_b32_e32 v3, v3, v6, vcc_lo
	v_lshlrev_b32_e32 v6, 8, v11
	v_and_b32_e32 v7, 3, v7
	v_lshl_add_u32 v3, v3, 23, 0x37800000
	v_and_b32_e32 v6, 0x80000000, v6
	v_cndmask_b32_e32 v0, v0, v7, vcc_lo
	v_lshlrev_b32_e32 v0, 21, v0
	v_or3_b32 v0, v6, v3, v0
.LBB6_1020:                             ;   in Loop: Header=BB6_138 Depth=3
	s_or_b32 exec_lo, exec_lo, s16
	v_mul_f32_e32 v0, s63, v0
	v_mov_b32_e32 v55, 0x80
	s_mov_b32 s72, exec_lo
	v_and_b32_e32 v3, 0x7f800000, v0
	v_cmpx_ne_u32_e32 0x7f800000, v3
	s_cbranch_execz .LBB6_1028
; %bb.1021:                             ;   in Loop: Header=BB6_138 Depth=3
	v_mov_b32_e32 v55, 0
	s_mov_b32 s73, exec_lo
	v_cmpx_ne_u32_e32 0, v0
	s_cbranch_execz .LBB6_1027
; %bb.1022:                             ;   in Loop: Header=BB6_138 Depth=3
	v_bfe_u32 v6, v0, 23, 8
	v_and_b32_e32 v3, 0x7fffff, v0
	v_cmp_gt_u32_e64 s16, 0x71, v6
	v_sub_nc_u32_e32 v7, 0x70, v6
	v_cmp_eq_u32_e32 vcc_lo, 0, v6
	v_or_b32_e32 v8, 0x800000, v3
	v_cndmask_b32_e64 v7, 0, v7, s16
	v_cndmask_b32_e32 v3, v8, v3, vcc_lo
	v_cndmask_b32_e64 v7, v7, 0x6f, vcc_lo
	v_lshl_add_u32 v8, 0x200000, v7, -1
	v_lshlrev_b32_e64 v9, v7, 0x100000
	v_and_b32_e32 v8, v8, v3
	v_cmp_eq_u32_e64 s16, v8, v9
	v_lshrrev_b32_e32 v8, v7, v3
	v_add_nc_u32_e32 v3, 0xffffff91, v6
	v_lshrrev_b32_e32 v6, 23, v8
	v_cndmask_b32_e64 v3, v3, 0xffffff92, vcc_lo
	v_xor_b32_e32 v6, 1, v6
	v_add_nc_u32_e32 v3, v7, v3
	v_bfe_u32 v7, v8, 21, 1
	v_add_nc_u32_e32 v7, -1, v7
	v_cndmask_b32_e64 v7, 0, v7, s16
	s_mov_b32 s16, exec_lo
	v_add_nc_u32_e32 v7, v7, v8
	v_and_b32_e32 v7, 0x1fffff, v7
	v_add_nc_u32_e32 v7, v7, v8
                                        ; implicit-def: $vgpr8
	v_cmpx_ne_u32_e64 v3, v6
	s_xor_b32 s16, exec_lo, s16
; %bb.1023:                             ;   in Loop: Header=BB6_138 Depth=3
	v_cmp_lt_u32_e32 vcc_lo, 0xffffff, v7
	v_sub_nc_u32_e32 v3, v3, v6
	v_cndmask_b32_e64 v6, 0, 1, vcc_lo
	v_add_co_ci_u32_e64 v8, null, 0, v3, vcc_lo
	v_lshrrev_b32_e32 v7, v6, v7
; %bb.1024:                             ;   in Loop: Header=BB6_138 Depth=3
	s_andn2_saveexec_b32 s16, s16
; %bb.1025:                             ;   in Loop: Header=BB6_138 Depth=3
	v_bfe_u32 v8, v7, 23, 1
; %bb.1026:                             ;   in Loop: Header=BB6_138 Depth=3
	s_or_b32 exec_lo, exec_lo, s16
	v_lshrrev_b32_e32 v3, 21, v7
	v_min_i32_e32 v6, 31, v8
	v_cmp_gt_i32_e32 vcc_lo, 32, v8
	v_and_b32_sdwa v0, v0, v117 dst_sel:DWORD dst_unused:UNUSED_PAD src0_sel:BYTE_3 src1_sel:DWORD
	v_lshlrev_b32_e32 v6, 2, v6
	v_cndmask_b32_e32 v3, 3, v3, vcc_lo
	v_and_b32_e32 v6, 0xfc, v6
	v_or_b32_e32 v7, v8, v3
	v_and_b32_e32 v3, 3, v3
	v_cmp_ne_u32_e32 vcc_lo, 0, v7
	v_or3_b32 v0, v6, v0, v3
	v_cndmask_b32_e32 v55, 0, v0, vcc_lo
.LBB6_1027:                             ;   in Loop: Header=BB6_138 Depth=3
	s_or_b32 exec_lo, exec_lo, s73
.LBB6_1028:                             ;   in Loop: Header=BB6_138 Depth=3
	s_or_b32 exec_lo, exec_lo, s72
	v_cmp_gt_i16_sdwa s72, v11, v116 src0_sel:BYTE_3 src1_sel:DWORD
	s_mov_b32 s16, 0
	s_and_saveexec_b32 s73, s72
	s_xor_b32 s72, exec_lo, s73
	s_cbranch_execz .LBB6_2062
; %bb.1029:                             ;   in Loop: Header=BB6_138 Depth=3
	v_cmp_eq_u16_sdwa s74, v11, v117 src0_sel:BYTE_3 src1_sel:DWORD
	s_mov_b32 s16, -1
	s_and_saveexec_b32 s73, s74
; %bb.1030:                             ;   in Loop: Header=BB6_138 Depth=3
	s_xor_b32 s16, exec_lo, -1
; %bb.1031:                             ;   in Loop: Header=BB6_138 Depth=3
	s_or_b32 exec_lo, exec_lo, s73
	s_and_b32 s16, s16, exec_lo
	s_or_saveexec_b32 s72, s72
	v_mov_b32_e32 v0, 0x7f800001
	s_xor_b32 exec_lo, exec_lo, s72
	s_cbranch_execnz .LBB6_2063
.LBB6_1032:                             ;   in Loop: Header=BB6_138 Depth=3
	s_or_b32 exec_lo, exec_lo, s72
	s_and_saveexec_b32 s72, s16
	s_cbranch_execz .LBB6_1034
.LBB6_1033:                             ;   in Loop: Header=BB6_138 Depth=3
	v_bfe_u32 v0, v11, 24, 2
	v_bfe_u32 v7, v11, 26, 5
	v_ffbh_u32_e32 v3, v0
	v_cmp_eq_u32_e32 vcc_lo, 0, v7
	v_min_u32_e32 v3, 32, v3
	v_subrev_nc_u32_e32 v6, 29, v3
	v_sub_nc_u32_e32 v3, 30, v3
	v_lshlrev_b32_sdwa v6, v6, v11 dst_sel:DWORD dst_unused:UNUSED_PAD src0_sel:DWORD src1_sel:BYTE_3
	v_cndmask_b32_e32 v3, v7, v3, vcc_lo
	v_and_b32_e32 v6, 3, v6
	v_lshl_add_u32 v3, v3, 23, 0x37800000
	v_cndmask_b32_e32 v0, v0, v6, vcc_lo
	v_and_b32_e32 v6, 0x80000000, v11
	v_lshlrev_b32_e32 v0, 21, v0
	v_or3_b32 v0, v6, v3, v0
.LBB6_1034:                             ;   in Loop: Header=BB6_138 Depth=3
	s_or_b32 exec_lo, exec_lo, s72
	v_mul_f32_e32 v0, s63, v0
	v_mov_b32_e32 v57, 0x8000
	s_mov_b32 s72, exec_lo
	v_and_b32_e32 v3, 0x7f800000, v0
	v_cmpx_ne_u32_e32 0x7f800000, v3
	s_cbranch_execz .LBB6_1042
; %bb.1035:                             ;   in Loop: Header=BB6_138 Depth=3
	v_mov_b32_e32 v57, 0
	s_mov_b32 s73, exec_lo
	v_cmpx_ne_u32_e32 0, v0
	s_cbranch_execz .LBB6_1041
; %bb.1036:                             ;   in Loop: Header=BB6_138 Depth=3
	v_bfe_u32 v6, v0, 23, 8
	v_and_b32_e32 v3, 0x7fffff, v0
	v_cmp_gt_u32_e64 s16, 0x71, v6
	v_sub_nc_u32_e32 v7, 0x70, v6
	v_cmp_eq_u32_e32 vcc_lo, 0, v6
	v_or_b32_e32 v8, 0x800000, v3
	v_cndmask_b32_e64 v7, 0, v7, s16
	v_cndmask_b32_e32 v3, v8, v3, vcc_lo
	v_cndmask_b32_e64 v7, v7, 0x6f, vcc_lo
	v_lshl_add_u32 v8, 0x200000, v7, -1
	v_lshlrev_b32_e64 v9, v7, 0x100000
	v_and_b32_e32 v8, v8, v3
	v_cmp_eq_u32_e64 s16, v8, v9
	v_lshrrev_b32_e32 v8, v7, v3
	v_add_nc_u32_e32 v3, 0xffffff91, v6
	v_lshrrev_b32_e32 v6, 23, v8
	v_cndmask_b32_e64 v3, v3, 0xffffff92, vcc_lo
	v_xor_b32_e32 v6, 1, v6
	v_add_nc_u32_e32 v3, v7, v3
	v_bfe_u32 v7, v8, 21, 1
	v_add_nc_u32_e32 v7, -1, v7
	v_cndmask_b32_e64 v7, 0, v7, s16
	s_mov_b32 s16, exec_lo
	v_add_nc_u32_e32 v7, v7, v8
	v_and_b32_e32 v7, 0x1fffff, v7
	v_add_nc_u32_e32 v7, v7, v8
                                        ; implicit-def: $vgpr8
	v_cmpx_ne_u32_e64 v3, v6
	s_xor_b32 s16, exec_lo, s16
; %bb.1037:                             ;   in Loop: Header=BB6_138 Depth=3
	v_cmp_lt_u32_e32 vcc_lo, 0xffffff, v7
	v_sub_nc_u32_e32 v3, v3, v6
	v_cndmask_b32_e64 v6, 0, 1, vcc_lo
	v_add_co_ci_u32_e64 v8, null, 0, v3, vcc_lo
	v_lshrrev_b32_e32 v7, v6, v7
; %bb.1038:                             ;   in Loop: Header=BB6_138 Depth=3
	s_andn2_saveexec_b32 s16, s16
; %bb.1039:                             ;   in Loop: Header=BB6_138 Depth=3
	v_bfe_u32 v8, v7, 23, 1
; %bb.1040:                             ;   in Loop: Header=BB6_138 Depth=3
	s_or_b32 exec_lo, exec_lo, s16
	v_lshrrev_b32_e32 v3, 21, v7
	v_min_i32_e32 v6, 31, v8
	v_cmp_gt_i32_e32 vcc_lo, 32, v8
	v_and_b32_sdwa v0, v0, v117 dst_sel:DWORD dst_unused:UNUSED_PAD src0_sel:BYTE_3 src1_sel:DWORD
	v_lshlrev_b32_e32 v6, 2, v6
	v_cndmask_b32_e32 v3, 3, v3, vcc_lo
	v_and_b32_e32 v6, 0xfc, v6
	v_or_b32_e32 v7, v8, v3
	v_and_b32_e32 v3, 3, v3
	v_cmp_ne_u32_e32 vcc_lo, 0, v7
	v_or3_b32 v0, v0, v6, v3
	v_lshlrev_b32_e32 v0, 8, v0
	v_cndmask_b32_e32 v57, 0, v0, vcc_lo
.LBB6_1041:                             ;   in Loop: Header=BB6_138 Depth=3
	s_or_b32 exec_lo, exec_lo, s73
.LBB6_1042:                             ;   in Loop: Header=BB6_138 Depth=3
	s_or_b32 exec_lo, exec_lo, s72
	v_add_co_u32 v68, vcc_lo, 0x800, v68
	v_add_co_ci_u32_e64 v69, null, 0, v69, vcc_lo
	s_mov_b32 s72, 0
	global_load_dwordx4 v[8:11], v[68:69], off slc
	s_waitcnt vmcnt(0)
	v_cmp_gt_i16_sdwa s16, v8, v116 src0_sel:BYTE_0 src1_sel:DWORD
	s_and_saveexec_b32 s73, s16
	s_xor_b32 s16, exec_lo, s73
	s_cbranch_execz .LBB6_2064
; %bb.1043:                             ;   in Loop: Header=BB6_138 Depth=3
	v_cmp_eq_u16_sdwa s74, v8, v117 src0_sel:BYTE_0 src1_sel:DWORD
	s_mov_b32 s72, -1
	s_and_saveexec_b32 s73, s74
; %bb.1044:                             ;   in Loop: Header=BB6_138 Depth=3
	s_xor_b32 s72, exec_lo, -1
; %bb.1045:                             ;   in Loop: Header=BB6_138 Depth=3
	s_or_b32 exec_lo, exec_lo, s73
	s_and_b32 s72, s72, exec_lo
	s_or_saveexec_b32 s16, s16
	v_mov_b32_e32 v0, 0x7f800001
	s_xor_b32 exec_lo, exec_lo, s16
	s_cbranch_execnz .LBB6_2065
.LBB6_1046:                             ;   in Loop: Header=BB6_138 Depth=3
	s_or_b32 exec_lo, exec_lo, s16
	s_and_saveexec_b32 s16, s72
	s_cbranch_execz .LBB6_1048
.LBB6_1047:                             ;   in Loop: Header=BB6_138 Depth=3
	v_and_b32_e32 v0, 3, v8
	v_bfe_u32 v3, v8, 2, 5
	v_ffbh_u32_e32 v6, v0
	v_cmp_eq_u32_e32 vcc_lo, 0, v3
	v_min_u32_e32 v6, 32, v6
	v_subrev_nc_u32_e32 v7, 29, v6
	v_sub_nc_u32_e32 v6, 30, v6
	v_lshlrev_b32_e32 v7, v7, v8
	v_cndmask_b32_e32 v3, v3, v6, vcc_lo
	v_lshlrev_b32_e32 v6, 24, v8
	v_and_b32_e32 v7, 3, v7
	v_lshl_add_u32 v3, v3, 23, 0x37800000
	v_and_b32_e32 v6, 0x80000000, v6
	v_cndmask_b32_e32 v0, v0, v7, vcc_lo
	v_lshlrev_b32_e32 v0, 21, v0
	v_or3_b32 v0, v6, v3, v0
.LBB6_1048:                             ;   in Loop: Header=BB6_138 Depth=3
	s_or_b32 exec_lo, exec_lo, s16
	v_mul_f32_e32 v3, s63, v0
	v_and_b32_e32 v0, 0x7f800000, v3
	v_cmp_ne_u32_e32 vcc_lo, 0x7f800000, v0
	v_mov_b32_e32 v0, 0x80
	s_and_saveexec_b32 s72, vcc_lo
	s_cbranch_execz .LBB6_1056
; %bb.1049:                             ;   in Loop: Header=BB6_138 Depth=3
	v_mov_b32_e32 v0, 0
	s_mov_b32 s73, exec_lo
	v_cmpx_ne_u32_e32 0, v3
	s_cbranch_execz .LBB6_1055
; %bb.1050:                             ;   in Loop: Header=BB6_138 Depth=3
	v_bfe_u32 v6, v3, 23, 8
	v_and_b32_e32 v0, 0x7fffff, v3
	v_cmp_gt_u32_e64 s16, 0x71, v6
	v_sub_nc_u32_e32 v7, 0x70, v6
	v_cmp_eq_u32_e32 vcc_lo, 0, v6
	v_or_b32_e32 v12, 0x800000, v0
	v_cndmask_b32_e64 v7, 0, v7, s16
	v_cndmask_b32_e32 v0, v12, v0, vcc_lo
	v_cndmask_b32_e64 v7, v7, 0x6f, vcc_lo
	v_lshl_add_u32 v12, 0x200000, v7, -1
	v_lshlrev_b32_e64 v14, v7, 0x100000
	v_and_b32_e32 v12, v12, v0
	v_cmp_eq_u32_e64 s16, v12, v14
	v_lshrrev_b32_e32 v12, v7, v0
	v_add_nc_u32_e32 v0, 0xffffff91, v6
	v_lshrrev_b32_e32 v6, 23, v12
	v_cndmask_b32_e64 v0, v0, 0xffffff92, vcc_lo
	v_xor_b32_e32 v6, 1, v6
	v_add_nc_u32_e32 v0, v7, v0
	v_bfe_u32 v7, v12, 21, 1
	v_add_nc_u32_e32 v7, -1, v7
	v_cndmask_b32_e64 v7, 0, v7, s16
	s_mov_b32 s16, exec_lo
	v_add_nc_u32_e32 v7, v7, v12
	v_and_b32_e32 v7, 0x1fffff, v7
	v_add_nc_u32_e32 v7, v7, v12
                                        ; implicit-def: $vgpr12
	v_cmpx_ne_u32_e64 v0, v6
	s_xor_b32 s16, exec_lo, s16
; %bb.1051:                             ;   in Loop: Header=BB6_138 Depth=3
	v_cmp_lt_u32_e32 vcc_lo, 0xffffff, v7
	v_sub_nc_u32_e32 v0, v0, v6
	v_cndmask_b32_e64 v6, 0, 1, vcc_lo
	v_add_co_ci_u32_e64 v12, null, 0, v0, vcc_lo
	v_lshrrev_b32_e32 v7, v6, v7
; %bb.1052:                             ;   in Loop: Header=BB6_138 Depth=3
	s_andn2_saveexec_b32 s16, s16
; %bb.1053:                             ;   in Loop: Header=BB6_138 Depth=3
	v_bfe_u32 v12, v7, 23, 1
; %bb.1054:                             ;   in Loop: Header=BB6_138 Depth=3
	s_or_b32 exec_lo, exec_lo, s16
	v_and_b32_sdwa v0, v3, v117 dst_sel:DWORD dst_unused:UNUSED_PAD src0_sel:BYTE_3 src1_sel:DWORD
	v_lshrrev_b32_e32 v3, 21, v7
	v_min_i32_e32 v6, 31, v12
	v_cmp_gt_i32_e32 vcc_lo, 32, v12
	v_lshlrev_b32_e32 v6, 2, v6
	v_cndmask_b32_e32 v3, 3, v3, vcc_lo
	v_and_b32_e32 v6, 0xfc, v6
	v_or_b32_e32 v7, v12, v3
	v_and_b32_e32 v3, 3, v3
	v_cmp_ne_u32_e32 vcc_lo, 0, v7
	v_or3_b32 v0, v6, v0, v3
	v_cndmask_b32_e32 v0, 0, v0, vcc_lo
.LBB6_1055:                             ;   in Loop: Header=BB6_138 Depth=3
	s_or_b32 exec_lo, exec_lo, s73
.LBB6_1056:                             ;   in Loop: Header=BB6_138 Depth=3
	s_or_b32 exec_lo, exec_lo, s72
	v_cmp_gt_i16_sdwa s72, v8, v116 src0_sel:BYTE_1 src1_sel:DWORD
	s_mov_b32 s16, 0
	s_and_saveexec_b32 s73, s72
	s_xor_b32 s72, exec_lo, s73
	s_cbranch_execz .LBB6_2066
; %bb.1057:                             ;   in Loop: Header=BB6_138 Depth=3
	v_cmp_eq_u16_sdwa s74, v8, v117 src0_sel:BYTE_1 src1_sel:DWORD
	s_mov_b32 s16, -1
	s_and_saveexec_b32 s73, s74
; %bb.1058:                             ;   in Loop: Header=BB6_138 Depth=3
	s_xor_b32 s16, exec_lo, -1
; %bb.1059:                             ;   in Loop: Header=BB6_138 Depth=3
	s_or_b32 exec_lo, exec_lo, s73
	s_and_b32 s16, s16, exec_lo
	s_or_saveexec_b32 s72, s72
	v_mov_b32_e32 v3, 0x7f800001
	s_xor_b32 exec_lo, exec_lo, s72
	s_cbranch_execnz .LBB6_2067
.LBB6_1060:                             ;   in Loop: Header=BB6_138 Depth=3
	s_or_b32 exec_lo, exec_lo, s72
	s_and_saveexec_b32 s72, s16
	s_cbranch_execz .LBB6_1062
.LBB6_1061:                             ;   in Loop: Header=BB6_138 Depth=3
	v_and_b32_sdwa v3, v118, v8 dst_sel:DWORD dst_unused:UNUSED_PAD src0_sel:DWORD src1_sel:BYTE_1
	v_and_b32_e32 v6, 3, v3
	v_bfe_u32 v14, v3, 2, 5
	v_ffbh_u32_e32 v7, v6
	v_cmp_eq_u32_e32 vcc_lo, 0, v14
	v_min_u32_e32 v7, 32, v7
	v_subrev_nc_u32_e32 v12, 29, v7
	v_sub_nc_u32_e32 v7, 30, v7
	v_lshlrev_b32_e32 v3, v12, v3
	v_lshlrev_b32_sdwa v12, v119, v8 dst_sel:DWORD dst_unused:UNUSED_PAD src0_sel:DWORD src1_sel:BYTE_1
	v_cndmask_b32_e32 v7, v14, v7, vcc_lo
	v_and_b32_e32 v3, 3, v3
	v_lshl_add_u32 v7, v7, 23, 0x37800000
	v_cndmask_b32_e32 v3, v6, v3, vcc_lo
	v_and_b32_e32 v6, 0x80000000, v12
	v_lshlrev_b32_e32 v3, 21, v3
	v_or3_b32 v3, v6, v7, v3
.LBB6_1062:                             ;   in Loop: Header=BB6_138 Depth=3
	s_or_b32 exec_lo, exec_lo, s72
	v_mul_f32_e32 v3, s63, v3
	v_mov_b32_e32 v56, 0x8000
	s_mov_b32 s72, exec_lo
	v_and_b32_e32 v6, 0x7f800000, v3
	v_cmpx_ne_u32_e32 0x7f800000, v6
	s_cbranch_execz .LBB6_1070
; %bb.1063:                             ;   in Loop: Header=BB6_138 Depth=3
	v_mov_b32_e32 v56, 0
	s_mov_b32 s73, exec_lo
	v_cmpx_ne_u32_e32 0, v3
	s_cbranch_execz .LBB6_1069
; %bb.1064:                             ;   in Loop: Header=BB6_138 Depth=3
	v_bfe_u32 v7, v3, 23, 8
	v_and_b32_e32 v6, 0x7fffff, v3
	v_cmp_gt_u32_e64 s16, 0x71, v7
	v_sub_nc_u32_e32 v12, 0x70, v7
	v_cmp_eq_u32_e32 vcc_lo, 0, v7
	v_or_b32_e32 v14, 0x800000, v6
	v_cndmask_b32_e64 v12, 0, v12, s16
	v_cndmask_b32_e32 v6, v14, v6, vcc_lo
	v_cndmask_b32_e64 v12, v12, 0x6f, vcc_lo
	v_lshl_add_u32 v14, 0x200000, v12, -1
	v_lshlrev_b32_e64 v15, v12, 0x100000
	v_and_b32_e32 v14, v14, v6
	v_cmp_eq_u32_e64 s16, v14, v15
	v_lshrrev_b32_e32 v14, v12, v6
	v_add_nc_u32_e32 v6, 0xffffff91, v7
	v_lshrrev_b32_e32 v7, 23, v14
	v_cndmask_b32_e64 v6, v6, 0xffffff92, vcc_lo
	v_xor_b32_e32 v7, 1, v7
	v_add_nc_u32_e32 v6, v12, v6
	v_bfe_u32 v12, v14, 21, 1
	v_add_nc_u32_e32 v12, -1, v12
	v_cndmask_b32_e64 v12, 0, v12, s16
	s_mov_b32 s16, exec_lo
	v_add_nc_u32_e32 v12, v12, v14
	v_and_b32_e32 v12, 0x1fffff, v12
	v_add_nc_u32_e32 v12, v12, v14
                                        ; implicit-def: $vgpr14
	v_cmpx_ne_u32_e64 v6, v7
	s_xor_b32 s16, exec_lo, s16
; %bb.1065:                             ;   in Loop: Header=BB6_138 Depth=3
	v_cmp_lt_u32_e32 vcc_lo, 0xffffff, v12
	v_sub_nc_u32_e32 v6, v6, v7
	v_cndmask_b32_e64 v7, 0, 1, vcc_lo
	v_add_co_ci_u32_e64 v14, null, 0, v6, vcc_lo
	v_lshrrev_b32_e32 v12, v7, v12
; %bb.1066:                             ;   in Loop: Header=BB6_138 Depth=3
	s_andn2_saveexec_b32 s16, s16
; %bb.1067:                             ;   in Loop: Header=BB6_138 Depth=3
	v_bfe_u32 v14, v12, 23, 1
; %bb.1068:                             ;   in Loop: Header=BB6_138 Depth=3
	s_or_b32 exec_lo, exec_lo, s16
	v_lshrrev_b32_e32 v6, 21, v12
	v_min_i32_e32 v7, 31, v14
	v_cmp_gt_i32_e32 vcc_lo, 32, v14
	v_and_b32_sdwa v3, v3, v117 dst_sel:DWORD dst_unused:UNUSED_PAD src0_sel:BYTE_3 src1_sel:DWORD
	v_lshlrev_b32_e32 v7, 2, v7
	v_cndmask_b32_e32 v6, 3, v6, vcc_lo
	v_and_b32_e32 v7, 0xfc, v7
	v_or_b32_e32 v12, v14, v6
	v_and_b32_e32 v6, 3, v6
	v_cmp_ne_u32_e32 vcc_lo, 0, v12
	v_or3_b32 v3, v3, v7, v6
	v_lshlrev_b32_e32 v3, 8, v3
	v_cndmask_b32_e32 v56, 0, v3, vcc_lo
.LBB6_1069:                             ;   in Loop: Header=BB6_138 Depth=3
	s_or_b32 exec_lo, exec_lo, s73
.LBB6_1070:                             ;   in Loop: Header=BB6_138 Depth=3
	s_or_b32 exec_lo, exec_lo, s72
	v_and_b32_sdwa v6, v8, v40 dst_sel:DWORD dst_unused:UNUSED_PAD src0_sel:WORD_1 src1_sel:DWORD
	s_mov_b32 s72, 0
	s_mov_b32 s16, exec_lo
	v_cmpx_lt_i16_e32 0x7f, v6
	s_xor_b32 s16, exec_lo, s16
	s_cbranch_execz .LBB6_2068
; %bb.1071:                             ;   in Loop: Header=BB6_138 Depth=3
	s_mov_b32 s72, -1
	s_mov_b32 s73, exec_lo
	v_cmpx_eq_u16_e32 0x80, v6
; %bb.1072:                             ;   in Loop: Header=BB6_138 Depth=3
	s_xor_b32 s72, exec_lo, -1
; %bb.1073:                             ;   in Loop: Header=BB6_138 Depth=3
	s_or_b32 exec_lo, exec_lo, s73
	s_and_b32 s72, s72, exec_lo
                                        ; implicit-def: $vgpr6
	s_or_saveexec_b32 s16, s16
	v_mov_b32_e32 v3, 0x7f800001
	s_xor_b32 exec_lo, exec_lo, s16
	s_cbranch_execnz .LBB6_2069
.LBB6_1074:                             ;   in Loop: Header=BB6_138 Depth=3
	s_or_b32 exec_lo, exec_lo, s16
	s_and_saveexec_b32 s16, s72
	s_cbranch_execz .LBB6_1076
.LBB6_1075:                             ;   in Loop: Header=BB6_138 Depth=3
	v_bfe_u32 v3, v8, 16, 2
	v_bfe_u32 v6, v8, 18, 5
	v_ffbh_u32_e32 v7, v3
	v_cmp_eq_u32_e32 vcc_lo, 0, v6
	v_min_u32_e32 v7, 32, v7
	v_subrev_nc_u32_e32 v12, 29, v7
	v_sub_nc_u32_e32 v7, 30, v7
	v_lshlrev_b32_sdwa v12, v12, v8 dst_sel:DWORD dst_unused:UNUSED_PAD src0_sel:DWORD src1_sel:WORD_1
	v_cndmask_b32_e32 v6, v6, v7, vcc_lo
	v_lshlrev_b32_e32 v7, 8, v8
	v_and_b32_e32 v12, 3, v12
	v_lshl_add_u32 v6, v6, 23, 0x37800000
	v_and_b32_e32 v7, 0x80000000, v7
	v_cndmask_b32_e32 v3, v3, v12, vcc_lo
	v_lshlrev_b32_e32 v3, 21, v3
	v_or3_b32 v3, v7, v6, v3
.LBB6_1076:                             ;   in Loop: Header=BB6_138 Depth=3
	s_or_b32 exec_lo, exec_lo, s16
	v_mul_f32_e32 v3, s63, v3
	v_mov_b32_e32 v58, 0x80
	s_mov_b32 s72, exec_lo
	v_and_b32_e32 v6, 0x7f800000, v3
	v_cmpx_ne_u32_e32 0x7f800000, v6
	s_cbranch_execz .LBB6_1084
; %bb.1077:                             ;   in Loop: Header=BB6_138 Depth=3
	v_mov_b32_e32 v58, 0
	s_mov_b32 s73, exec_lo
	v_cmpx_ne_u32_e32 0, v3
	s_cbranch_execz .LBB6_1083
; %bb.1078:                             ;   in Loop: Header=BB6_138 Depth=3
	v_bfe_u32 v7, v3, 23, 8
	v_and_b32_e32 v6, 0x7fffff, v3
	v_cmp_gt_u32_e64 s16, 0x71, v7
	v_sub_nc_u32_e32 v12, 0x70, v7
	v_cmp_eq_u32_e32 vcc_lo, 0, v7
	v_or_b32_e32 v14, 0x800000, v6
	v_cndmask_b32_e64 v12, 0, v12, s16
	v_cndmask_b32_e32 v6, v14, v6, vcc_lo
	v_cndmask_b32_e64 v12, v12, 0x6f, vcc_lo
	v_lshl_add_u32 v14, 0x200000, v12, -1
	v_lshlrev_b32_e64 v15, v12, 0x100000
	v_and_b32_e32 v14, v14, v6
	v_cmp_eq_u32_e64 s16, v14, v15
	v_lshrrev_b32_e32 v14, v12, v6
	v_add_nc_u32_e32 v6, 0xffffff91, v7
	v_lshrrev_b32_e32 v7, 23, v14
	v_cndmask_b32_e64 v6, v6, 0xffffff92, vcc_lo
	v_xor_b32_e32 v7, 1, v7
	v_add_nc_u32_e32 v6, v12, v6
	v_bfe_u32 v12, v14, 21, 1
	v_add_nc_u32_e32 v12, -1, v12
	v_cndmask_b32_e64 v12, 0, v12, s16
	s_mov_b32 s16, exec_lo
	v_add_nc_u32_e32 v12, v12, v14
	v_and_b32_e32 v12, 0x1fffff, v12
	v_add_nc_u32_e32 v12, v12, v14
                                        ; implicit-def: $vgpr14
	v_cmpx_ne_u32_e64 v6, v7
	s_xor_b32 s16, exec_lo, s16
; %bb.1079:                             ;   in Loop: Header=BB6_138 Depth=3
	v_cmp_lt_u32_e32 vcc_lo, 0xffffff, v12
	v_sub_nc_u32_e32 v6, v6, v7
	v_cndmask_b32_e64 v7, 0, 1, vcc_lo
	v_add_co_ci_u32_e64 v14, null, 0, v6, vcc_lo
	v_lshrrev_b32_e32 v12, v7, v12
; %bb.1080:                             ;   in Loop: Header=BB6_138 Depth=3
	s_andn2_saveexec_b32 s16, s16
; %bb.1081:                             ;   in Loop: Header=BB6_138 Depth=3
	v_bfe_u32 v14, v12, 23, 1
; %bb.1082:                             ;   in Loop: Header=BB6_138 Depth=3
	s_or_b32 exec_lo, exec_lo, s16
	v_lshrrev_b32_e32 v6, 21, v12
	v_min_i32_e32 v7, 31, v14
	v_cmp_gt_i32_e32 vcc_lo, 32, v14
	v_and_b32_sdwa v3, v3, v117 dst_sel:DWORD dst_unused:UNUSED_PAD src0_sel:BYTE_3 src1_sel:DWORD
	v_lshlrev_b32_e32 v7, 2, v7
	v_cndmask_b32_e32 v6, 3, v6, vcc_lo
	v_and_b32_e32 v7, 0xfc, v7
	v_or_b32_e32 v12, v14, v6
	v_and_b32_e32 v6, 3, v6
	v_cmp_ne_u32_e32 vcc_lo, 0, v12
	v_or3_b32 v3, v7, v3, v6
	v_cndmask_b32_e32 v58, 0, v3, vcc_lo
.LBB6_1083:                             ;   in Loop: Header=BB6_138 Depth=3
	s_or_b32 exec_lo, exec_lo, s73
.LBB6_1084:                             ;   in Loop: Header=BB6_138 Depth=3
	s_or_b32 exec_lo, exec_lo, s72
	v_cmp_gt_i16_sdwa s72, v8, v116 src0_sel:BYTE_3 src1_sel:DWORD
	s_mov_b32 s16, 0
	s_and_saveexec_b32 s73, s72
	s_xor_b32 s72, exec_lo, s73
	s_cbranch_execz .LBB6_2070
; %bb.1085:                             ;   in Loop: Header=BB6_138 Depth=3
	v_cmp_eq_u16_sdwa s74, v8, v117 src0_sel:BYTE_3 src1_sel:DWORD
	s_mov_b32 s16, -1
	s_and_saveexec_b32 s73, s74
; %bb.1086:                             ;   in Loop: Header=BB6_138 Depth=3
	s_xor_b32 s16, exec_lo, -1
; %bb.1087:                             ;   in Loop: Header=BB6_138 Depth=3
	s_or_b32 exec_lo, exec_lo, s73
	s_and_b32 s16, s16, exec_lo
	s_or_saveexec_b32 s72, s72
	v_mov_b32_e32 v3, 0x7f800001
	s_xor_b32 exec_lo, exec_lo, s72
	s_cbranch_execnz .LBB6_2071
.LBB6_1088:                             ;   in Loop: Header=BB6_138 Depth=3
	s_or_b32 exec_lo, exec_lo, s72
	s_and_saveexec_b32 s72, s16
	s_cbranch_execz .LBB6_1090
.LBB6_1089:                             ;   in Loop: Header=BB6_138 Depth=3
	v_bfe_u32 v3, v8, 24, 2
	v_bfe_u32 v12, v8, 26, 5
	v_ffbh_u32_e32 v6, v3
	v_cmp_eq_u32_e32 vcc_lo, 0, v12
	v_min_u32_e32 v6, 32, v6
	v_subrev_nc_u32_e32 v7, 29, v6
	v_sub_nc_u32_e32 v6, 30, v6
	v_lshlrev_b32_sdwa v7, v7, v8 dst_sel:DWORD dst_unused:UNUSED_PAD src0_sel:DWORD src1_sel:BYTE_3
	v_cndmask_b32_e32 v6, v12, v6, vcc_lo
	v_and_b32_e32 v7, 3, v7
	v_lshl_add_u32 v6, v6, 23, 0x37800000
	v_cndmask_b32_e32 v3, v3, v7, vcc_lo
	v_and_b32_e32 v7, 0x80000000, v8
	v_lshlrev_b32_e32 v3, 21, v3
	v_or3_b32 v3, v7, v6, v3
.LBB6_1090:                             ;   in Loop: Header=BB6_138 Depth=3
	s_or_b32 exec_lo, exec_lo, s72
	v_mul_f32_e32 v3, s63, v3
	v_mov_b32_e32 v59, 0x8000
	s_mov_b32 s72, exec_lo
	v_and_b32_e32 v6, 0x7f800000, v3
	v_cmpx_ne_u32_e32 0x7f800000, v6
	s_cbranch_execz .LBB6_1098
; %bb.1091:                             ;   in Loop: Header=BB6_138 Depth=3
	v_mov_b32_e32 v59, 0
	s_mov_b32 s73, exec_lo
	v_cmpx_ne_u32_e32 0, v3
	s_cbranch_execz .LBB6_1097
; %bb.1092:                             ;   in Loop: Header=BB6_138 Depth=3
	v_bfe_u32 v7, v3, 23, 8
	v_and_b32_e32 v6, 0x7fffff, v3
	v_cmp_gt_u32_e64 s16, 0x71, v7
	v_sub_nc_u32_e32 v8, 0x70, v7
	v_cmp_eq_u32_e32 vcc_lo, 0, v7
	v_or_b32_e32 v12, 0x800000, v6
	v_cndmask_b32_e64 v8, 0, v8, s16
	v_cndmask_b32_e32 v6, v12, v6, vcc_lo
	v_cndmask_b32_e64 v8, v8, 0x6f, vcc_lo
	v_lshl_add_u32 v12, 0x200000, v8, -1
	v_lshlrev_b32_e64 v14, v8, 0x100000
	v_and_b32_e32 v12, v12, v6
	v_cmp_eq_u32_e64 s16, v12, v14
	v_lshrrev_b32_e32 v12, v8, v6
	v_add_nc_u32_e32 v6, 0xffffff91, v7
	v_lshrrev_b32_e32 v7, 23, v12
	v_cndmask_b32_e64 v6, v6, 0xffffff92, vcc_lo
	v_xor_b32_e32 v7, 1, v7
	v_add_nc_u32_e32 v6, v8, v6
	v_bfe_u32 v8, v12, 21, 1
	v_add_nc_u32_e32 v8, -1, v8
	v_cndmask_b32_e64 v8, 0, v8, s16
	s_mov_b32 s16, exec_lo
	v_add_nc_u32_e32 v8, v8, v12
	v_and_b32_e32 v8, 0x1fffff, v8
	v_add_nc_u32_e32 v8, v8, v12
                                        ; implicit-def: $vgpr12
	v_cmpx_ne_u32_e64 v6, v7
	s_xor_b32 s16, exec_lo, s16
; %bb.1093:                             ;   in Loop: Header=BB6_138 Depth=3
	v_cmp_lt_u32_e32 vcc_lo, 0xffffff, v8
	v_sub_nc_u32_e32 v6, v6, v7
	v_cndmask_b32_e64 v7, 0, 1, vcc_lo
	v_add_co_ci_u32_e64 v12, null, 0, v6, vcc_lo
	v_lshrrev_b32_e32 v8, v7, v8
; %bb.1094:                             ;   in Loop: Header=BB6_138 Depth=3
	s_andn2_saveexec_b32 s16, s16
; %bb.1095:                             ;   in Loop: Header=BB6_138 Depth=3
	v_bfe_u32 v12, v8, 23, 1
; %bb.1096:                             ;   in Loop: Header=BB6_138 Depth=3
	s_or_b32 exec_lo, exec_lo, s16
	v_lshrrev_b32_e32 v6, 21, v8
	v_min_i32_e32 v7, 31, v12
	v_cmp_gt_i32_e32 vcc_lo, 32, v12
	v_and_b32_sdwa v3, v3, v117 dst_sel:DWORD dst_unused:UNUSED_PAD src0_sel:BYTE_3 src1_sel:DWORD
	v_lshlrev_b32_e32 v7, 2, v7
	v_cndmask_b32_e32 v6, 3, v6, vcc_lo
	v_and_b32_e32 v7, 0xfc, v7
	v_or_b32_e32 v8, v12, v6
	v_and_b32_e32 v6, 3, v6
	v_cmp_ne_u32_e32 vcc_lo, 0, v8
	v_or3_b32 v3, v3, v7, v6
	v_lshlrev_b32_e32 v3, 8, v3
	v_cndmask_b32_e32 v59, 0, v3, vcc_lo
.LBB6_1097:                             ;   in Loop: Header=BB6_138 Depth=3
	s_or_b32 exec_lo, exec_lo, s73
.LBB6_1098:                             ;   in Loop: Header=BB6_138 Depth=3
	s_or_b32 exec_lo, exec_lo, s72
	v_cmp_gt_i16_sdwa s16, v9, v116 src0_sel:BYTE_0 src1_sel:DWORD
	s_mov_b32 s72, 0
	s_and_saveexec_b32 s73, s16
	s_xor_b32 s16, exec_lo, s73
	s_cbranch_execz .LBB6_2072
; %bb.1099:                             ;   in Loop: Header=BB6_138 Depth=3
	v_cmp_eq_u16_sdwa s74, v9, v117 src0_sel:BYTE_0 src1_sel:DWORD
	s_mov_b32 s72, -1
	s_and_saveexec_b32 s73, s74
; %bb.1100:                             ;   in Loop: Header=BB6_138 Depth=3
	s_xor_b32 s72, exec_lo, -1
; %bb.1101:                             ;   in Loop: Header=BB6_138 Depth=3
	s_or_b32 exec_lo, exec_lo, s73
	s_and_b32 s72, s72, exec_lo
	s_or_saveexec_b32 s16, s16
	v_mov_b32_e32 v3, 0x7f800001
	s_xor_b32 exec_lo, exec_lo, s16
	s_cbranch_execnz .LBB6_2073
.LBB6_1102:                             ;   in Loop: Header=BB6_138 Depth=3
	s_or_b32 exec_lo, exec_lo, s16
	s_and_saveexec_b32 s16, s72
	s_cbranch_execz .LBB6_1104
.LBB6_1103:                             ;   in Loop: Header=BB6_138 Depth=3
	v_and_b32_e32 v3, 3, v9
	v_bfe_u32 v6, v9, 2, 5
	v_ffbh_u32_e32 v7, v3
	v_cmp_eq_u32_e32 vcc_lo, 0, v6
	v_min_u32_e32 v7, 32, v7
	v_subrev_nc_u32_e32 v8, 29, v7
	v_sub_nc_u32_e32 v7, 30, v7
	v_lshlrev_b32_e32 v8, v8, v9
	v_cndmask_b32_e32 v6, v6, v7, vcc_lo
	v_lshlrev_b32_e32 v7, 24, v9
	v_and_b32_e32 v8, 3, v8
	v_lshl_add_u32 v6, v6, 23, 0x37800000
	v_and_b32_e32 v7, 0x80000000, v7
	v_cndmask_b32_e32 v3, v3, v8, vcc_lo
	v_lshlrev_b32_e32 v3, 21, v3
	v_or3_b32 v3, v7, v6, v3
.LBB6_1104:                             ;   in Loop: Header=BB6_138 Depth=3
	s_or_b32 exec_lo, exec_lo, s16
	v_mul_f32_e32 v3, s63, v3
	v_mov_b32_e32 v61, 0x80
	s_mov_b32 s72, exec_lo
	v_and_b32_e32 v6, 0x7f800000, v3
	v_cmpx_ne_u32_e32 0x7f800000, v6
	s_cbranch_execz .LBB6_1112
; %bb.1105:                             ;   in Loop: Header=BB6_138 Depth=3
	v_mov_b32_e32 v61, 0
	s_mov_b32 s73, exec_lo
	v_cmpx_ne_u32_e32 0, v3
	s_cbranch_execz .LBB6_1111
; %bb.1106:                             ;   in Loop: Header=BB6_138 Depth=3
	v_bfe_u32 v7, v3, 23, 8
	v_and_b32_e32 v6, 0x7fffff, v3
	v_cmp_gt_u32_e64 s16, 0x71, v7
	v_sub_nc_u32_e32 v8, 0x70, v7
	v_cmp_eq_u32_e32 vcc_lo, 0, v7
	v_or_b32_e32 v12, 0x800000, v6
	v_cndmask_b32_e64 v8, 0, v8, s16
	v_cndmask_b32_e32 v6, v12, v6, vcc_lo
	v_cndmask_b32_e64 v8, v8, 0x6f, vcc_lo
	v_lshl_add_u32 v12, 0x200000, v8, -1
	v_lshlrev_b32_e64 v14, v8, 0x100000
	v_and_b32_e32 v12, v12, v6
	v_cmp_eq_u32_e64 s16, v12, v14
	v_lshrrev_b32_e32 v12, v8, v6
	v_add_nc_u32_e32 v6, 0xffffff91, v7
	v_lshrrev_b32_e32 v7, 23, v12
	v_cndmask_b32_e64 v6, v6, 0xffffff92, vcc_lo
	v_xor_b32_e32 v7, 1, v7
	v_add_nc_u32_e32 v6, v8, v6
	v_bfe_u32 v8, v12, 21, 1
	v_add_nc_u32_e32 v8, -1, v8
	v_cndmask_b32_e64 v8, 0, v8, s16
	s_mov_b32 s16, exec_lo
	v_add_nc_u32_e32 v8, v8, v12
	v_and_b32_e32 v8, 0x1fffff, v8
	v_add_nc_u32_e32 v8, v8, v12
                                        ; implicit-def: $vgpr12
	v_cmpx_ne_u32_e64 v6, v7
	s_xor_b32 s16, exec_lo, s16
; %bb.1107:                             ;   in Loop: Header=BB6_138 Depth=3
	v_cmp_lt_u32_e32 vcc_lo, 0xffffff, v8
	v_sub_nc_u32_e32 v6, v6, v7
	v_cndmask_b32_e64 v7, 0, 1, vcc_lo
	v_add_co_ci_u32_e64 v12, null, 0, v6, vcc_lo
	v_lshrrev_b32_e32 v8, v7, v8
; %bb.1108:                             ;   in Loop: Header=BB6_138 Depth=3
	s_andn2_saveexec_b32 s16, s16
; %bb.1109:                             ;   in Loop: Header=BB6_138 Depth=3
	v_bfe_u32 v12, v8, 23, 1
; %bb.1110:                             ;   in Loop: Header=BB6_138 Depth=3
	s_or_b32 exec_lo, exec_lo, s16
	v_lshrrev_b32_e32 v6, 21, v8
	v_min_i32_e32 v7, 31, v12
	v_cmp_gt_i32_e32 vcc_lo, 32, v12
	v_and_b32_sdwa v3, v3, v117 dst_sel:DWORD dst_unused:UNUSED_PAD src0_sel:BYTE_3 src1_sel:DWORD
	v_lshlrev_b32_e32 v7, 2, v7
	v_cndmask_b32_e32 v6, 3, v6, vcc_lo
	v_and_b32_e32 v7, 0xfc, v7
	v_or_b32_e32 v8, v12, v6
	v_and_b32_e32 v6, 3, v6
	v_cmp_ne_u32_e32 vcc_lo, 0, v8
	v_or3_b32 v3, v7, v3, v6
	v_cndmask_b32_e32 v61, 0, v3, vcc_lo
.LBB6_1111:                             ;   in Loop: Header=BB6_138 Depth=3
	s_or_b32 exec_lo, exec_lo, s73
.LBB6_1112:                             ;   in Loop: Header=BB6_138 Depth=3
	s_or_b32 exec_lo, exec_lo, s72
	v_cmp_gt_i16_sdwa s72, v9, v116 src0_sel:BYTE_1 src1_sel:DWORD
	s_mov_b32 s16, 0
	s_and_saveexec_b32 s73, s72
	s_xor_b32 s72, exec_lo, s73
	s_cbranch_execz .LBB6_2074
; %bb.1113:                             ;   in Loop: Header=BB6_138 Depth=3
	v_cmp_eq_u16_sdwa s74, v9, v117 src0_sel:BYTE_1 src1_sel:DWORD
	s_mov_b32 s16, -1
	s_and_saveexec_b32 s73, s74
; %bb.1114:                             ;   in Loop: Header=BB6_138 Depth=3
	s_xor_b32 s16, exec_lo, -1
; %bb.1115:                             ;   in Loop: Header=BB6_138 Depth=3
	s_or_b32 exec_lo, exec_lo, s73
	s_and_b32 s16, s16, exec_lo
	s_or_saveexec_b32 s72, s72
	v_mov_b32_e32 v3, 0x7f800001
	s_xor_b32 exec_lo, exec_lo, s72
	s_cbranch_execnz .LBB6_2075
.LBB6_1116:                             ;   in Loop: Header=BB6_138 Depth=3
	s_or_b32 exec_lo, exec_lo, s72
	s_and_saveexec_b32 s72, s16
	s_cbranch_execz .LBB6_1118
.LBB6_1117:                             ;   in Loop: Header=BB6_138 Depth=3
	v_and_b32_sdwa v3, v118, v9 dst_sel:DWORD dst_unused:UNUSED_PAD src0_sel:DWORD src1_sel:BYTE_1
	v_and_b32_e32 v6, 3, v3
	v_bfe_u32 v12, v3, 2, 5
	v_ffbh_u32_e32 v7, v6
	v_cmp_eq_u32_e32 vcc_lo, 0, v12
	v_min_u32_e32 v7, 32, v7
	v_subrev_nc_u32_e32 v8, 29, v7
	v_sub_nc_u32_e32 v7, 30, v7
	v_lshlrev_b32_e32 v3, v8, v3
	v_lshlrev_b32_sdwa v8, v119, v9 dst_sel:DWORD dst_unused:UNUSED_PAD src0_sel:DWORD src1_sel:BYTE_1
	v_cndmask_b32_e32 v7, v12, v7, vcc_lo
	v_and_b32_e32 v3, 3, v3
	v_lshl_add_u32 v7, v7, 23, 0x37800000
	v_cndmask_b32_e32 v3, v6, v3, vcc_lo
	v_and_b32_e32 v6, 0x80000000, v8
	v_lshlrev_b32_e32 v3, 21, v3
	v_or3_b32 v3, v6, v7, v3
.LBB6_1118:                             ;   in Loop: Header=BB6_138 Depth=3
	s_or_b32 exec_lo, exec_lo, s72
	v_mul_f32_e32 v3, s63, v3
	v_mov_b32_e32 v62, 0x8000
	s_mov_b32 s72, exec_lo
	v_and_b32_e32 v6, 0x7f800000, v3
	v_cmpx_ne_u32_e32 0x7f800000, v6
	s_cbranch_execz .LBB6_1126
; %bb.1119:                             ;   in Loop: Header=BB6_138 Depth=3
	v_mov_b32_e32 v62, 0
	s_mov_b32 s73, exec_lo
	v_cmpx_ne_u32_e32 0, v3
	s_cbranch_execz .LBB6_1125
; %bb.1120:                             ;   in Loop: Header=BB6_138 Depth=3
	v_bfe_u32 v7, v3, 23, 8
	v_and_b32_e32 v6, 0x7fffff, v3
	v_cmp_gt_u32_e64 s16, 0x71, v7
	v_sub_nc_u32_e32 v8, 0x70, v7
	v_cmp_eq_u32_e32 vcc_lo, 0, v7
	v_or_b32_e32 v12, 0x800000, v6
	v_cndmask_b32_e64 v8, 0, v8, s16
	v_cndmask_b32_e32 v6, v12, v6, vcc_lo
	v_cndmask_b32_e64 v8, v8, 0x6f, vcc_lo
	v_lshl_add_u32 v12, 0x200000, v8, -1
	v_lshlrev_b32_e64 v14, v8, 0x100000
	v_and_b32_e32 v12, v12, v6
	v_cmp_eq_u32_e64 s16, v12, v14
	v_lshrrev_b32_e32 v12, v8, v6
	v_add_nc_u32_e32 v6, 0xffffff91, v7
	v_lshrrev_b32_e32 v7, 23, v12
	v_cndmask_b32_e64 v6, v6, 0xffffff92, vcc_lo
	v_xor_b32_e32 v7, 1, v7
	v_add_nc_u32_e32 v6, v8, v6
	v_bfe_u32 v8, v12, 21, 1
	v_add_nc_u32_e32 v8, -1, v8
	v_cndmask_b32_e64 v8, 0, v8, s16
	s_mov_b32 s16, exec_lo
	v_add_nc_u32_e32 v8, v8, v12
	v_and_b32_e32 v8, 0x1fffff, v8
	v_add_nc_u32_e32 v8, v8, v12
                                        ; implicit-def: $vgpr12
	v_cmpx_ne_u32_e64 v6, v7
	s_xor_b32 s16, exec_lo, s16
; %bb.1121:                             ;   in Loop: Header=BB6_138 Depth=3
	v_cmp_lt_u32_e32 vcc_lo, 0xffffff, v8
	v_sub_nc_u32_e32 v6, v6, v7
	v_cndmask_b32_e64 v7, 0, 1, vcc_lo
	v_add_co_ci_u32_e64 v12, null, 0, v6, vcc_lo
	v_lshrrev_b32_e32 v8, v7, v8
; %bb.1122:                             ;   in Loop: Header=BB6_138 Depth=3
	s_andn2_saveexec_b32 s16, s16
; %bb.1123:                             ;   in Loop: Header=BB6_138 Depth=3
	v_bfe_u32 v12, v8, 23, 1
; %bb.1124:                             ;   in Loop: Header=BB6_138 Depth=3
	s_or_b32 exec_lo, exec_lo, s16
	v_lshrrev_b32_e32 v6, 21, v8
	v_min_i32_e32 v7, 31, v12
	v_cmp_gt_i32_e32 vcc_lo, 32, v12
	v_and_b32_sdwa v3, v3, v117 dst_sel:DWORD dst_unused:UNUSED_PAD src0_sel:BYTE_3 src1_sel:DWORD
	v_lshlrev_b32_e32 v7, 2, v7
	v_cndmask_b32_e32 v6, 3, v6, vcc_lo
	v_and_b32_e32 v7, 0xfc, v7
	v_or_b32_e32 v8, v12, v6
	v_and_b32_e32 v6, 3, v6
	v_cmp_ne_u32_e32 vcc_lo, 0, v8
	v_or3_b32 v3, v3, v7, v6
	v_lshlrev_b32_e32 v3, 8, v3
	v_cndmask_b32_e32 v62, 0, v3, vcc_lo
.LBB6_1125:                             ;   in Loop: Header=BB6_138 Depth=3
	s_or_b32 exec_lo, exec_lo, s73
.LBB6_1126:                             ;   in Loop: Header=BB6_138 Depth=3
	s_or_b32 exec_lo, exec_lo, s72
	v_and_b32_sdwa v6, v9, v40 dst_sel:DWORD dst_unused:UNUSED_PAD src0_sel:WORD_1 src1_sel:DWORD
	s_mov_b32 s72, 0
	s_mov_b32 s16, exec_lo
	v_cmpx_lt_i16_e32 0x7f, v6
	s_xor_b32 s16, exec_lo, s16
	s_cbranch_execz .LBB6_2076
; %bb.1127:                             ;   in Loop: Header=BB6_138 Depth=3
	s_mov_b32 s72, -1
	s_mov_b32 s73, exec_lo
	v_cmpx_eq_u16_e32 0x80, v6
; %bb.1128:                             ;   in Loop: Header=BB6_138 Depth=3
	s_xor_b32 s72, exec_lo, -1
; %bb.1129:                             ;   in Loop: Header=BB6_138 Depth=3
	s_or_b32 exec_lo, exec_lo, s73
	s_and_b32 s72, s72, exec_lo
                                        ; implicit-def: $vgpr6
	s_or_saveexec_b32 s16, s16
	v_mov_b32_e32 v3, 0x7f800001
	s_xor_b32 exec_lo, exec_lo, s16
	s_cbranch_execnz .LBB6_2077
.LBB6_1130:                             ;   in Loop: Header=BB6_138 Depth=3
	s_or_b32 exec_lo, exec_lo, s16
	s_and_saveexec_b32 s16, s72
	s_cbranch_execz .LBB6_1132
.LBB6_1131:                             ;   in Loop: Header=BB6_138 Depth=3
	v_bfe_u32 v3, v9, 16, 2
	v_bfe_u32 v6, v9, 18, 5
	v_ffbh_u32_e32 v7, v3
	v_cmp_eq_u32_e32 vcc_lo, 0, v6
	v_min_u32_e32 v7, 32, v7
	v_subrev_nc_u32_e32 v8, 29, v7
	v_sub_nc_u32_e32 v7, 30, v7
	v_lshlrev_b32_sdwa v8, v8, v9 dst_sel:DWORD dst_unused:UNUSED_PAD src0_sel:DWORD src1_sel:WORD_1
	v_cndmask_b32_e32 v6, v6, v7, vcc_lo
	v_lshlrev_b32_e32 v7, 8, v9
	v_and_b32_e32 v8, 3, v8
	v_lshl_add_u32 v6, v6, 23, 0x37800000
	v_and_b32_e32 v7, 0x80000000, v7
	v_cndmask_b32_e32 v3, v3, v8, vcc_lo
	v_lshlrev_b32_e32 v3, 21, v3
	v_or3_b32 v3, v7, v6, v3
.LBB6_1132:                             ;   in Loop: Header=BB6_138 Depth=3
	s_or_b32 exec_lo, exec_lo, s16
	v_mul_f32_e32 v3, s63, v3
	v_mov_b32_e32 v63, 0x80
	s_mov_b32 s72, exec_lo
	v_and_b32_e32 v6, 0x7f800000, v3
	v_cmpx_ne_u32_e32 0x7f800000, v6
	s_cbranch_execz .LBB6_1140
; %bb.1133:                             ;   in Loop: Header=BB6_138 Depth=3
	v_mov_b32_e32 v63, 0
	s_mov_b32 s73, exec_lo
	v_cmpx_ne_u32_e32 0, v3
	s_cbranch_execz .LBB6_1139
; %bb.1134:                             ;   in Loop: Header=BB6_138 Depth=3
	v_bfe_u32 v7, v3, 23, 8
	v_and_b32_e32 v6, 0x7fffff, v3
	v_cmp_gt_u32_e64 s16, 0x71, v7
	v_sub_nc_u32_e32 v8, 0x70, v7
	v_cmp_eq_u32_e32 vcc_lo, 0, v7
	v_or_b32_e32 v12, 0x800000, v6
	v_cndmask_b32_e64 v8, 0, v8, s16
	v_cndmask_b32_e32 v6, v12, v6, vcc_lo
	v_cndmask_b32_e64 v8, v8, 0x6f, vcc_lo
	v_lshl_add_u32 v12, 0x200000, v8, -1
	v_lshlrev_b32_e64 v14, v8, 0x100000
	v_and_b32_e32 v12, v12, v6
	v_cmp_eq_u32_e64 s16, v12, v14
	v_lshrrev_b32_e32 v12, v8, v6
	v_add_nc_u32_e32 v6, 0xffffff91, v7
	v_lshrrev_b32_e32 v7, 23, v12
	v_cndmask_b32_e64 v6, v6, 0xffffff92, vcc_lo
	v_xor_b32_e32 v7, 1, v7
	v_add_nc_u32_e32 v6, v8, v6
	v_bfe_u32 v8, v12, 21, 1
	v_add_nc_u32_e32 v8, -1, v8
	v_cndmask_b32_e64 v8, 0, v8, s16
	s_mov_b32 s16, exec_lo
	v_add_nc_u32_e32 v8, v8, v12
	v_and_b32_e32 v8, 0x1fffff, v8
	v_add_nc_u32_e32 v8, v8, v12
                                        ; implicit-def: $vgpr12
	v_cmpx_ne_u32_e64 v6, v7
	s_xor_b32 s16, exec_lo, s16
; %bb.1135:                             ;   in Loop: Header=BB6_138 Depth=3
	v_cmp_lt_u32_e32 vcc_lo, 0xffffff, v8
	v_sub_nc_u32_e32 v6, v6, v7
	v_cndmask_b32_e64 v7, 0, 1, vcc_lo
	v_add_co_ci_u32_e64 v12, null, 0, v6, vcc_lo
	v_lshrrev_b32_e32 v8, v7, v8
; %bb.1136:                             ;   in Loop: Header=BB6_138 Depth=3
	s_andn2_saveexec_b32 s16, s16
; %bb.1137:                             ;   in Loop: Header=BB6_138 Depth=3
	v_bfe_u32 v12, v8, 23, 1
; %bb.1138:                             ;   in Loop: Header=BB6_138 Depth=3
	s_or_b32 exec_lo, exec_lo, s16
	v_lshrrev_b32_e32 v6, 21, v8
	v_min_i32_e32 v7, 31, v12
	v_cmp_gt_i32_e32 vcc_lo, 32, v12
	v_and_b32_sdwa v3, v3, v117 dst_sel:DWORD dst_unused:UNUSED_PAD src0_sel:BYTE_3 src1_sel:DWORD
	v_lshlrev_b32_e32 v7, 2, v7
	v_cndmask_b32_e32 v6, 3, v6, vcc_lo
	v_and_b32_e32 v7, 0xfc, v7
	v_or_b32_e32 v8, v12, v6
	v_and_b32_e32 v6, 3, v6
	v_cmp_ne_u32_e32 vcc_lo, 0, v8
	v_or3_b32 v3, v7, v3, v6
	v_cndmask_b32_e32 v63, 0, v3, vcc_lo
.LBB6_1139:                             ;   in Loop: Header=BB6_138 Depth=3
	s_or_b32 exec_lo, exec_lo, s73
.LBB6_1140:                             ;   in Loop: Header=BB6_138 Depth=3
	s_or_b32 exec_lo, exec_lo, s72
	v_cmp_gt_i16_sdwa s72, v9, v116 src0_sel:BYTE_3 src1_sel:DWORD
	s_mov_b32 s16, 0
	s_and_saveexec_b32 s73, s72
	s_xor_b32 s72, exec_lo, s73
	s_cbranch_execz .LBB6_2078
; %bb.1141:                             ;   in Loop: Header=BB6_138 Depth=3
	v_cmp_eq_u16_sdwa s74, v9, v117 src0_sel:BYTE_3 src1_sel:DWORD
	s_mov_b32 s16, -1
	s_and_saveexec_b32 s73, s74
; %bb.1142:                             ;   in Loop: Header=BB6_138 Depth=3
	s_xor_b32 s16, exec_lo, -1
; %bb.1143:                             ;   in Loop: Header=BB6_138 Depth=3
	s_or_b32 exec_lo, exec_lo, s73
	s_and_b32 s16, s16, exec_lo
	s_or_saveexec_b32 s72, s72
	v_mov_b32_e32 v3, 0x7f800001
	s_xor_b32 exec_lo, exec_lo, s72
	s_cbranch_execnz .LBB6_2079
.LBB6_1144:                             ;   in Loop: Header=BB6_138 Depth=3
	s_or_b32 exec_lo, exec_lo, s72
	s_and_saveexec_b32 s72, s16
	s_cbranch_execz .LBB6_1146
.LBB6_1145:                             ;   in Loop: Header=BB6_138 Depth=3
	v_bfe_u32 v3, v9, 24, 2
	v_bfe_u32 v8, v9, 26, 5
	v_ffbh_u32_e32 v6, v3
	v_cmp_eq_u32_e32 vcc_lo, 0, v8
	v_min_u32_e32 v6, 32, v6
	v_subrev_nc_u32_e32 v7, 29, v6
	v_sub_nc_u32_e32 v6, 30, v6
	v_lshlrev_b32_sdwa v7, v7, v9 dst_sel:DWORD dst_unused:UNUSED_PAD src0_sel:DWORD src1_sel:BYTE_3
	v_cndmask_b32_e32 v6, v8, v6, vcc_lo
	v_and_b32_e32 v7, 3, v7
	v_lshl_add_u32 v6, v6, 23, 0x37800000
	v_cndmask_b32_e32 v3, v3, v7, vcc_lo
	v_and_b32_e32 v7, 0x80000000, v9
	v_lshlrev_b32_e32 v3, 21, v3
	v_or3_b32 v3, v7, v6, v3
.LBB6_1146:                             ;   in Loop: Header=BB6_138 Depth=3
	s_or_b32 exec_lo, exec_lo, s72
	v_mul_f32_e32 v3, s63, v3
	v_mov_b32_e32 v115, 0x8000
	s_mov_b32 s72, exec_lo
	v_and_b32_e32 v6, 0x7f800000, v3
	v_cmpx_ne_u32_e32 0x7f800000, v6
	s_cbranch_execz .LBB6_1154
; %bb.1147:                             ;   in Loop: Header=BB6_138 Depth=3
	v_mov_b32_e32 v115, 0
	s_mov_b32 s73, exec_lo
	v_cmpx_ne_u32_e32 0, v3
	s_cbranch_execz .LBB6_1153
; %bb.1148:                             ;   in Loop: Header=BB6_138 Depth=3
	v_bfe_u32 v7, v3, 23, 8
	v_and_b32_e32 v6, 0x7fffff, v3
	v_cmp_gt_u32_e64 s16, 0x71, v7
	v_sub_nc_u32_e32 v8, 0x70, v7
	v_cmp_eq_u32_e32 vcc_lo, 0, v7
	v_or_b32_e32 v9, 0x800000, v6
	v_cndmask_b32_e64 v8, 0, v8, s16
	v_cndmask_b32_e32 v6, v9, v6, vcc_lo
	v_cndmask_b32_e64 v8, v8, 0x6f, vcc_lo
	v_lshl_add_u32 v9, 0x200000, v8, -1
	v_lshlrev_b32_e64 v12, v8, 0x100000
	v_and_b32_e32 v9, v9, v6
	v_cmp_eq_u32_e64 s16, v9, v12
	v_lshrrev_b32_e32 v9, v8, v6
	v_add_nc_u32_e32 v6, 0xffffff91, v7
	v_lshrrev_b32_e32 v7, 23, v9
	v_cndmask_b32_e64 v6, v6, 0xffffff92, vcc_lo
	v_xor_b32_e32 v7, 1, v7
	v_add_nc_u32_e32 v6, v8, v6
	v_bfe_u32 v8, v9, 21, 1
	v_add_nc_u32_e32 v8, -1, v8
	v_cndmask_b32_e64 v8, 0, v8, s16
	s_mov_b32 s16, exec_lo
	v_add_nc_u32_e32 v8, v8, v9
	v_and_b32_e32 v8, 0x1fffff, v8
	v_add_nc_u32_e32 v8, v8, v9
                                        ; implicit-def: $vgpr9
	v_cmpx_ne_u32_e64 v6, v7
	s_xor_b32 s16, exec_lo, s16
; %bb.1149:                             ;   in Loop: Header=BB6_138 Depth=3
	v_cmp_lt_u32_e32 vcc_lo, 0xffffff, v8
	v_sub_nc_u32_e32 v6, v6, v7
	v_cndmask_b32_e64 v7, 0, 1, vcc_lo
	v_add_co_ci_u32_e64 v9, null, 0, v6, vcc_lo
	v_lshrrev_b32_e32 v8, v7, v8
; %bb.1150:                             ;   in Loop: Header=BB6_138 Depth=3
	s_andn2_saveexec_b32 s16, s16
; %bb.1151:                             ;   in Loop: Header=BB6_138 Depth=3
	v_bfe_u32 v9, v8, 23, 1
; %bb.1152:                             ;   in Loop: Header=BB6_138 Depth=3
	s_or_b32 exec_lo, exec_lo, s16
	v_lshrrev_b32_e32 v6, 21, v8
	v_min_i32_e32 v7, 31, v9
	v_cmp_gt_i32_e32 vcc_lo, 32, v9
	v_and_b32_sdwa v3, v3, v117 dst_sel:DWORD dst_unused:UNUSED_PAD src0_sel:BYTE_3 src1_sel:DWORD
	v_lshlrev_b32_e32 v7, 2, v7
	v_cndmask_b32_e32 v6, 3, v6, vcc_lo
	v_and_b32_e32 v7, 0xfc, v7
	v_or_b32_e32 v8, v9, v6
	v_and_b32_e32 v6, 3, v6
	v_cmp_ne_u32_e32 vcc_lo, 0, v8
	v_or3_b32 v3, v3, v7, v6
	v_lshlrev_b32_e32 v3, 8, v3
	v_cndmask_b32_e32 v115, 0, v3, vcc_lo
.LBB6_1153:                             ;   in Loop: Header=BB6_138 Depth=3
	s_or_b32 exec_lo, exec_lo, s73
.LBB6_1154:                             ;   in Loop: Header=BB6_138 Depth=3
	s_or_b32 exec_lo, exec_lo, s72
	v_cmp_gt_i16_sdwa s16, v10, v116 src0_sel:BYTE_0 src1_sel:DWORD
	s_mov_b32 s72, 0
	s_and_saveexec_b32 s73, s16
	s_xor_b32 s16, exec_lo, s73
	s_cbranch_execz .LBB6_2080
; %bb.1155:                             ;   in Loop: Header=BB6_138 Depth=3
	v_cmp_eq_u16_sdwa s74, v10, v117 src0_sel:BYTE_0 src1_sel:DWORD
	s_mov_b32 s72, -1
	s_and_saveexec_b32 s73, s74
; %bb.1156:                             ;   in Loop: Header=BB6_138 Depth=3
	s_xor_b32 s72, exec_lo, -1
; %bb.1157:                             ;   in Loop: Header=BB6_138 Depth=3
	s_or_b32 exec_lo, exec_lo, s73
	s_and_b32 s72, s72, exec_lo
	s_or_saveexec_b32 s16, s16
	v_mov_b32_e32 v3, 0x7f800001
	s_xor_b32 exec_lo, exec_lo, s16
	s_cbranch_execnz .LBB6_2081
.LBB6_1158:                             ;   in Loop: Header=BB6_138 Depth=3
	s_or_b32 exec_lo, exec_lo, s16
	s_and_saveexec_b32 s16, s72
	s_cbranch_execz .LBB6_1160
.LBB6_1159:                             ;   in Loop: Header=BB6_138 Depth=3
	v_and_b32_e32 v3, 3, v10
	v_bfe_u32 v6, v10, 2, 5
	v_ffbh_u32_e32 v7, v3
	v_cmp_eq_u32_e32 vcc_lo, 0, v6
	v_min_u32_e32 v7, 32, v7
	v_subrev_nc_u32_e32 v8, 29, v7
	v_sub_nc_u32_e32 v7, 30, v7
	v_lshlrev_b32_e32 v8, v8, v10
	v_cndmask_b32_e32 v6, v6, v7, vcc_lo
	v_lshlrev_b32_e32 v7, 24, v10
	v_and_b32_e32 v8, 3, v8
	v_lshl_add_u32 v6, v6, 23, 0x37800000
	v_and_b32_e32 v7, 0x80000000, v7
	v_cndmask_b32_e32 v3, v3, v8, vcc_lo
	v_lshlrev_b32_e32 v3, 21, v3
	v_or3_b32 v3, v7, v6, v3
.LBB6_1160:                             ;   in Loop: Header=BB6_138 Depth=3
	s_or_b32 exec_lo, exec_lo, s16
	v_mul_f32_e32 v3, s63, v3
	v_mov_b32_e32 v72, 0x80
	s_mov_b32 s72, exec_lo
	v_and_b32_e32 v6, 0x7f800000, v3
	v_cmpx_ne_u32_e32 0x7f800000, v6
	s_cbranch_execz .LBB6_1168
; %bb.1161:                             ;   in Loop: Header=BB6_138 Depth=3
	v_mov_b32_e32 v72, 0
	s_mov_b32 s73, exec_lo
	v_cmpx_ne_u32_e32 0, v3
	s_cbranch_execz .LBB6_1167
; %bb.1162:                             ;   in Loop: Header=BB6_138 Depth=3
	v_bfe_u32 v7, v3, 23, 8
	v_and_b32_e32 v6, 0x7fffff, v3
	v_cmp_gt_u32_e64 s16, 0x71, v7
	v_sub_nc_u32_e32 v8, 0x70, v7
	v_cmp_eq_u32_e32 vcc_lo, 0, v7
	v_or_b32_e32 v9, 0x800000, v6
	v_cndmask_b32_e64 v8, 0, v8, s16
	v_cndmask_b32_e32 v6, v9, v6, vcc_lo
	v_cndmask_b32_e64 v8, v8, 0x6f, vcc_lo
	v_lshl_add_u32 v9, 0x200000, v8, -1
	v_lshlrev_b32_e64 v12, v8, 0x100000
	v_and_b32_e32 v9, v9, v6
	v_cmp_eq_u32_e64 s16, v9, v12
	v_lshrrev_b32_e32 v9, v8, v6
	v_add_nc_u32_e32 v6, 0xffffff91, v7
	v_lshrrev_b32_e32 v7, 23, v9
	v_cndmask_b32_e64 v6, v6, 0xffffff92, vcc_lo
	v_xor_b32_e32 v7, 1, v7
	v_add_nc_u32_e32 v6, v8, v6
	v_bfe_u32 v8, v9, 21, 1
	v_add_nc_u32_e32 v8, -1, v8
	v_cndmask_b32_e64 v8, 0, v8, s16
	s_mov_b32 s16, exec_lo
	v_add_nc_u32_e32 v8, v8, v9
	v_and_b32_e32 v8, 0x1fffff, v8
	v_add_nc_u32_e32 v8, v8, v9
                                        ; implicit-def: $vgpr9
	v_cmpx_ne_u32_e64 v6, v7
	s_xor_b32 s16, exec_lo, s16
; %bb.1163:                             ;   in Loop: Header=BB6_138 Depth=3
	v_cmp_lt_u32_e32 vcc_lo, 0xffffff, v8
	v_sub_nc_u32_e32 v6, v6, v7
	v_cndmask_b32_e64 v7, 0, 1, vcc_lo
	v_add_co_ci_u32_e64 v9, null, 0, v6, vcc_lo
	v_lshrrev_b32_e32 v8, v7, v8
; %bb.1164:                             ;   in Loop: Header=BB6_138 Depth=3
	s_andn2_saveexec_b32 s16, s16
; %bb.1165:                             ;   in Loop: Header=BB6_138 Depth=3
	v_bfe_u32 v9, v8, 23, 1
; %bb.1166:                             ;   in Loop: Header=BB6_138 Depth=3
	s_or_b32 exec_lo, exec_lo, s16
	v_lshrrev_b32_e32 v6, 21, v8
	v_min_i32_e32 v7, 31, v9
	v_cmp_gt_i32_e32 vcc_lo, 32, v9
	v_and_b32_sdwa v3, v3, v117 dst_sel:DWORD dst_unused:UNUSED_PAD src0_sel:BYTE_3 src1_sel:DWORD
	v_lshlrev_b32_e32 v7, 2, v7
	v_cndmask_b32_e32 v6, 3, v6, vcc_lo
	v_and_b32_e32 v7, 0xfc, v7
	v_or_b32_e32 v8, v9, v6
	v_and_b32_e32 v6, 3, v6
	v_cmp_ne_u32_e32 vcc_lo, 0, v8
	v_or3_b32 v3, v7, v3, v6
	v_cndmask_b32_e32 v72, 0, v3, vcc_lo
.LBB6_1167:                             ;   in Loop: Header=BB6_138 Depth=3
	s_or_b32 exec_lo, exec_lo, s73
.LBB6_1168:                             ;   in Loop: Header=BB6_138 Depth=3
	s_or_b32 exec_lo, exec_lo, s72
	v_cmp_gt_i16_sdwa s72, v10, v116 src0_sel:BYTE_1 src1_sel:DWORD
	s_mov_b32 s16, 0
	s_and_saveexec_b32 s73, s72
	s_xor_b32 s72, exec_lo, s73
	s_cbranch_execz .LBB6_2082
; %bb.1169:                             ;   in Loop: Header=BB6_138 Depth=3
	v_cmp_eq_u16_sdwa s74, v10, v117 src0_sel:BYTE_1 src1_sel:DWORD
	s_mov_b32 s16, -1
	s_and_saveexec_b32 s73, s74
; %bb.1170:                             ;   in Loop: Header=BB6_138 Depth=3
	s_xor_b32 s16, exec_lo, -1
; %bb.1171:                             ;   in Loop: Header=BB6_138 Depth=3
	s_or_b32 exec_lo, exec_lo, s73
	s_and_b32 s16, s16, exec_lo
	s_or_saveexec_b32 s72, s72
	v_mov_b32_e32 v3, 0x7f800001
	s_xor_b32 exec_lo, exec_lo, s72
	s_cbranch_execnz .LBB6_2083
.LBB6_1172:                             ;   in Loop: Header=BB6_138 Depth=3
	s_or_b32 exec_lo, exec_lo, s72
	s_and_saveexec_b32 s72, s16
	s_cbranch_execz .LBB6_1174
.LBB6_1173:                             ;   in Loop: Header=BB6_138 Depth=3
	v_and_b32_sdwa v3, v118, v10 dst_sel:DWORD dst_unused:UNUSED_PAD src0_sel:DWORD src1_sel:BYTE_1
	v_and_b32_e32 v6, 3, v3
	v_bfe_u32 v9, v3, 2, 5
	v_ffbh_u32_e32 v7, v6
	v_cmp_eq_u32_e32 vcc_lo, 0, v9
	v_min_u32_e32 v7, 32, v7
	v_subrev_nc_u32_e32 v8, 29, v7
	v_sub_nc_u32_e32 v7, 30, v7
	v_lshlrev_b32_e32 v3, v8, v3
	v_lshlrev_b32_sdwa v8, v119, v10 dst_sel:DWORD dst_unused:UNUSED_PAD src0_sel:DWORD src1_sel:BYTE_1
	v_cndmask_b32_e32 v7, v9, v7, vcc_lo
	v_and_b32_e32 v3, 3, v3
	v_lshl_add_u32 v7, v7, 23, 0x37800000
	v_cndmask_b32_e32 v3, v6, v3, vcc_lo
	v_and_b32_e32 v6, 0x80000000, v8
	v_lshlrev_b32_e32 v3, 21, v3
	v_or3_b32 v3, v6, v7, v3
.LBB6_1174:                             ;   in Loop: Header=BB6_138 Depth=3
	s_or_b32 exec_lo, exec_lo, s72
	v_mul_f32_e32 v3, s63, v3
	v_mov_b32_e32 v73, 0x8000
	s_mov_b32 s72, exec_lo
	v_and_b32_e32 v6, 0x7f800000, v3
	v_cmpx_ne_u32_e32 0x7f800000, v6
	s_cbranch_execz .LBB6_1182
; %bb.1175:                             ;   in Loop: Header=BB6_138 Depth=3
	v_mov_b32_e32 v73, 0
	s_mov_b32 s73, exec_lo
	v_cmpx_ne_u32_e32 0, v3
	s_cbranch_execz .LBB6_1181
; %bb.1176:                             ;   in Loop: Header=BB6_138 Depth=3
	v_bfe_u32 v7, v3, 23, 8
	v_and_b32_e32 v6, 0x7fffff, v3
	v_cmp_gt_u32_e64 s16, 0x71, v7
	v_sub_nc_u32_e32 v8, 0x70, v7
	v_cmp_eq_u32_e32 vcc_lo, 0, v7
	v_or_b32_e32 v9, 0x800000, v6
	v_cndmask_b32_e64 v8, 0, v8, s16
	v_cndmask_b32_e32 v6, v9, v6, vcc_lo
	v_cndmask_b32_e64 v8, v8, 0x6f, vcc_lo
	v_lshl_add_u32 v9, 0x200000, v8, -1
	v_lshlrev_b32_e64 v12, v8, 0x100000
	v_and_b32_e32 v9, v9, v6
	v_cmp_eq_u32_e64 s16, v9, v12
	v_lshrrev_b32_e32 v9, v8, v6
	v_add_nc_u32_e32 v6, 0xffffff91, v7
	v_lshrrev_b32_e32 v7, 23, v9
	v_cndmask_b32_e64 v6, v6, 0xffffff92, vcc_lo
	v_xor_b32_e32 v7, 1, v7
	v_add_nc_u32_e32 v6, v8, v6
	v_bfe_u32 v8, v9, 21, 1
	v_add_nc_u32_e32 v8, -1, v8
	v_cndmask_b32_e64 v8, 0, v8, s16
	s_mov_b32 s16, exec_lo
	v_add_nc_u32_e32 v8, v8, v9
	v_and_b32_e32 v8, 0x1fffff, v8
	v_add_nc_u32_e32 v8, v8, v9
                                        ; implicit-def: $vgpr9
	v_cmpx_ne_u32_e64 v6, v7
	s_xor_b32 s16, exec_lo, s16
; %bb.1177:                             ;   in Loop: Header=BB6_138 Depth=3
	v_cmp_lt_u32_e32 vcc_lo, 0xffffff, v8
	v_sub_nc_u32_e32 v6, v6, v7
	v_cndmask_b32_e64 v7, 0, 1, vcc_lo
	v_add_co_ci_u32_e64 v9, null, 0, v6, vcc_lo
	v_lshrrev_b32_e32 v8, v7, v8
; %bb.1178:                             ;   in Loop: Header=BB6_138 Depth=3
	s_andn2_saveexec_b32 s16, s16
; %bb.1179:                             ;   in Loop: Header=BB6_138 Depth=3
	v_bfe_u32 v9, v8, 23, 1
; %bb.1180:                             ;   in Loop: Header=BB6_138 Depth=3
	s_or_b32 exec_lo, exec_lo, s16
	v_lshrrev_b32_e32 v6, 21, v8
	v_min_i32_e32 v7, 31, v9
	v_cmp_gt_i32_e32 vcc_lo, 32, v9
	v_and_b32_sdwa v3, v3, v117 dst_sel:DWORD dst_unused:UNUSED_PAD src0_sel:BYTE_3 src1_sel:DWORD
	v_lshlrev_b32_e32 v7, 2, v7
	v_cndmask_b32_e32 v6, 3, v6, vcc_lo
	v_and_b32_e32 v7, 0xfc, v7
	v_or_b32_e32 v8, v9, v6
	v_and_b32_e32 v6, 3, v6
	v_cmp_ne_u32_e32 vcc_lo, 0, v8
	v_or3_b32 v3, v3, v7, v6
	v_lshlrev_b32_e32 v3, 8, v3
	v_cndmask_b32_e32 v73, 0, v3, vcc_lo
.LBB6_1181:                             ;   in Loop: Header=BB6_138 Depth=3
	s_or_b32 exec_lo, exec_lo, s73
.LBB6_1182:                             ;   in Loop: Header=BB6_138 Depth=3
	s_or_b32 exec_lo, exec_lo, s72
	v_and_b32_sdwa v6, v10, v40 dst_sel:DWORD dst_unused:UNUSED_PAD src0_sel:WORD_1 src1_sel:DWORD
	s_mov_b32 s72, 0
	s_mov_b32 s16, exec_lo
	v_cmpx_lt_i16_e32 0x7f, v6
	s_xor_b32 s16, exec_lo, s16
	s_cbranch_execz .LBB6_2084
; %bb.1183:                             ;   in Loop: Header=BB6_138 Depth=3
	s_mov_b32 s72, -1
	s_mov_b32 s73, exec_lo
	v_cmpx_eq_u16_e32 0x80, v6
; %bb.1184:                             ;   in Loop: Header=BB6_138 Depth=3
	s_xor_b32 s72, exec_lo, -1
; %bb.1185:                             ;   in Loop: Header=BB6_138 Depth=3
	s_or_b32 exec_lo, exec_lo, s73
	s_and_b32 s72, s72, exec_lo
                                        ; implicit-def: $vgpr6
	s_or_saveexec_b32 s16, s16
	v_mov_b32_e32 v3, 0x7f800001
	s_xor_b32 exec_lo, exec_lo, s16
	s_cbranch_execnz .LBB6_2085
.LBB6_1186:                             ;   in Loop: Header=BB6_138 Depth=3
	s_or_b32 exec_lo, exec_lo, s16
	s_and_saveexec_b32 s16, s72
	s_cbranch_execz .LBB6_1188
.LBB6_1187:                             ;   in Loop: Header=BB6_138 Depth=3
	v_bfe_u32 v3, v10, 16, 2
	v_bfe_u32 v6, v10, 18, 5
	v_ffbh_u32_e32 v7, v3
	v_cmp_eq_u32_e32 vcc_lo, 0, v6
	v_min_u32_e32 v7, 32, v7
	v_subrev_nc_u32_e32 v8, 29, v7
	v_sub_nc_u32_e32 v7, 30, v7
	v_lshlrev_b32_sdwa v8, v8, v10 dst_sel:DWORD dst_unused:UNUSED_PAD src0_sel:DWORD src1_sel:WORD_1
	v_cndmask_b32_e32 v6, v6, v7, vcc_lo
	v_lshlrev_b32_e32 v7, 8, v10
	v_and_b32_e32 v8, 3, v8
	v_lshl_add_u32 v6, v6, 23, 0x37800000
	v_and_b32_e32 v7, 0x80000000, v7
	v_cndmask_b32_e32 v3, v3, v8, vcc_lo
	v_lshlrev_b32_e32 v3, 21, v3
	v_or3_b32 v3, v7, v6, v3
.LBB6_1188:                             ;   in Loop: Header=BB6_138 Depth=3
	s_or_b32 exec_lo, exec_lo, s16
	v_mul_f32_e32 v3, s63, v3
	v_mov_b32_e32 v44, 0x80
	s_mov_b32 s72, exec_lo
	v_and_b32_e32 v6, 0x7f800000, v3
	v_cmpx_ne_u32_e32 0x7f800000, v6
	s_cbranch_execz .LBB6_1196
; %bb.1189:                             ;   in Loop: Header=BB6_138 Depth=3
	v_mov_b32_e32 v44, 0
	s_mov_b32 s73, exec_lo
	v_cmpx_ne_u32_e32 0, v3
	s_cbranch_execz .LBB6_1195
; %bb.1190:                             ;   in Loop: Header=BB6_138 Depth=3
	v_bfe_u32 v7, v3, 23, 8
	v_and_b32_e32 v6, 0x7fffff, v3
	v_cmp_gt_u32_e64 s16, 0x71, v7
	v_sub_nc_u32_e32 v8, 0x70, v7
	v_cmp_eq_u32_e32 vcc_lo, 0, v7
	v_or_b32_e32 v9, 0x800000, v6
	v_cndmask_b32_e64 v8, 0, v8, s16
	v_cndmask_b32_e32 v6, v9, v6, vcc_lo
	v_cndmask_b32_e64 v8, v8, 0x6f, vcc_lo
	v_lshl_add_u32 v9, 0x200000, v8, -1
	v_lshlrev_b32_e64 v12, v8, 0x100000
	v_and_b32_e32 v9, v9, v6
	v_cmp_eq_u32_e64 s16, v9, v12
	v_lshrrev_b32_e32 v9, v8, v6
	v_add_nc_u32_e32 v6, 0xffffff91, v7
	v_lshrrev_b32_e32 v7, 23, v9
	v_cndmask_b32_e64 v6, v6, 0xffffff92, vcc_lo
	v_xor_b32_e32 v7, 1, v7
	v_add_nc_u32_e32 v6, v8, v6
	v_bfe_u32 v8, v9, 21, 1
	v_add_nc_u32_e32 v8, -1, v8
	v_cndmask_b32_e64 v8, 0, v8, s16
	s_mov_b32 s16, exec_lo
	v_add_nc_u32_e32 v8, v8, v9
	v_and_b32_e32 v8, 0x1fffff, v8
	v_add_nc_u32_e32 v8, v8, v9
                                        ; implicit-def: $vgpr9
	v_cmpx_ne_u32_e64 v6, v7
	s_xor_b32 s16, exec_lo, s16
; %bb.1191:                             ;   in Loop: Header=BB6_138 Depth=3
	v_cmp_lt_u32_e32 vcc_lo, 0xffffff, v8
	v_sub_nc_u32_e32 v6, v6, v7
	v_cndmask_b32_e64 v7, 0, 1, vcc_lo
	v_add_co_ci_u32_e64 v9, null, 0, v6, vcc_lo
	v_lshrrev_b32_e32 v8, v7, v8
; %bb.1192:                             ;   in Loop: Header=BB6_138 Depth=3
	s_andn2_saveexec_b32 s16, s16
; %bb.1193:                             ;   in Loop: Header=BB6_138 Depth=3
	v_bfe_u32 v9, v8, 23, 1
; %bb.1194:                             ;   in Loop: Header=BB6_138 Depth=3
	s_or_b32 exec_lo, exec_lo, s16
	v_lshrrev_b32_e32 v6, 21, v8
	v_min_i32_e32 v7, 31, v9
	v_cmp_gt_i32_e32 vcc_lo, 32, v9
	v_and_b32_sdwa v3, v3, v117 dst_sel:DWORD dst_unused:UNUSED_PAD src0_sel:BYTE_3 src1_sel:DWORD
	v_lshlrev_b32_e32 v7, 2, v7
	v_cndmask_b32_e32 v6, 3, v6, vcc_lo
	v_and_b32_e32 v7, 0xfc, v7
	v_or_b32_e32 v8, v9, v6
	v_and_b32_e32 v6, 3, v6
	v_cmp_ne_u32_e32 vcc_lo, 0, v8
	v_or3_b32 v3, v7, v3, v6
	v_cndmask_b32_e32 v44, 0, v3, vcc_lo
.LBB6_1195:                             ;   in Loop: Header=BB6_138 Depth=3
	s_or_b32 exec_lo, exec_lo, s73
.LBB6_1196:                             ;   in Loop: Header=BB6_138 Depth=3
	s_or_b32 exec_lo, exec_lo, s72
	v_cmp_gt_i16_sdwa s72, v10, v116 src0_sel:BYTE_3 src1_sel:DWORD
	s_mov_b32 s16, 0
	s_and_saveexec_b32 s73, s72
	s_xor_b32 s72, exec_lo, s73
	s_cbranch_execz .LBB6_2086
; %bb.1197:                             ;   in Loop: Header=BB6_138 Depth=3
	v_cmp_eq_u16_sdwa s74, v10, v117 src0_sel:BYTE_3 src1_sel:DWORD
	s_mov_b32 s16, -1
	s_and_saveexec_b32 s73, s74
; %bb.1198:                             ;   in Loop: Header=BB6_138 Depth=3
	s_xor_b32 s16, exec_lo, -1
; %bb.1199:                             ;   in Loop: Header=BB6_138 Depth=3
	s_or_b32 exec_lo, exec_lo, s73
	s_and_b32 s16, s16, exec_lo
	s_or_saveexec_b32 s72, s72
	v_mov_b32_e32 v3, 0x7f800001
	s_xor_b32 exec_lo, exec_lo, s72
	s_cbranch_execnz .LBB6_2087
.LBB6_1200:                             ;   in Loop: Header=BB6_138 Depth=3
	s_or_b32 exec_lo, exec_lo, s72
	s_and_saveexec_b32 s72, s16
	s_cbranch_execz .LBB6_1202
.LBB6_1201:                             ;   in Loop: Header=BB6_138 Depth=3
	v_bfe_u32 v3, v10, 24, 2
	v_bfe_u32 v8, v10, 26, 5
	v_ffbh_u32_e32 v6, v3
	v_cmp_eq_u32_e32 vcc_lo, 0, v8
	v_min_u32_e32 v6, 32, v6
	v_subrev_nc_u32_e32 v7, 29, v6
	v_sub_nc_u32_e32 v6, 30, v6
	v_lshlrev_b32_sdwa v7, v7, v10 dst_sel:DWORD dst_unused:UNUSED_PAD src0_sel:DWORD src1_sel:BYTE_3
	v_cndmask_b32_e32 v6, v8, v6, vcc_lo
	v_and_b32_e32 v7, 3, v7
	v_lshl_add_u32 v6, v6, 23, 0x37800000
	v_cndmask_b32_e32 v3, v3, v7, vcc_lo
	v_and_b32_e32 v7, 0x80000000, v10
	v_lshlrev_b32_e32 v3, 21, v3
	v_or3_b32 v3, v7, v6, v3
.LBB6_1202:                             ;   in Loop: Header=BB6_138 Depth=3
	s_or_b32 exec_lo, exec_lo, s72
	v_mul_f32_e32 v3, s63, v3
	v_mov_b32_e32 v74, 0x8000
	s_mov_b32 s72, exec_lo
	v_and_b32_e32 v6, 0x7f800000, v3
	v_cmpx_ne_u32_e32 0x7f800000, v6
	s_cbranch_execz .LBB6_1210
; %bb.1203:                             ;   in Loop: Header=BB6_138 Depth=3
	v_mov_b32_e32 v74, 0
	s_mov_b32 s73, exec_lo
	v_cmpx_ne_u32_e32 0, v3
	s_cbranch_execz .LBB6_1209
; %bb.1204:                             ;   in Loop: Header=BB6_138 Depth=3
	v_bfe_u32 v7, v3, 23, 8
	v_and_b32_e32 v6, 0x7fffff, v3
	v_cmp_gt_u32_e64 s16, 0x71, v7
	v_sub_nc_u32_e32 v8, 0x70, v7
	v_cmp_eq_u32_e32 vcc_lo, 0, v7
	v_or_b32_e32 v9, 0x800000, v6
	v_cndmask_b32_e64 v8, 0, v8, s16
	v_cndmask_b32_e32 v6, v9, v6, vcc_lo
	v_cndmask_b32_e64 v8, v8, 0x6f, vcc_lo
	v_lshl_add_u32 v9, 0x200000, v8, -1
	v_lshlrev_b32_e64 v10, v8, 0x100000
	v_and_b32_e32 v9, v9, v6
	v_cmp_eq_u32_e64 s16, v9, v10
	v_lshrrev_b32_e32 v9, v8, v6
	v_add_nc_u32_e32 v6, 0xffffff91, v7
	v_lshrrev_b32_e32 v7, 23, v9
	v_cndmask_b32_e64 v6, v6, 0xffffff92, vcc_lo
	v_xor_b32_e32 v7, 1, v7
	v_add_nc_u32_e32 v6, v8, v6
	v_bfe_u32 v8, v9, 21, 1
	v_add_nc_u32_e32 v8, -1, v8
	v_cndmask_b32_e64 v8, 0, v8, s16
	s_mov_b32 s16, exec_lo
	v_add_nc_u32_e32 v8, v8, v9
	v_and_b32_e32 v8, 0x1fffff, v8
	v_add_nc_u32_e32 v8, v8, v9
                                        ; implicit-def: $vgpr9
	v_cmpx_ne_u32_e64 v6, v7
	s_xor_b32 s16, exec_lo, s16
; %bb.1205:                             ;   in Loop: Header=BB6_138 Depth=3
	v_cmp_lt_u32_e32 vcc_lo, 0xffffff, v8
	v_sub_nc_u32_e32 v6, v6, v7
	v_cndmask_b32_e64 v7, 0, 1, vcc_lo
	v_add_co_ci_u32_e64 v9, null, 0, v6, vcc_lo
	v_lshrrev_b32_e32 v8, v7, v8
; %bb.1206:                             ;   in Loop: Header=BB6_138 Depth=3
	s_andn2_saveexec_b32 s16, s16
; %bb.1207:                             ;   in Loop: Header=BB6_138 Depth=3
	v_bfe_u32 v9, v8, 23, 1
; %bb.1208:                             ;   in Loop: Header=BB6_138 Depth=3
	s_or_b32 exec_lo, exec_lo, s16
	v_lshrrev_b32_e32 v6, 21, v8
	v_min_i32_e32 v7, 31, v9
	v_cmp_gt_i32_e32 vcc_lo, 32, v9
	v_and_b32_sdwa v3, v3, v117 dst_sel:DWORD dst_unused:UNUSED_PAD src0_sel:BYTE_3 src1_sel:DWORD
	v_lshlrev_b32_e32 v7, 2, v7
	v_cndmask_b32_e32 v6, 3, v6, vcc_lo
	v_and_b32_e32 v7, 0xfc, v7
	v_or_b32_e32 v8, v9, v6
	v_and_b32_e32 v6, 3, v6
	v_cmp_ne_u32_e32 vcc_lo, 0, v8
	v_or3_b32 v3, v3, v7, v6
	v_lshlrev_b32_e32 v3, 8, v3
	v_cndmask_b32_e32 v74, 0, v3, vcc_lo
.LBB6_1209:                             ;   in Loop: Header=BB6_138 Depth=3
	s_or_b32 exec_lo, exec_lo, s73
.LBB6_1210:                             ;   in Loop: Header=BB6_138 Depth=3
	s_or_b32 exec_lo, exec_lo, s72
	v_cmp_gt_i16_sdwa s16, v11, v116 src0_sel:BYTE_0 src1_sel:DWORD
	s_mov_b32 s72, 0
	s_and_saveexec_b32 s73, s16
	s_xor_b32 s16, exec_lo, s73
	s_cbranch_execz .LBB6_2088
; %bb.1211:                             ;   in Loop: Header=BB6_138 Depth=3
	v_cmp_eq_u16_sdwa s74, v11, v117 src0_sel:BYTE_0 src1_sel:DWORD
	s_mov_b32 s72, -1
	s_and_saveexec_b32 s73, s74
; %bb.1212:                             ;   in Loop: Header=BB6_138 Depth=3
	s_xor_b32 s72, exec_lo, -1
; %bb.1213:                             ;   in Loop: Header=BB6_138 Depth=3
	s_or_b32 exec_lo, exec_lo, s73
	s_and_b32 s72, s72, exec_lo
	s_or_saveexec_b32 s16, s16
	v_mov_b32_e32 v3, 0x7f800001
	s_xor_b32 exec_lo, exec_lo, s16
	s_cbranch_execnz .LBB6_2089
.LBB6_1214:                             ;   in Loop: Header=BB6_138 Depth=3
	s_or_b32 exec_lo, exec_lo, s16
	s_and_saveexec_b32 s16, s72
	s_cbranch_execz .LBB6_1216
.LBB6_1215:                             ;   in Loop: Header=BB6_138 Depth=3
	v_and_b32_e32 v3, 3, v11
	v_bfe_u32 v6, v11, 2, 5
	v_ffbh_u32_e32 v7, v3
	v_cmp_eq_u32_e32 vcc_lo, 0, v6
	v_min_u32_e32 v7, 32, v7
	v_subrev_nc_u32_e32 v8, 29, v7
	v_sub_nc_u32_e32 v7, 30, v7
	v_lshlrev_b32_e32 v8, v8, v11
	v_cndmask_b32_e32 v6, v6, v7, vcc_lo
	v_lshlrev_b32_e32 v7, 24, v11
	v_and_b32_e32 v8, 3, v8
	v_lshl_add_u32 v6, v6, 23, 0x37800000
	v_and_b32_e32 v7, 0x80000000, v7
	v_cndmask_b32_e32 v3, v3, v8, vcc_lo
	v_lshlrev_b32_e32 v3, 21, v3
	v_or3_b32 v3, v7, v6, v3
.LBB6_1216:                             ;   in Loop: Header=BB6_138 Depth=3
	s_or_b32 exec_lo, exec_lo, s16
	v_mul_f32_e32 v3, s63, v3
	v_mov_b32_e32 v75, 0x80
	s_mov_b32 s72, exec_lo
	v_and_b32_e32 v6, 0x7f800000, v3
	v_cmpx_ne_u32_e32 0x7f800000, v6
	s_cbranch_execz .LBB6_1224
; %bb.1217:                             ;   in Loop: Header=BB6_138 Depth=3
	v_mov_b32_e32 v75, 0
	s_mov_b32 s73, exec_lo
	v_cmpx_ne_u32_e32 0, v3
	s_cbranch_execz .LBB6_1223
; %bb.1218:                             ;   in Loop: Header=BB6_138 Depth=3
	v_bfe_u32 v7, v3, 23, 8
	v_and_b32_e32 v6, 0x7fffff, v3
	v_cmp_gt_u32_e64 s16, 0x71, v7
	v_sub_nc_u32_e32 v8, 0x70, v7
	v_cmp_eq_u32_e32 vcc_lo, 0, v7
	v_or_b32_e32 v9, 0x800000, v6
	v_cndmask_b32_e64 v8, 0, v8, s16
	v_cndmask_b32_e32 v6, v9, v6, vcc_lo
	v_cndmask_b32_e64 v8, v8, 0x6f, vcc_lo
	v_lshl_add_u32 v9, 0x200000, v8, -1
	v_lshlrev_b32_e64 v10, v8, 0x100000
	v_and_b32_e32 v9, v9, v6
	v_cmp_eq_u32_e64 s16, v9, v10
	v_lshrrev_b32_e32 v9, v8, v6
	v_add_nc_u32_e32 v6, 0xffffff91, v7
	v_lshrrev_b32_e32 v7, 23, v9
	v_cndmask_b32_e64 v6, v6, 0xffffff92, vcc_lo
	v_xor_b32_e32 v7, 1, v7
	v_add_nc_u32_e32 v6, v8, v6
	v_bfe_u32 v8, v9, 21, 1
	v_add_nc_u32_e32 v8, -1, v8
	v_cndmask_b32_e64 v8, 0, v8, s16
	s_mov_b32 s16, exec_lo
	v_add_nc_u32_e32 v8, v8, v9
	v_and_b32_e32 v8, 0x1fffff, v8
	v_add_nc_u32_e32 v8, v8, v9
                                        ; implicit-def: $vgpr9
	v_cmpx_ne_u32_e64 v6, v7
	s_xor_b32 s16, exec_lo, s16
; %bb.1219:                             ;   in Loop: Header=BB6_138 Depth=3
	v_cmp_lt_u32_e32 vcc_lo, 0xffffff, v8
	v_sub_nc_u32_e32 v6, v6, v7
	v_cndmask_b32_e64 v7, 0, 1, vcc_lo
	v_add_co_ci_u32_e64 v9, null, 0, v6, vcc_lo
	v_lshrrev_b32_e32 v8, v7, v8
; %bb.1220:                             ;   in Loop: Header=BB6_138 Depth=3
	s_andn2_saveexec_b32 s16, s16
; %bb.1221:                             ;   in Loop: Header=BB6_138 Depth=3
	v_bfe_u32 v9, v8, 23, 1
; %bb.1222:                             ;   in Loop: Header=BB6_138 Depth=3
	s_or_b32 exec_lo, exec_lo, s16
	v_lshrrev_b32_e32 v6, 21, v8
	v_min_i32_e32 v7, 31, v9
	v_cmp_gt_i32_e32 vcc_lo, 32, v9
	v_and_b32_sdwa v3, v3, v117 dst_sel:DWORD dst_unused:UNUSED_PAD src0_sel:BYTE_3 src1_sel:DWORD
	v_lshlrev_b32_e32 v7, 2, v7
	v_cndmask_b32_e32 v6, 3, v6, vcc_lo
	v_and_b32_e32 v7, 0xfc, v7
	v_or_b32_e32 v8, v9, v6
	v_and_b32_e32 v6, 3, v6
	v_cmp_ne_u32_e32 vcc_lo, 0, v8
	v_or3_b32 v3, v7, v3, v6
	v_cndmask_b32_e32 v75, 0, v3, vcc_lo
.LBB6_1223:                             ;   in Loop: Header=BB6_138 Depth=3
	s_or_b32 exec_lo, exec_lo, s73
.LBB6_1224:                             ;   in Loop: Header=BB6_138 Depth=3
	s_or_b32 exec_lo, exec_lo, s72
	v_cmp_gt_i16_sdwa s72, v11, v116 src0_sel:BYTE_1 src1_sel:DWORD
	s_mov_b32 s16, 0
	s_and_saveexec_b32 s73, s72
	s_xor_b32 s72, exec_lo, s73
	s_cbranch_execz .LBB6_2090
; %bb.1225:                             ;   in Loop: Header=BB6_138 Depth=3
	v_cmp_eq_u16_sdwa s74, v11, v117 src0_sel:BYTE_1 src1_sel:DWORD
	s_mov_b32 s16, -1
	s_and_saveexec_b32 s73, s74
; %bb.1226:                             ;   in Loop: Header=BB6_138 Depth=3
	s_xor_b32 s16, exec_lo, -1
; %bb.1227:                             ;   in Loop: Header=BB6_138 Depth=3
	s_or_b32 exec_lo, exec_lo, s73
	s_and_b32 s16, s16, exec_lo
	s_or_saveexec_b32 s72, s72
	v_mov_b32_e32 v3, 0x7f800001
	s_xor_b32 exec_lo, exec_lo, s72
	s_cbranch_execnz .LBB6_2091
.LBB6_1228:                             ;   in Loop: Header=BB6_138 Depth=3
	s_or_b32 exec_lo, exec_lo, s72
	s_and_saveexec_b32 s72, s16
	s_cbranch_execz .LBB6_1230
.LBB6_1229:                             ;   in Loop: Header=BB6_138 Depth=3
	v_and_b32_sdwa v3, v118, v11 dst_sel:DWORD dst_unused:UNUSED_PAD src0_sel:DWORD src1_sel:BYTE_1
	v_and_b32_e32 v6, 3, v3
	v_bfe_u32 v9, v3, 2, 5
	v_ffbh_u32_e32 v7, v6
	v_cmp_eq_u32_e32 vcc_lo, 0, v9
	v_min_u32_e32 v7, 32, v7
	v_subrev_nc_u32_e32 v8, 29, v7
	v_sub_nc_u32_e32 v7, 30, v7
	v_lshlrev_b32_e32 v3, v8, v3
	v_lshlrev_b32_sdwa v8, v119, v11 dst_sel:DWORD dst_unused:UNUSED_PAD src0_sel:DWORD src1_sel:BYTE_1
	v_cndmask_b32_e32 v7, v9, v7, vcc_lo
	v_and_b32_e32 v3, 3, v3
	v_lshl_add_u32 v7, v7, 23, 0x37800000
	v_cndmask_b32_e32 v3, v6, v3, vcc_lo
	v_and_b32_e32 v6, 0x80000000, v8
	v_lshlrev_b32_e32 v3, 21, v3
	v_or3_b32 v3, v6, v7, v3
.LBB6_1230:                             ;   in Loop: Header=BB6_138 Depth=3
	s_or_b32 exec_lo, exec_lo, s72
	v_mul_f32_e32 v3, s63, v3
	v_mov_b32_e32 v14, 0x8000
	s_mov_b32 s72, exec_lo
	v_and_b32_e32 v6, 0x7f800000, v3
	v_cmpx_ne_u32_e32 0x7f800000, v6
	s_cbranch_execz .LBB6_1238
; %bb.1231:                             ;   in Loop: Header=BB6_138 Depth=3
	v_mov_b32_e32 v14, 0
	s_mov_b32 s73, exec_lo
	v_cmpx_ne_u32_e32 0, v3
	s_cbranch_execz .LBB6_1237
; %bb.1232:                             ;   in Loop: Header=BB6_138 Depth=3
	v_bfe_u32 v7, v3, 23, 8
	v_and_b32_e32 v6, 0x7fffff, v3
	v_cmp_gt_u32_e64 s16, 0x71, v7
	v_sub_nc_u32_e32 v8, 0x70, v7
	v_cmp_eq_u32_e32 vcc_lo, 0, v7
	v_or_b32_e32 v9, 0x800000, v6
	v_cndmask_b32_e64 v8, 0, v8, s16
	v_cndmask_b32_e32 v6, v9, v6, vcc_lo
	v_cndmask_b32_e64 v8, v8, 0x6f, vcc_lo
	v_lshl_add_u32 v9, 0x200000, v8, -1
	v_lshlrev_b32_e64 v10, v8, 0x100000
	v_and_b32_e32 v9, v9, v6
	v_cmp_eq_u32_e64 s16, v9, v10
	v_lshrrev_b32_e32 v9, v8, v6
	v_add_nc_u32_e32 v6, 0xffffff91, v7
	v_lshrrev_b32_e32 v7, 23, v9
	v_cndmask_b32_e64 v6, v6, 0xffffff92, vcc_lo
	v_xor_b32_e32 v7, 1, v7
	v_add_nc_u32_e32 v6, v8, v6
	v_bfe_u32 v8, v9, 21, 1
	v_add_nc_u32_e32 v8, -1, v8
	v_cndmask_b32_e64 v8, 0, v8, s16
	s_mov_b32 s16, exec_lo
	v_add_nc_u32_e32 v8, v8, v9
	v_and_b32_e32 v8, 0x1fffff, v8
	v_add_nc_u32_e32 v8, v8, v9
                                        ; implicit-def: $vgpr9
	v_cmpx_ne_u32_e64 v6, v7
	s_xor_b32 s16, exec_lo, s16
; %bb.1233:                             ;   in Loop: Header=BB6_138 Depth=3
	v_cmp_lt_u32_e32 vcc_lo, 0xffffff, v8
	v_sub_nc_u32_e32 v6, v6, v7
	v_cndmask_b32_e64 v7, 0, 1, vcc_lo
	v_add_co_ci_u32_e64 v9, null, 0, v6, vcc_lo
	v_lshrrev_b32_e32 v8, v7, v8
; %bb.1234:                             ;   in Loop: Header=BB6_138 Depth=3
	s_andn2_saveexec_b32 s16, s16
; %bb.1235:                             ;   in Loop: Header=BB6_138 Depth=3
	v_bfe_u32 v9, v8, 23, 1
; %bb.1236:                             ;   in Loop: Header=BB6_138 Depth=3
	s_or_b32 exec_lo, exec_lo, s16
	v_lshrrev_b32_e32 v6, 21, v8
	v_min_i32_e32 v7, 31, v9
	v_cmp_gt_i32_e32 vcc_lo, 32, v9
	v_and_b32_sdwa v3, v3, v117 dst_sel:DWORD dst_unused:UNUSED_PAD src0_sel:BYTE_3 src1_sel:DWORD
	v_lshlrev_b32_e32 v7, 2, v7
	v_cndmask_b32_e32 v6, 3, v6, vcc_lo
	v_and_b32_e32 v7, 0xfc, v7
	v_or_b32_e32 v8, v9, v6
	v_and_b32_e32 v6, 3, v6
	v_cmp_ne_u32_e32 vcc_lo, 0, v8
	v_or3_b32 v3, v3, v7, v6
	v_lshlrev_b32_e32 v3, 8, v3
	v_cndmask_b32_e32 v14, 0, v3, vcc_lo
.LBB6_1237:                             ;   in Loop: Header=BB6_138 Depth=3
	s_or_b32 exec_lo, exec_lo, s73
.LBB6_1238:                             ;   in Loop: Header=BB6_138 Depth=3
	s_or_b32 exec_lo, exec_lo, s72
	v_and_b32_sdwa v6, v11, v40 dst_sel:DWORD dst_unused:UNUSED_PAD src0_sel:WORD_1 src1_sel:DWORD
	s_mov_b32 s72, 0
	s_mov_b32 s16, exec_lo
	v_cmpx_lt_i16_e32 0x7f, v6
	s_xor_b32 s16, exec_lo, s16
	s_cbranch_execz .LBB6_2092
; %bb.1239:                             ;   in Loop: Header=BB6_138 Depth=3
	s_mov_b32 s72, -1
	s_mov_b32 s73, exec_lo
	v_cmpx_eq_u16_e32 0x80, v6
; %bb.1240:                             ;   in Loop: Header=BB6_138 Depth=3
	s_xor_b32 s72, exec_lo, -1
; %bb.1241:                             ;   in Loop: Header=BB6_138 Depth=3
	s_or_b32 exec_lo, exec_lo, s73
	s_and_b32 s72, s72, exec_lo
                                        ; implicit-def: $vgpr6
	s_or_saveexec_b32 s16, s16
	v_mov_b32_e32 v3, 0x7f800001
	s_xor_b32 exec_lo, exec_lo, s16
	s_cbranch_execnz .LBB6_2093
.LBB6_1242:                             ;   in Loop: Header=BB6_138 Depth=3
	s_or_b32 exec_lo, exec_lo, s16
	s_and_saveexec_b32 s16, s72
	s_cbranch_execz .LBB6_1244
.LBB6_1243:                             ;   in Loop: Header=BB6_138 Depth=3
	v_bfe_u32 v3, v11, 16, 2
	v_bfe_u32 v6, v11, 18, 5
	v_ffbh_u32_e32 v7, v3
	v_cmp_eq_u32_e32 vcc_lo, 0, v6
	v_min_u32_e32 v7, 32, v7
	v_subrev_nc_u32_e32 v8, 29, v7
	v_sub_nc_u32_e32 v7, 30, v7
	v_lshlrev_b32_sdwa v8, v8, v11 dst_sel:DWORD dst_unused:UNUSED_PAD src0_sel:DWORD src1_sel:WORD_1
	v_cndmask_b32_e32 v6, v6, v7, vcc_lo
	v_lshlrev_b32_e32 v7, 8, v11
	v_and_b32_e32 v8, 3, v8
	v_lshl_add_u32 v6, v6, 23, 0x37800000
	v_and_b32_e32 v7, 0x80000000, v7
	v_cndmask_b32_e32 v3, v3, v8, vcc_lo
	v_lshlrev_b32_e32 v3, 21, v3
	v_or3_b32 v3, v7, v6, v3
.LBB6_1244:                             ;   in Loop: Header=BB6_138 Depth=3
	s_or_b32 exec_lo, exec_lo, s16
	v_mul_f32_e32 v3, s63, v3
	v_mov_b32_e32 v15, 0x80
	s_mov_b32 s72, exec_lo
	v_and_b32_e32 v6, 0x7f800000, v3
	v_cmpx_ne_u32_e32 0x7f800000, v6
	s_cbranch_execz .LBB6_1252
; %bb.1245:                             ;   in Loop: Header=BB6_138 Depth=3
	v_mov_b32_e32 v15, 0
	s_mov_b32 s73, exec_lo
	v_cmpx_ne_u32_e32 0, v3
	s_cbranch_execz .LBB6_1251
; %bb.1246:                             ;   in Loop: Header=BB6_138 Depth=3
	v_bfe_u32 v7, v3, 23, 8
	v_and_b32_e32 v6, 0x7fffff, v3
	v_cmp_gt_u32_e64 s16, 0x71, v7
	v_sub_nc_u32_e32 v8, 0x70, v7
	v_cmp_eq_u32_e32 vcc_lo, 0, v7
	v_or_b32_e32 v9, 0x800000, v6
	v_cndmask_b32_e64 v8, 0, v8, s16
	v_cndmask_b32_e32 v6, v9, v6, vcc_lo
	v_cndmask_b32_e64 v8, v8, 0x6f, vcc_lo
	v_lshl_add_u32 v9, 0x200000, v8, -1
	v_lshlrev_b32_e64 v10, v8, 0x100000
	v_and_b32_e32 v9, v9, v6
	v_cmp_eq_u32_e64 s16, v9, v10
	v_lshrrev_b32_e32 v9, v8, v6
	v_add_nc_u32_e32 v6, 0xffffff91, v7
	v_lshrrev_b32_e32 v7, 23, v9
	v_cndmask_b32_e64 v6, v6, 0xffffff92, vcc_lo
	v_xor_b32_e32 v7, 1, v7
	v_add_nc_u32_e32 v6, v8, v6
	v_bfe_u32 v8, v9, 21, 1
	v_add_nc_u32_e32 v8, -1, v8
	v_cndmask_b32_e64 v8, 0, v8, s16
	s_mov_b32 s16, exec_lo
	v_add_nc_u32_e32 v8, v8, v9
	v_and_b32_e32 v8, 0x1fffff, v8
	v_add_nc_u32_e32 v8, v8, v9
                                        ; implicit-def: $vgpr9
	v_cmpx_ne_u32_e64 v6, v7
	s_xor_b32 s16, exec_lo, s16
; %bb.1247:                             ;   in Loop: Header=BB6_138 Depth=3
	v_cmp_lt_u32_e32 vcc_lo, 0xffffff, v8
	v_sub_nc_u32_e32 v6, v6, v7
	v_cndmask_b32_e64 v7, 0, 1, vcc_lo
	v_add_co_ci_u32_e64 v9, null, 0, v6, vcc_lo
	v_lshrrev_b32_e32 v8, v7, v8
; %bb.1248:                             ;   in Loop: Header=BB6_138 Depth=3
	s_andn2_saveexec_b32 s16, s16
; %bb.1249:                             ;   in Loop: Header=BB6_138 Depth=3
	v_bfe_u32 v9, v8, 23, 1
; %bb.1250:                             ;   in Loop: Header=BB6_138 Depth=3
	s_or_b32 exec_lo, exec_lo, s16
	v_lshrrev_b32_e32 v6, 21, v8
	v_min_i32_e32 v7, 31, v9
	v_cmp_gt_i32_e32 vcc_lo, 32, v9
	v_and_b32_sdwa v3, v3, v117 dst_sel:DWORD dst_unused:UNUSED_PAD src0_sel:BYTE_3 src1_sel:DWORD
	v_lshlrev_b32_e32 v7, 2, v7
	v_cndmask_b32_e32 v6, 3, v6, vcc_lo
	v_and_b32_e32 v7, 0xfc, v7
	v_or_b32_e32 v8, v9, v6
	v_and_b32_e32 v6, 3, v6
	v_cmp_ne_u32_e32 vcc_lo, 0, v8
	v_or3_b32 v3, v7, v3, v6
	v_cndmask_b32_e32 v15, 0, v3, vcc_lo
.LBB6_1251:                             ;   in Loop: Header=BB6_138 Depth=3
	s_or_b32 exec_lo, exec_lo, s73
.LBB6_1252:                             ;   in Loop: Header=BB6_138 Depth=3
	s_or_b32 exec_lo, exec_lo, s72
	v_cmp_gt_i16_sdwa s72, v11, v116 src0_sel:BYTE_3 src1_sel:DWORD
	s_mov_b32 s16, 0
	s_and_saveexec_b32 s73, s72
	s_xor_b32 s72, exec_lo, s73
	s_cbranch_execz .LBB6_2094
; %bb.1253:                             ;   in Loop: Header=BB6_138 Depth=3
	v_cmp_eq_u16_sdwa s74, v11, v117 src0_sel:BYTE_3 src1_sel:DWORD
	s_mov_b32 s16, -1
	s_and_saveexec_b32 s73, s74
; %bb.1254:                             ;   in Loop: Header=BB6_138 Depth=3
	s_xor_b32 s16, exec_lo, -1
; %bb.1255:                             ;   in Loop: Header=BB6_138 Depth=3
	s_or_b32 exec_lo, exec_lo, s73
	s_and_b32 s16, s16, exec_lo
	s_or_saveexec_b32 s72, s72
	v_mov_b32_e32 v3, 0x7f800001
	s_xor_b32 exec_lo, exec_lo, s72
	s_cbranch_execnz .LBB6_2095
.LBB6_1256:                             ;   in Loop: Header=BB6_138 Depth=3
	s_or_b32 exec_lo, exec_lo, s72
	s_and_saveexec_b32 s72, s16
	s_cbranch_execz .LBB6_1258
.LBB6_1257:                             ;   in Loop: Header=BB6_138 Depth=3
	v_bfe_u32 v3, v11, 24, 2
	v_bfe_u32 v8, v11, 26, 5
	v_ffbh_u32_e32 v6, v3
	v_cmp_eq_u32_e32 vcc_lo, 0, v8
	v_min_u32_e32 v6, 32, v6
	v_subrev_nc_u32_e32 v7, 29, v6
	v_sub_nc_u32_e32 v6, 30, v6
	v_lshlrev_b32_sdwa v7, v7, v11 dst_sel:DWORD dst_unused:UNUSED_PAD src0_sel:DWORD src1_sel:BYTE_3
	v_cndmask_b32_e32 v6, v8, v6, vcc_lo
	v_and_b32_e32 v7, 3, v7
	v_lshl_add_u32 v6, v6, 23, 0x37800000
	v_cndmask_b32_e32 v3, v3, v7, vcc_lo
	v_and_b32_e32 v7, 0x80000000, v11
	v_lshlrev_b32_e32 v3, 21, v3
	v_or3_b32 v3, v7, v6, v3
.LBB6_1258:                             ;   in Loop: Header=BB6_138 Depth=3
	s_or_b32 exec_lo, exec_lo, s72
	v_mul_f32_e32 v6, s63, v3
	v_and_b32_e32 v3, 0x7f800000, v6
	v_cmp_ne_u32_e32 vcc_lo, 0x7f800000, v3
	v_mov_b32_e32 v3, 0x8000
	s_and_saveexec_b32 s72, vcc_lo
	s_cbranch_execz .LBB6_1266
; %bb.1259:                             ;   in Loop: Header=BB6_138 Depth=3
	v_mov_b32_e32 v3, 0
	s_mov_b32 s73, exec_lo
	v_cmpx_ne_u32_e32 0, v6
	s_cbranch_execz .LBB6_1265
; %bb.1260:                             ;   in Loop: Header=BB6_138 Depth=3
	v_bfe_u32 v7, v6, 23, 8
	v_and_b32_e32 v3, 0x7fffff, v6
	v_cmp_gt_u32_e64 s16, 0x71, v7
	v_sub_nc_u32_e32 v8, 0x70, v7
	v_cmp_eq_u32_e32 vcc_lo, 0, v7
	v_or_b32_e32 v9, 0x800000, v3
	v_cndmask_b32_e64 v8, 0, v8, s16
	v_cndmask_b32_e32 v3, v9, v3, vcc_lo
	v_cndmask_b32_e64 v8, v8, 0x6f, vcc_lo
	v_lshl_add_u32 v9, 0x200000, v8, -1
	v_lshlrev_b32_e64 v10, v8, 0x100000
	v_and_b32_e32 v9, v9, v3
	v_cmp_eq_u32_e64 s16, v9, v10
	v_lshrrev_b32_e32 v9, v8, v3
	v_add_nc_u32_e32 v3, 0xffffff91, v7
	v_lshrrev_b32_e32 v7, 23, v9
	v_cndmask_b32_e64 v3, v3, 0xffffff92, vcc_lo
	v_xor_b32_e32 v7, 1, v7
	v_add_nc_u32_e32 v3, v8, v3
	v_bfe_u32 v8, v9, 21, 1
	v_add_nc_u32_e32 v8, -1, v8
	v_cndmask_b32_e64 v8, 0, v8, s16
	s_mov_b32 s16, exec_lo
	v_add_nc_u32_e32 v8, v8, v9
	v_and_b32_e32 v8, 0x1fffff, v8
	v_add_nc_u32_e32 v8, v8, v9
                                        ; implicit-def: $vgpr9
	v_cmpx_ne_u32_e64 v3, v7
	s_xor_b32 s16, exec_lo, s16
; %bb.1261:                             ;   in Loop: Header=BB6_138 Depth=3
	v_cmp_lt_u32_e32 vcc_lo, 0xffffff, v8
	v_sub_nc_u32_e32 v3, v3, v7
	v_cndmask_b32_e64 v7, 0, 1, vcc_lo
	v_add_co_ci_u32_e64 v9, null, 0, v3, vcc_lo
	v_lshrrev_b32_e32 v8, v7, v8
; %bb.1262:                             ;   in Loop: Header=BB6_138 Depth=3
	s_andn2_saveexec_b32 s16, s16
; %bb.1263:                             ;   in Loop: Header=BB6_138 Depth=3
	v_bfe_u32 v9, v8, 23, 1
; %bb.1264:                             ;   in Loop: Header=BB6_138 Depth=3
	s_or_b32 exec_lo, exec_lo, s16
	v_and_b32_sdwa v3, v6, v117 dst_sel:DWORD dst_unused:UNUSED_PAD src0_sel:BYTE_3 src1_sel:DWORD
	v_lshrrev_b32_e32 v6, 21, v8
	v_min_i32_e32 v7, 31, v9
	v_cmp_gt_i32_e32 vcc_lo, 32, v9
	v_lshlrev_b32_e32 v7, 2, v7
	v_cndmask_b32_e32 v6, 3, v6, vcc_lo
	v_and_b32_e32 v7, 0xfc, v7
	v_or_b32_e32 v8, v9, v6
	v_and_b32_e32 v6, 3, v6
	v_cmp_ne_u32_e32 vcc_lo, 0, v8
	v_or3_b32 v3, v3, v7, v6
	v_lshlrev_b32_e32 v3, 8, v3
	v_cndmask_b32_e32 v3, 0, v3, vcc_lo
.LBB6_1265:                             ;   in Loop: Header=BB6_138 Depth=3
	s_or_b32 exec_lo, exec_lo, s73
.LBB6_1266:                             ;   in Loop: Header=BB6_138 Depth=3
	s_or_b32 exec_lo, exec_lo, s72
	global_load_dwordx4 v[8:11], v[68:69], off offset:512 slc
	s_mov_b32 s72, 0
	s_waitcnt vmcnt(0)
	v_cmp_gt_i16_sdwa s16, v8, v116 src0_sel:BYTE_0 src1_sel:DWORD
	s_and_saveexec_b32 s73, s16
	s_xor_b32 s16, exec_lo, s73
	s_cbranch_execz .LBB6_2096
; %bb.1267:                             ;   in Loop: Header=BB6_138 Depth=3
	v_cmp_eq_u16_sdwa s74, v8, v117 src0_sel:BYTE_0 src1_sel:DWORD
	s_mov_b32 s72, -1
	s_and_saveexec_b32 s73, s74
; %bb.1268:                             ;   in Loop: Header=BB6_138 Depth=3
	s_xor_b32 s72, exec_lo, -1
; %bb.1269:                             ;   in Loop: Header=BB6_138 Depth=3
	s_or_b32 exec_lo, exec_lo, s73
	s_and_b32 s72, s72, exec_lo
	s_or_saveexec_b32 s16, s16
	v_mov_b32_e32 v6, 0x7f800001
	s_xor_b32 exec_lo, exec_lo, s16
	s_cbranch_execnz .LBB6_2097
.LBB6_1270:                             ;   in Loop: Header=BB6_138 Depth=3
	s_or_b32 exec_lo, exec_lo, s16
	s_and_saveexec_b32 s16, s72
	s_cbranch_execz .LBB6_1272
.LBB6_1271:                             ;   in Loop: Header=BB6_138 Depth=3
	v_and_b32_e32 v6, 3, v8
	v_bfe_u32 v7, v8, 2, 5
	v_ffbh_u32_e32 v12, v6
	v_cmp_eq_u32_e32 vcc_lo, 0, v7
	v_min_u32_e32 v12, 32, v12
	v_subrev_nc_u32_e32 v36, 29, v12
	v_sub_nc_u32_e32 v12, 30, v12
	v_lshlrev_b32_e32 v36, v36, v8
	v_cndmask_b32_e32 v7, v7, v12, vcc_lo
	v_lshlrev_b32_e32 v12, 24, v8
	v_and_b32_e32 v36, 3, v36
	v_lshl_add_u32 v7, v7, 23, 0x37800000
	v_and_b32_e32 v12, 0x80000000, v12
	v_cndmask_b32_e32 v6, v6, v36, vcc_lo
	v_lshlrev_b32_e32 v6, 21, v6
	v_or3_b32 v6, v12, v7, v6
.LBB6_1272:                             ;   in Loop: Header=BB6_138 Depth=3
	s_or_b32 exec_lo, exec_lo, s16
	v_mul_f32_e32 v6, s63, v6
	v_mov_b32_e32 v70, 0x80
	s_mov_b32 s72, exec_lo
	v_and_b32_e32 v7, 0x7f800000, v6
	v_cmpx_ne_u32_e32 0x7f800000, v7
	s_cbranch_execz .LBB6_1280
; %bb.1273:                             ;   in Loop: Header=BB6_138 Depth=3
	v_mov_b32_e32 v70, 0
	s_mov_b32 s73, exec_lo
	v_cmpx_ne_u32_e32 0, v6
	s_cbranch_execz .LBB6_1279
; %bb.1274:                             ;   in Loop: Header=BB6_138 Depth=3
	v_bfe_u32 v12, v6, 23, 8
	v_and_b32_e32 v7, 0x7fffff, v6
	v_cmp_gt_u32_e64 s16, 0x71, v12
	v_sub_nc_u32_e32 v36, 0x70, v12
	v_cmp_eq_u32_e32 vcc_lo, 0, v12
	v_or_b32_e32 v37, 0x800000, v7
	v_cndmask_b32_e64 v36, 0, v36, s16
	v_cndmask_b32_e32 v7, v37, v7, vcc_lo
	v_cndmask_b32_e64 v36, v36, 0x6f, vcc_lo
	v_lshl_add_u32 v37, 0x200000, v36, -1
	v_lshlrev_b32_e64 v70, v36, 0x100000
	v_and_b32_e32 v37, v37, v7
	v_cmp_eq_u32_e64 s16, v37, v70
	v_lshrrev_b32_e32 v37, v36, v7
	v_add_nc_u32_e32 v7, 0xffffff91, v12
	v_lshrrev_b32_e32 v12, 23, v37
	v_cndmask_b32_e64 v7, v7, 0xffffff92, vcc_lo
	v_xor_b32_e32 v12, 1, v12
	v_add_nc_u32_e32 v7, v36, v7
	v_bfe_u32 v36, v37, 21, 1
	v_add_nc_u32_e32 v36, -1, v36
	v_cndmask_b32_e64 v36, 0, v36, s16
	s_mov_b32 s16, exec_lo
	v_add_nc_u32_e32 v36, v36, v37
	v_and_b32_e32 v36, 0x1fffff, v36
	v_add_nc_u32_e32 v36, v36, v37
                                        ; implicit-def: $vgpr37
	v_cmpx_ne_u32_e64 v7, v12
	s_xor_b32 s16, exec_lo, s16
; %bb.1275:                             ;   in Loop: Header=BB6_138 Depth=3
	v_cmp_lt_u32_e32 vcc_lo, 0xffffff, v36
	v_sub_nc_u32_e32 v7, v7, v12
	v_cndmask_b32_e64 v12, 0, 1, vcc_lo
	v_add_co_ci_u32_e64 v37, null, 0, v7, vcc_lo
	v_lshrrev_b32_e32 v36, v12, v36
; %bb.1276:                             ;   in Loop: Header=BB6_138 Depth=3
	s_andn2_saveexec_b32 s16, s16
; %bb.1277:                             ;   in Loop: Header=BB6_138 Depth=3
	v_bfe_u32 v37, v36, 23, 1
; %bb.1278:                             ;   in Loop: Header=BB6_138 Depth=3
	s_or_b32 exec_lo, exec_lo, s16
	v_lshrrev_b32_e32 v7, 21, v36
	v_min_i32_e32 v12, 31, v37
	v_cmp_gt_i32_e32 vcc_lo, 32, v37
	v_and_b32_sdwa v6, v6, v117 dst_sel:DWORD dst_unused:UNUSED_PAD src0_sel:BYTE_3 src1_sel:DWORD
	v_lshlrev_b32_e32 v12, 2, v12
	v_cndmask_b32_e32 v7, 3, v7, vcc_lo
	v_and_b32_e32 v12, 0xfc, v12
	v_or_b32_e32 v36, v37, v7
	v_and_b32_e32 v7, 3, v7
	v_cmp_ne_u32_e32 vcc_lo, 0, v36
	v_or3_b32 v6, v12, v6, v7
	v_cndmask_b32_e32 v70, 0, v6, vcc_lo
.LBB6_1279:                             ;   in Loop: Header=BB6_138 Depth=3
	s_or_b32 exec_lo, exec_lo, s73
.LBB6_1280:                             ;   in Loop: Header=BB6_138 Depth=3
	s_or_b32 exec_lo, exec_lo, s72
	v_cmp_gt_i16_sdwa s72, v8, v116 src0_sel:BYTE_1 src1_sel:DWORD
	s_mov_b32 s16, 0
	s_and_saveexec_b32 s73, s72
	s_xor_b32 s72, exec_lo, s73
	s_cbranch_execz .LBB6_2098
; %bb.1281:                             ;   in Loop: Header=BB6_138 Depth=3
	v_cmp_eq_u16_sdwa s74, v8, v117 src0_sel:BYTE_1 src1_sel:DWORD
	s_mov_b32 s16, -1
	s_and_saveexec_b32 s73, s74
; %bb.1282:                             ;   in Loop: Header=BB6_138 Depth=3
	s_xor_b32 s16, exec_lo, -1
; %bb.1283:                             ;   in Loop: Header=BB6_138 Depth=3
	s_or_b32 exec_lo, exec_lo, s73
	s_and_b32 s16, s16, exec_lo
	s_or_saveexec_b32 s72, s72
	v_mov_b32_e32 v6, 0x7f800001
	s_xor_b32 exec_lo, exec_lo, s72
	s_cbranch_execnz .LBB6_2099
.LBB6_1284:                             ;   in Loop: Header=BB6_138 Depth=3
	s_or_b32 exec_lo, exec_lo, s72
	s_and_saveexec_b32 s72, s16
	s_cbranch_execz .LBB6_1286
.LBB6_1285:                             ;   in Loop: Header=BB6_138 Depth=3
	v_and_b32_sdwa v6, v118, v8 dst_sel:DWORD dst_unused:UNUSED_PAD src0_sel:DWORD src1_sel:BYTE_1
	v_and_b32_e32 v7, 3, v6
	v_bfe_u32 v37, v6, 2, 5
	v_ffbh_u32_e32 v12, v7
	v_cmp_eq_u32_e32 vcc_lo, 0, v37
	v_min_u32_e32 v12, 32, v12
	v_subrev_nc_u32_e32 v36, 29, v12
	v_sub_nc_u32_e32 v12, 30, v12
	v_lshlrev_b32_e32 v6, v36, v6
	v_lshlrev_b32_sdwa v36, v119, v8 dst_sel:DWORD dst_unused:UNUSED_PAD src0_sel:DWORD src1_sel:BYTE_1
	v_cndmask_b32_e32 v12, v37, v12, vcc_lo
	v_and_b32_e32 v6, 3, v6
	v_lshl_add_u32 v12, v12, 23, 0x37800000
	v_cndmask_b32_e32 v6, v7, v6, vcc_lo
	v_and_b32_e32 v7, 0x80000000, v36
	v_lshlrev_b32_e32 v6, 21, v6
	v_or3_b32 v6, v7, v12, v6
.LBB6_1286:                             ;   in Loop: Header=BB6_138 Depth=3
	s_or_b32 exec_lo, exec_lo, s72
	v_mul_f32_e32 v6, s63, v6
	v_mov_b32_e32 v36, 0x8000
	s_mov_b32 s72, exec_lo
	v_and_b32_e32 v7, 0x7f800000, v6
	v_cmpx_ne_u32_e32 0x7f800000, v7
	s_cbranch_execz .LBB6_1294
; %bb.1287:                             ;   in Loop: Header=BB6_138 Depth=3
	v_mov_b32_e32 v36, 0
	s_mov_b32 s73, exec_lo
	v_cmpx_ne_u32_e32 0, v6
	s_cbranch_execz .LBB6_1293
; %bb.1288:                             ;   in Loop: Header=BB6_138 Depth=3
	v_bfe_u32 v12, v6, 23, 8
	v_and_b32_e32 v7, 0x7fffff, v6
	v_cmp_gt_u32_e64 s16, 0x71, v12
	v_sub_nc_u32_e32 v36, 0x70, v12
	v_cmp_eq_u32_e32 vcc_lo, 0, v12
	v_or_b32_e32 v37, 0x800000, v7
	v_cndmask_b32_e64 v36, 0, v36, s16
	v_cndmask_b32_e32 v7, v37, v7, vcc_lo
	v_cndmask_b32_e64 v36, v36, 0x6f, vcc_lo
	v_lshl_add_u32 v37, 0x200000, v36, -1
	v_lshlrev_b32_e64 v81, v36, 0x100000
	v_and_b32_e32 v37, v37, v7
	v_cmp_eq_u32_e64 s16, v37, v81
	v_lshrrev_b32_e32 v37, v36, v7
	v_add_nc_u32_e32 v7, 0xffffff91, v12
	v_lshrrev_b32_e32 v12, 23, v37
	v_cndmask_b32_e64 v7, v7, 0xffffff92, vcc_lo
	v_xor_b32_e32 v12, 1, v12
	v_add_nc_u32_e32 v7, v36, v7
	v_bfe_u32 v36, v37, 21, 1
	v_add_nc_u32_e32 v36, -1, v36
	v_cndmask_b32_e64 v36, 0, v36, s16
	s_mov_b32 s16, exec_lo
	v_add_nc_u32_e32 v36, v36, v37
	v_and_b32_e32 v36, 0x1fffff, v36
	v_add_nc_u32_e32 v36, v36, v37
                                        ; implicit-def: $vgpr37
	v_cmpx_ne_u32_e64 v7, v12
	s_xor_b32 s16, exec_lo, s16
; %bb.1289:                             ;   in Loop: Header=BB6_138 Depth=3
	v_cmp_lt_u32_e32 vcc_lo, 0xffffff, v36
	v_sub_nc_u32_e32 v7, v7, v12
	v_cndmask_b32_e64 v12, 0, 1, vcc_lo
	v_add_co_ci_u32_e64 v37, null, 0, v7, vcc_lo
	v_lshrrev_b32_e32 v36, v12, v36
; %bb.1290:                             ;   in Loop: Header=BB6_138 Depth=3
	s_andn2_saveexec_b32 s16, s16
; %bb.1291:                             ;   in Loop: Header=BB6_138 Depth=3
	v_bfe_u32 v37, v36, 23, 1
; %bb.1292:                             ;   in Loop: Header=BB6_138 Depth=3
	s_or_b32 exec_lo, exec_lo, s16
	v_lshrrev_b32_e32 v7, 21, v36
	v_min_i32_e32 v12, 31, v37
	v_cmp_gt_i32_e32 vcc_lo, 32, v37
	v_and_b32_sdwa v6, v6, v117 dst_sel:DWORD dst_unused:UNUSED_PAD src0_sel:BYTE_3 src1_sel:DWORD
	v_lshlrev_b32_e32 v12, 2, v12
	v_cndmask_b32_e32 v7, 3, v7, vcc_lo
	v_and_b32_e32 v12, 0xfc, v12
	v_or_b32_e32 v36, v37, v7
	v_and_b32_e32 v7, 3, v7
	v_cmp_ne_u32_e32 vcc_lo, 0, v36
	v_or3_b32 v6, v6, v12, v7
	v_lshlrev_b32_e32 v6, 8, v6
	v_cndmask_b32_e32 v36, 0, v6, vcc_lo
.LBB6_1293:                             ;   in Loop: Header=BB6_138 Depth=3
	s_or_b32 exec_lo, exec_lo, s73
.LBB6_1294:                             ;   in Loop: Header=BB6_138 Depth=3
	s_or_b32 exec_lo, exec_lo, s72
	v_and_b32_sdwa v7, v8, v40 dst_sel:DWORD dst_unused:UNUSED_PAD src0_sel:WORD_1 src1_sel:DWORD
	s_mov_b32 s72, 0
	s_mov_b32 s16, exec_lo
	v_cmpx_lt_i16_e32 0x7f, v7
	s_xor_b32 s16, exec_lo, s16
	s_cbranch_execz .LBB6_2100
; %bb.1295:                             ;   in Loop: Header=BB6_138 Depth=3
	s_mov_b32 s72, -1
	s_mov_b32 s73, exec_lo
	v_cmpx_eq_u16_e32 0x80, v7
; %bb.1296:                             ;   in Loop: Header=BB6_138 Depth=3
	s_xor_b32 s72, exec_lo, -1
; %bb.1297:                             ;   in Loop: Header=BB6_138 Depth=3
	s_or_b32 exec_lo, exec_lo, s73
	s_and_b32 s72, s72, exec_lo
                                        ; implicit-def: $vgpr7
	s_or_saveexec_b32 s16, s16
	v_mov_b32_e32 v6, 0x7f800001
	s_xor_b32 exec_lo, exec_lo, s16
	s_cbranch_execnz .LBB6_2101
.LBB6_1298:                             ;   in Loop: Header=BB6_138 Depth=3
	s_or_b32 exec_lo, exec_lo, s16
	s_and_saveexec_b32 s16, s72
	s_cbranch_execz .LBB6_1300
.LBB6_1299:                             ;   in Loop: Header=BB6_138 Depth=3
	v_bfe_u32 v6, v8, 16, 2
	v_bfe_u32 v7, v8, 18, 5
	v_ffbh_u32_e32 v12, v6
	v_cmp_eq_u32_e32 vcc_lo, 0, v7
	v_min_u32_e32 v12, 32, v12
	v_subrev_nc_u32_e32 v37, 29, v12
	v_sub_nc_u32_e32 v12, 30, v12
	v_lshlrev_b32_sdwa v37, v37, v8 dst_sel:DWORD dst_unused:UNUSED_PAD src0_sel:DWORD src1_sel:WORD_1
	v_cndmask_b32_e32 v7, v7, v12, vcc_lo
	v_lshlrev_b32_e32 v12, 8, v8
	v_and_b32_e32 v37, 3, v37
	v_lshl_add_u32 v7, v7, 23, 0x37800000
	v_and_b32_e32 v12, 0x80000000, v12
	v_cndmask_b32_e32 v6, v6, v37, vcc_lo
	v_lshlrev_b32_e32 v6, 21, v6
	v_or3_b32 v6, v12, v7, v6
.LBB6_1300:                             ;   in Loop: Header=BB6_138 Depth=3
	s_or_b32 exec_lo, exec_lo, s16
	v_mul_f32_e32 v6, s63, v6
	v_mov_b32_e32 v37, 0x80
	s_mov_b32 s72, exec_lo
	v_and_b32_e32 v7, 0x7f800000, v6
	v_cmpx_ne_u32_e32 0x7f800000, v7
	s_cbranch_execz .LBB6_1308
; %bb.1301:                             ;   in Loop: Header=BB6_138 Depth=3
	v_mov_b32_e32 v37, 0
	s_mov_b32 s73, exec_lo
	v_cmpx_ne_u32_e32 0, v6
	s_cbranch_execz .LBB6_1307
; %bb.1302:                             ;   in Loop: Header=BB6_138 Depth=3
	v_bfe_u32 v12, v6, 23, 8
	v_and_b32_e32 v7, 0x7fffff, v6
	v_cmp_gt_u32_e64 s16, 0x71, v12
	v_sub_nc_u32_e32 v37, 0x70, v12
	v_cmp_eq_u32_e32 vcc_lo, 0, v12
	v_or_b32_e32 v81, 0x800000, v7
	v_cndmask_b32_e64 v37, 0, v37, s16
	v_cndmask_b32_e32 v7, v81, v7, vcc_lo
	v_cndmask_b32_e64 v37, v37, 0x6f, vcc_lo
	v_lshl_add_u32 v81, 0x200000, v37, -1
	v_lshlrev_b32_e64 v82, v37, 0x100000
	v_and_b32_e32 v81, v81, v7
	v_cmp_eq_u32_e64 s16, v81, v82
	v_lshrrev_b32_e32 v81, v37, v7
	v_add_nc_u32_e32 v7, 0xffffff91, v12
	v_lshrrev_b32_e32 v12, 23, v81
	v_cndmask_b32_e64 v7, v7, 0xffffff92, vcc_lo
	v_xor_b32_e32 v12, 1, v12
	v_add_nc_u32_e32 v7, v37, v7
	v_bfe_u32 v37, v81, 21, 1
	v_add_nc_u32_e32 v37, -1, v37
	v_cndmask_b32_e64 v37, 0, v37, s16
	s_mov_b32 s16, exec_lo
	v_add_nc_u32_e32 v37, v37, v81
	v_and_b32_e32 v37, 0x1fffff, v37
	v_add_nc_u32_e32 v37, v37, v81
                                        ; implicit-def: $vgpr81
	v_cmpx_ne_u32_e64 v7, v12
	s_xor_b32 s16, exec_lo, s16
; %bb.1303:                             ;   in Loop: Header=BB6_138 Depth=3
	v_cmp_lt_u32_e32 vcc_lo, 0xffffff, v37
	v_sub_nc_u32_e32 v7, v7, v12
	v_cndmask_b32_e64 v12, 0, 1, vcc_lo
	v_add_co_ci_u32_e64 v81, null, 0, v7, vcc_lo
	v_lshrrev_b32_e32 v37, v12, v37
; %bb.1304:                             ;   in Loop: Header=BB6_138 Depth=3
	s_andn2_saveexec_b32 s16, s16
; %bb.1305:                             ;   in Loop: Header=BB6_138 Depth=3
	v_bfe_u32 v81, v37, 23, 1
; %bb.1306:                             ;   in Loop: Header=BB6_138 Depth=3
	s_or_b32 exec_lo, exec_lo, s16
	v_lshrrev_b32_e32 v7, 21, v37
	v_min_i32_e32 v12, 31, v81
	v_cmp_gt_i32_e32 vcc_lo, 32, v81
	v_and_b32_sdwa v6, v6, v117 dst_sel:DWORD dst_unused:UNUSED_PAD src0_sel:BYTE_3 src1_sel:DWORD
	v_lshlrev_b32_e32 v12, 2, v12
	v_cndmask_b32_e32 v7, 3, v7, vcc_lo
	v_and_b32_e32 v12, 0xfc, v12
	v_or_b32_e32 v37, v81, v7
	v_and_b32_e32 v7, 3, v7
	v_cmp_ne_u32_e32 vcc_lo, 0, v37
	v_or3_b32 v6, v12, v6, v7
	v_cndmask_b32_e32 v37, 0, v6, vcc_lo
.LBB6_1307:                             ;   in Loop: Header=BB6_138 Depth=3
	s_or_b32 exec_lo, exec_lo, s73
.LBB6_1308:                             ;   in Loop: Header=BB6_138 Depth=3
	s_or_b32 exec_lo, exec_lo, s72
	v_cmp_gt_i16_sdwa s72, v8, v116 src0_sel:BYTE_3 src1_sel:DWORD
	s_mov_b32 s16, 0
	s_and_saveexec_b32 s73, s72
	s_xor_b32 s72, exec_lo, s73
	s_cbranch_execz .LBB6_2102
; %bb.1309:                             ;   in Loop: Header=BB6_138 Depth=3
	v_cmp_eq_u16_sdwa s74, v8, v117 src0_sel:BYTE_3 src1_sel:DWORD
	s_mov_b32 s16, -1
	s_and_saveexec_b32 s73, s74
; %bb.1310:                             ;   in Loop: Header=BB6_138 Depth=3
	s_xor_b32 s16, exec_lo, -1
; %bb.1311:                             ;   in Loop: Header=BB6_138 Depth=3
	s_or_b32 exec_lo, exec_lo, s73
	s_and_b32 s16, s16, exec_lo
	s_or_saveexec_b32 s72, s72
	v_mov_b32_e32 v6, 0x7f800001
	s_xor_b32 exec_lo, exec_lo, s72
	s_cbranch_execnz .LBB6_2103
.LBB6_1312:                             ;   in Loop: Header=BB6_138 Depth=3
	s_or_b32 exec_lo, exec_lo, s72
	s_and_saveexec_b32 s72, s16
	s_cbranch_execz .LBB6_1314
.LBB6_1313:                             ;   in Loop: Header=BB6_138 Depth=3
	v_bfe_u32 v6, v8, 24, 2
	v_bfe_u32 v81, v8, 26, 5
	v_ffbh_u32_e32 v7, v6
	v_cmp_eq_u32_e32 vcc_lo, 0, v81
	v_min_u32_e32 v7, 32, v7
	v_subrev_nc_u32_e32 v12, 29, v7
	v_sub_nc_u32_e32 v7, 30, v7
	v_lshlrev_b32_sdwa v12, v12, v8 dst_sel:DWORD dst_unused:UNUSED_PAD src0_sel:DWORD src1_sel:BYTE_3
	v_cndmask_b32_e32 v7, v81, v7, vcc_lo
	v_and_b32_e32 v8, 0x80000000, v8
	v_and_b32_e32 v12, 3, v12
	v_lshl_add_u32 v7, v7, 23, 0x37800000
	v_cndmask_b32_e32 v6, v6, v12, vcc_lo
	v_lshlrev_b32_e32 v6, 21, v6
	v_or3_b32 v6, v8, v7, v6
.LBB6_1314:                             ;   in Loop: Header=BB6_138 Depth=3
	s_or_b32 exec_lo, exec_lo, s72
	v_mul_f32_e32 v6, s63, v6
	v_mov_b32_e32 v101, 0x8000
	s_mov_b32 s72, exec_lo
	v_and_b32_e32 v7, 0x7f800000, v6
	v_cmpx_ne_u32_e32 0x7f800000, v7
	s_cbranch_execz .LBB6_1322
; %bb.1315:                             ;   in Loop: Header=BB6_138 Depth=3
	v_mov_b32_e32 v101, 0
	s_mov_b32 s73, exec_lo
	v_cmpx_ne_u32_e32 0, v6
	s_cbranch_execz .LBB6_1321
; %bb.1316:                             ;   in Loop: Header=BB6_138 Depth=3
	v_bfe_u32 v8, v6, 23, 8
	v_and_b32_e32 v7, 0x7fffff, v6
	v_cmp_gt_u32_e64 s16, 0x71, v8
	v_sub_nc_u32_e32 v12, 0x70, v8
	v_cmp_eq_u32_e32 vcc_lo, 0, v8
	v_or_b32_e32 v81, 0x800000, v7
	v_cndmask_b32_e64 v12, 0, v12, s16
	v_cndmask_b32_e32 v7, v81, v7, vcc_lo
	v_cndmask_b32_e64 v12, v12, 0x6f, vcc_lo
	v_lshl_add_u32 v81, 0x200000, v12, -1
	v_lshlrev_b32_e64 v82, v12, 0x100000
	v_and_b32_e32 v81, v81, v7
	v_cmp_eq_u32_e64 s16, v81, v82
	v_lshrrev_b32_e32 v81, v12, v7
	v_add_nc_u32_e32 v7, 0xffffff91, v8
	v_lshrrev_b32_e32 v8, 23, v81
	v_cndmask_b32_e64 v7, v7, 0xffffff92, vcc_lo
	v_xor_b32_e32 v8, 1, v8
	v_add_nc_u32_e32 v7, v12, v7
	v_bfe_u32 v12, v81, 21, 1
	v_add_nc_u32_e32 v12, -1, v12
	v_cndmask_b32_e64 v12, 0, v12, s16
	s_mov_b32 s16, exec_lo
	v_add_nc_u32_e32 v12, v12, v81
	v_and_b32_e32 v12, 0x1fffff, v12
	v_add_nc_u32_e32 v12, v12, v81
                                        ; implicit-def: $vgpr81
	v_cmpx_ne_u32_e64 v7, v8
	s_xor_b32 s16, exec_lo, s16
; %bb.1317:                             ;   in Loop: Header=BB6_138 Depth=3
	v_cmp_lt_u32_e32 vcc_lo, 0xffffff, v12
	v_sub_nc_u32_e32 v7, v7, v8
	v_cndmask_b32_e64 v8, 0, 1, vcc_lo
	v_add_co_ci_u32_e64 v81, null, 0, v7, vcc_lo
	v_lshrrev_b32_e32 v12, v8, v12
; %bb.1318:                             ;   in Loop: Header=BB6_138 Depth=3
	s_andn2_saveexec_b32 s16, s16
; %bb.1319:                             ;   in Loop: Header=BB6_138 Depth=3
	v_bfe_u32 v81, v12, 23, 1
; %bb.1320:                             ;   in Loop: Header=BB6_138 Depth=3
	s_or_b32 exec_lo, exec_lo, s16
	v_lshrrev_b32_e32 v7, 21, v12
	v_min_i32_e32 v8, 31, v81
	v_cmp_gt_i32_e32 vcc_lo, 32, v81
	v_and_b32_sdwa v6, v6, v117 dst_sel:DWORD dst_unused:UNUSED_PAD src0_sel:BYTE_3 src1_sel:DWORD
	v_lshlrev_b32_e32 v8, 2, v8
	v_cndmask_b32_e32 v7, 3, v7, vcc_lo
	v_and_b32_e32 v8, 0xfc, v8
	v_or_b32_e32 v12, v81, v7
	v_and_b32_e32 v7, 3, v7
	v_cmp_ne_u32_e32 vcc_lo, 0, v12
	v_or3_b32 v6, v6, v8, v7
	v_lshlrev_b32_e32 v6, 8, v6
	v_cndmask_b32_e32 v101, 0, v6, vcc_lo
.LBB6_1321:                             ;   in Loop: Header=BB6_138 Depth=3
	s_or_b32 exec_lo, exec_lo, s73
.LBB6_1322:                             ;   in Loop: Header=BB6_138 Depth=3
	s_or_b32 exec_lo, exec_lo, s72
	v_cmp_gt_i16_sdwa s16, v9, v116 src0_sel:BYTE_0 src1_sel:DWORD
	s_mov_b32 s72, 0
	s_and_saveexec_b32 s73, s16
	s_xor_b32 s16, exec_lo, s73
	s_cbranch_execz .LBB6_2104
; %bb.1323:                             ;   in Loop: Header=BB6_138 Depth=3
	v_cmp_eq_u16_sdwa s74, v9, v117 src0_sel:BYTE_0 src1_sel:DWORD
	s_mov_b32 s72, -1
	s_and_saveexec_b32 s73, s74
; %bb.1324:                             ;   in Loop: Header=BB6_138 Depth=3
	s_xor_b32 s72, exec_lo, -1
; %bb.1325:                             ;   in Loop: Header=BB6_138 Depth=3
	s_or_b32 exec_lo, exec_lo, s73
	s_and_b32 s72, s72, exec_lo
	s_or_saveexec_b32 s16, s16
	v_mov_b32_e32 v6, 0x7f800001
	s_xor_b32 exec_lo, exec_lo, s16
	s_cbranch_execnz .LBB6_2105
.LBB6_1326:                             ;   in Loop: Header=BB6_138 Depth=3
	s_or_b32 exec_lo, exec_lo, s16
	s_and_saveexec_b32 s16, s72
	s_cbranch_execz .LBB6_1328
.LBB6_1327:                             ;   in Loop: Header=BB6_138 Depth=3
	v_and_b32_e32 v6, 3, v9
	v_bfe_u32 v7, v9, 2, 5
	v_ffbh_u32_e32 v8, v6
	v_cmp_eq_u32_e32 vcc_lo, 0, v7
	v_min_u32_e32 v8, 32, v8
	v_subrev_nc_u32_e32 v12, 29, v8
	v_sub_nc_u32_e32 v8, 30, v8
	v_lshlrev_b32_e32 v12, v12, v9
	v_cndmask_b32_e32 v7, v7, v8, vcc_lo
	v_lshlrev_b32_e32 v8, 24, v9
	v_and_b32_e32 v12, 3, v12
	v_lshl_add_u32 v7, v7, 23, 0x37800000
	v_and_b32_e32 v8, 0x80000000, v8
	v_cndmask_b32_e32 v6, v6, v12, vcc_lo
	v_lshlrev_b32_e32 v6, 21, v6
	v_or3_b32 v6, v8, v7, v6
.LBB6_1328:                             ;   in Loop: Header=BB6_138 Depth=3
	s_or_b32 exec_lo, exec_lo, s16
	v_mul_f32_e32 v7, s63, v6
	v_and_b32_e32 v6, 0x7f800000, v7
	v_cmp_ne_u32_e32 vcc_lo, 0x7f800000, v6
	v_mov_b32_e32 v6, 0x80
	s_and_saveexec_b32 s72, vcc_lo
	s_cbranch_execz .LBB6_1336
; %bb.1329:                             ;   in Loop: Header=BB6_138 Depth=3
	v_mov_b32_e32 v6, 0
	s_mov_b32 s73, exec_lo
	v_cmpx_ne_u32_e32 0, v7
	s_cbranch_execz .LBB6_1335
; %bb.1330:                             ;   in Loop: Header=BB6_138 Depth=3
	v_bfe_u32 v8, v7, 23, 8
	v_and_b32_e32 v6, 0x7fffff, v7
	v_cmp_gt_u32_e64 s16, 0x71, v8
	v_sub_nc_u32_e32 v12, 0x70, v8
	v_cmp_eq_u32_e32 vcc_lo, 0, v8
	v_or_b32_e32 v81, 0x800000, v6
	v_cndmask_b32_e64 v12, 0, v12, s16
	v_cndmask_b32_e32 v6, v81, v6, vcc_lo
	v_cndmask_b32_e64 v12, v12, 0x6f, vcc_lo
	v_lshl_add_u32 v81, 0x200000, v12, -1
	v_lshlrev_b32_e64 v82, v12, 0x100000
	v_and_b32_e32 v81, v81, v6
	v_cmp_eq_u32_e64 s16, v81, v82
	v_lshrrev_b32_e32 v81, v12, v6
	v_add_nc_u32_e32 v6, 0xffffff91, v8
	v_lshrrev_b32_e32 v8, 23, v81
	v_cndmask_b32_e64 v6, v6, 0xffffff92, vcc_lo
	v_xor_b32_e32 v8, 1, v8
	v_add_nc_u32_e32 v6, v12, v6
	v_bfe_u32 v12, v81, 21, 1
	v_add_nc_u32_e32 v12, -1, v12
	v_cndmask_b32_e64 v12, 0, v12, s16
	s_mov_b32 s16, exec_lo
	v_add_nc_u32_e32 v12, v12, v81
	v_and_b32_e32 v12, 0x1fffff, v12
	v_add_nc_u32_e32 v12, v12, v81
                                        ; implicit-def: $vgpr81
	v_cmpx_ne_u32_e64 v6, v8
	s_xor_b32 s16, exec_lo, s16
; %bb.1331:                             ;   in Loop: Header=BB6_138 Depth=3
	v_cmp_lt_u32_e32 vcc_lo, 0xffffff, v12
	v_sub_nc_u32_e32 v6, v6, v8
	v_cndmask_b32_e64 v8, 0, 1, vcc_lo
	v_add_co_ci_u32_e64 v81, null, 0, v6, vcc_lo
	v_lshrrev_b32_e32 v12, v8, v12
; %bb.1332:                             ;   in Loop: Header=BB6_138 Depth=3
	s_andn2_saveexec_b32 s16, s16
; %bb.1333:                             ;   in Loop: Header=BB6_138 Depth=3
	v_bfe_u32 v81, v12, 23, 1
; %bb.1334:                             ;   in Loop: Header=BB6_138 Depth=3
	s_or_b32 exec_lo, exec_lo, s16
	v_and_b32_sdwa v6, v7, v117 dst_sel:DWORD dst_unused:UNUSED_PAD src0_sel:BYTE_3 src1_sel:DWORD
	v_lshrrev_b32_e32 v7, 21, v12
	v_min_i32_e32 v8, 31, v81
	v_cmp_gt_i32_e32 vcc_lo, 32, v81
	v_lshlrev_b32_e32 v8, 2, v8
	v_cndmask_b32_e32 v7, 3, v7, vcc_lo
	v_and_b32_e32 v8, 0xfc, v8
	v_or_b32_e32 v12, v81, v7
	v_and_b32_e32 v7, 3, v7
	v_cmp_ne_u32_e32 vcc_lo, 0, v12
	v_or3_b32 v6, v8, v6, v7
	v_cndmask_b32_e32 v6, 0, v6, vcc_lo
.LBB6_1335:                             ;   in Loop: Header=BB6_138 Depth=3
	s_or_b32 exec_lo, exec_lo, s73
.LBB6_1336:                             ;   in Loop: Header=BB6_138 Depth=3
	s_or_b32 exec_lo, exec_lo, s72
	v_cmp_gt_i16_sdwa s72, v9, v116 src0_sel:BYTE_1 src1_sel:DWORD
	s_mov_b32 s16, 0
	s_and_saveexec_b32 s73, s72
	s_xor_b32 s72, exec_lo, s73
	s_cbranch_execz .LBB6_2106
; %bb.1337:                             ;   in Loop: Header=BB6_138 Depth=3
	v_cmp_eq_u16_sdwa s74, v9, v117 src0_sel:BYTE_1 src1_sel:DWORD
	s_mov_b32 s16, -1
	s_and_saveexec_b32 s73, s74
; %bb.1338:                             ;   in Loop: Header=BB6_138 Depth=3
	s_xor_b32 s16, exec_lo, -1
; %bb.1339:                             ;   in Loop: Header=BB6_138 Depth=3
	s_or_b32 exec_lo, exec_lo, s73
	s_and_b32 s16, s16, exec_lo
	s_or_saveexec_b32 s72, s72
	v_mov_b32_e32 v7, 0x7f800001
	s_xor_b32 exec_lo, exec_lo, s72
	s_cbranch_execnz .LBB6_2107
.LBB6_1340:                             ;   in Loop: Header=BB6_138 Depth=3
	s_or_b32 exec_lo, exec_lo, s72
	s_and_saveexec_b32 s72, s16
	s_cbranch_execz .LBB6_1342
.LBB6_1341:                             ;   in Loop: Header=BB6_138 Depth=3
	v_and_b32_sdwa v7, v118, v9 dst_sel:DWORD dst_unused:UNUSED_PAD src0_sel:DWORD src1_sel:BYTE_1
	v_and_b32_e32 v8, 3, v7
	v_bfe_u32 v82, v7, 2, 5
	v_ffbh_u32_e32 v12, v8
	v_cmp_eq_u32_e32 vcc_lo, 0, v82
	v_min_u32_e32 v12, 32, v12
	v_subrev_nc_u32_e32 v81, 29, v12
	v_sub_nc_u32_e32 v12, 30, v12
	v_lshlrev_b32_e32 v7, v81, v7
	v_lshlrev_b32_sdwa v81, v119, v9 dst_sel:DWORD dst_unused:UNUSED_PAD src0_sel:DWORD src1_sel:BYTE_1
	v_cndmask_b32_e32 v12, v82, v12, vcc_lo
	v_and_b32_e32 v7, 3, v7
	v_lshl_add_u32 v12, v12, 23, 0x37800000
	v_cndmask_b32_e32 v7, v8, v7, vcc_lo
	v_and_b32_e32 v8, 0x80000000, v81
	v_lshlrev_b32_e32 v7, 21, v7
	v_or3_b32 v7, v8, v12, v7
.LBB6_1342:                             ;   in Loop: Header=BB6_138 Depth=3
	s_or_b32 exec_lo, exec_lo, s72
	v_mul_f32_e32 v8, s63, v7
	v_and_b32_e32 v7, 0x7f800000, v8
	v_cmp_ne_u32_e32 vcc_lo, 0x7f800000, v7
	v_mov_b32_e32 v7, 0x8000
	s_and_saveexec_b32 s72, vcc_lo
	s_cbranch_execz .LBB6_1350
; %bb.1343:                             ;   in Loop: Header=BB6_138 Depth=3
	v_mov_b32_e32 v7, 0
	s_mov_b32 s73, exec_lo
	v_cmpx_ne_u32_e32 0, v8
	s_cbranch_execz .LBB6_1349
; %bb.1344:                             ;   in Loop: Header=BB6_138 Depth=3
	v_bfe_u32 v12, v8, 23, 8
	v_and_b32_e32 v7, 0x7fffff, v8
	v_cmp_gt_u32_e64 s16, 0x71, v12
	v_sub_nc_u32_e32 v81, 0x70, v12
	v_cmp_eq_u32_e32 vcc_lo, 0, v12
	v_or_b32_e32 v82, 0x800000, v7
	v_cndmask_b32_e64 v81, 0, v81, s16
	v_cndmask_b32_e32 v7, v82, v7, vcc_lo
	v_cndmask_b32_e64 v81, v81, 0x6f, vcc_lo
	v_lshl_add_u32 v82, 0x200000, v81, -1
	v_lshlrev_b32_e64 v83, v81, 0x100000
	v_and_b32_e32 v82, v82, v7
	v_cmp_eq_u32_e64 s16, v82, v83
	v_lshrrev_b32_e32 v82, v81, v7
	v_add_nc_u32_e32 v7, 0xffffff91, v12
	v_lshrrev_b32_e32 v12, 23, v82
	v_cndmask_b32_e64 v7, v7, 0xffffff92, vcc_lo
	v_xor_b32_e32 v12, 1, v12
	v_add_nc_u32_e32 v7, v81, v7
	v_bfe_u32 v81, v82, 21, 1
	v_add_nc_u32_e32 v81, -1, v81
	v_cndmask_b32_e64 v81, 0, v81, s16
	s_mov_b32 s16, exec_lo
	v_add_nc_u32_e32 v81, v81, v82
	v_and_b32_e32 v81, 0x1fffff, v81
	v_add_nc_u32_e32 v81, v81, v82
                                        ; implicit-def: $vgpr82
	v_cmpx_ne_u32_e64 v7, v12
	s_xor_b32 s16, exec_lo, s16
; %bb.1345:                             ;   in Loop: Header=BB6_138 Depth=3
	v_cmp_lt_u32_e32 vcc_lo, 0xffffff, v81
	v_sub_nc_u32_e32 v7, v7, v12
	v_cndmask_b32_e64 v12, 0, 1, vcc_lo
	v_add_co_ci_u32_e64 v82, null, 0, v7, vcc_lo
	v_lshrrev_b32_e32 v81, v12, v81
; %bb.1346:                             ;   in Loop: Header=BB6_138 Depth=3
	s_andn2_saveexec_b32 s16, s16
; %bb.1347:                             ;   in Loop: Header=BB6_138 Depth=3
	v_bfe_u32 v82, v81, 23, 1
; %bb.1348:                             ;   in Loop: Header=BB6_138 Depth=3
	s_or_b32 exec_lo, exec_lo, s16
	v_and_b32_sdwa v7, v8, v117 dst_sel:DWORD dst_unused:UNUSED_PAD src0_sel:BYTE_3 src1_sel:DWORD
	v_lshrrev_b32_e32 v8, 21, v81
	v_min_i32_e32 v12, 31, v82
	v_cmp_gt_i32_e32 vcc_lo, 32, v82
	v_lshlrev_b32_e32 v12, 2, v12
	v_cndmask_b32_e32 v8, 3, v8, vcc_lo
	v_and_b32_e32 v12, 0xfc, v12
	v_or_b32_e32 v81, v82, v8
	v_and_b32_e32 v8, 3, v8
	v_cmp_ne_u32_e32 vcc_lo, 0, v81
	v_or3_b32 v7, v7, v12, v8
	v_lshlrev_b32_e32 v7, 8, v7
	v_cndmask_b32_e32 v7, 0, v7, vcc_lo
.LBB6_1349:                             ;   in Loop: Header=BB6_138 Depth=3
	s_or_b32 exec_lo, exec_lo, s73
.LBB6_1350:                             ;   in Loop: Header=BB6_138 Depth=3
	s_or_b32 exec_lo, exec_lo, s72
	v_and_b32_sdwa v12, v9, v40 dst_sel:DWORD dst_unused:UNUSED_PAD src0_sel:WORD_1 src1_sel:DWORD
	s_mov_b32 s72, 0
	s_mov_b32 s16, exec_lo
	v_cmpx_lt_i16_e32 0x7f, v12
	s_xor_b32 s16, exec_lo, s16
	s_cbranch_execz .LBB6_2108
; %bb.1351:                             ;   in Loop: Header=BB6_138 Depth=3
	s_mov_b32 s72, -1
	s_mov_b32 s73, exec_lo
	v_cmpx_eq_u16_e32 0x80, v12
; %bb.1352:                             ;   in Loop: Header=BB6_138 Depth=3
	s_xor_b32 s72, exec_lo, -1
; %bb.1353:                             ;   in Loop: Header=BB6_138 Depth=3
	s_or_b32 exec_lo, exec_lo, s73
	s_and_b32 s72, s72, exec_lo
                                        ; implicit-def: $vgpr12
	s_or_saveexec_b32 s16, s16
	v_mov_b32_e32 v8, 0x7f800001
	s_xor_b32 exec_lo, exec_lo, s16
	s_cbranch_execnz .LBB6_2109
.LBB6_1354:                             ;   in Loop: Header=BB6_138 Depth=3
	s_or_b32 exec_lo, exec_lo, s16
	s_and_saveexec_b32 s16, s72
	s_cbranch_execz .LBB6_1356
.LBB6_1355:                             ;   in Loop: Header=BB6_138 Depth=3
	v_bfe_u32 v8, v9, 16, 2
	v_bfe_u32 v12, v9, 18, 5
	v_ffbh_u32_e32 v81, v8
	v_cmp_eq_u32_e32 vcc_lo, 0, v12
	v_min_u32_e32 v81, 32, v81
	v_subrev_nc_u32_e32 v82, 29, v81
	v_sub_nc_u32_e32 v81, 30, v81
	v_lshlrev_b32_sdwa v82, v82, v9 dst_sel:DWORD dst_unused:UNUSED_PAD src0_sel:DWORD src1_sel:WORD_1
	v_cndmask_b32_e32 v12, v12, v81, vcc_lo
	v_lshlrev_b32_e32 v81, 8, v9
	v_and_b32_e32 v82, 3, v82
	v_lshl_add_u32 v12, v12, 23, 0x37800000
	v_and_b32_e32 v81, 0x80000000, v81
	v_cndmask_b32_e32 v8, v8, v82, vcc_lo
	v_lshlrev_b32_e32 v8, 21, v8
	v_or3_b32 v8, v81, v12, v8
.LBB6_1356:                             ;   in Loop: Header=BB6_138 Depth=3
	s_or_b32 exec_lo, exec_lo, s16
	v_mul_f32_e32 v8, s63, v8
	v_mov_b32_e32 v42, 0x80
	s_mov_b32 s72, exec_lo
	v_and_b32_e32 v12, 0x7f800000, v8
	v_cmpx_ne_u32_e32 0x7f800000, v12
	s_cbranch_execz .LBB6_1364
; %bb.1357:                             ;   in Loop: Header=BB6_138 Depth=3
	v_mov_b32_e32 v42, 0
	s_mov_b32 s73, exec_lo
	v_cmpx_ne_u32_e32 0, v8
	s_cbranch_execz .LBB6_1363
; %bb.1358:                             ;   in Loop: Header=BB6_138 Depth=3
	v_bfe_u32 v81, v8, 23, 8
	v_and_b32_e32 v12, 0x7fffff, v8
	v_cmp_gt_u32_e64 s16, 0x71, v81
	v_sub_nc_u32_e32 v82, 0x70, v81
	v_cmp_eq_u32_e32 vcc_lo, 0, v81
	v_or_b32_e32 v83, 0x800000, v12
	v_cndmask_b32_e64 v82, 0, v82, s16
	v_cndmask_b32_e32 v12, v83, v12, vcc_lo
	v_cndmask_b32_e64 v82, v82, 0x6f, vcc_lo
	v_lshl_add_u32 v83, 0x200000, v82, -1
	v_lshlrev_b32_e64 v84, v82, 0x100000
	v_and_b32_e32 v83, v83, v12
	v_cmp_eq_u32_e64 s16, v83, v84
	v_lshrrev_b32_e32 v83, v82, v12
	v_add_nc_u32_e32 v12, 0xffffff91, v81
	v_lshrrev_b32_e32 v81, 23, v83
	v_cndmask_b32_e64 v12, v12, 0xffffff92, vcc_lo
	v_xor_b32_e32 v81, 1, v81
	v_add_nc_u32_e32 v12, v82, v12
	v_bfe_u32 v82, v83, 21, 1
	v_add_nc_u32_e32 v82, -1, v82
	v_cndmask_b32_e64 v82, 0, v82, s16
	s_mov_b32 s16, exec_lo
	v_add_nc_u32_e32 v82, v82, v83
	v_and_b32_e32 v82, 0x1fffff, v82
	v_add_nc_u32_e32 v82, v82, v83
                                        ; implicit-def: $vgpr83
	v_cmpx_ne_u32_e64 v12, v81
	s_xor_b32 s16, exec_lo, s16
; %bb.1359:                             ;   in Loop: Header=BB6_138 Depth=3
	v_cmp_lt_u32_e32 vcc_lo, 0xffffff, v82
	v_sub_nc_u32_e32 v12, v12, v81
	v_cndmask_b32_e64 v81, 0, 1, vcc_lo
	v_add_co_ci_u32_e64 v83, null, 0, v12, vcc_lo
	v_lshrrev_b32_e32 v82, v81, v82
; %bb.1360:                             ;   in Loop: Header=BB6_138 Depth=3
	s_andn2_saveexec_b32 s16, s16
; %bb.1361:                             ;   in Loop: Header=BB6_138 Depth=3
	v_bfe_u32 v83, v82, 23, 1
; %bb.1362:                             ;   in Loop: Header=BB6_138 Depth=3
	s_or_b32 exec_lo, exec_lo, s16
	v_lshrrev_b32_e32 v12, 21, v82
	v_min_i32_e32 v81, 31, v83
	v_cmp_gt_i32_e32 vcc_lo, 32, v83
	v_and_b32_sdwa v8, v8, v117 dst_sel:DWORD dst_unused:UNUSED_PAD src0_sel:BYTE_3 src1_sel:DWORD
	v_lshlrev_b32_e32 v81, 2, v81
	v_cndmask_b32_e32 v12, 3, v12, vcc_lo
	v_and_b32_e32 v81, 0xfc, v81
	v_or_b32_e32 v82, v83, v12
	v_and_b32_e32 v12, 3, v12
	v_cmp_ne_u32_e32 vcc_lo, 0, v82
	v_or3_b32 v8, v81, v8, v12
	v_cndmask_b32_e32 v42, 0, v8, vcc_lo
.LBB6_1363:                             ;   in Loop: Header=BB6_138 Depth=3
	s_or_b32 exec_lo, exec_lo, s73
.LBB6_1364:                             ;   in Loop: Header=BB6_138 Depth=3
	s_or_b32 exec_lo, exec_lo, s72
	v_cmp_gt_i16_sdwa s72, v9, v116 src0_sel:BYTE_3 src1_sel:DWORD
	s_mov_b32 s16, 0
	s_and_saveexec_b32 s73, s72
	s_xor_b32 s72, exec_lo, s73
	s_cbranch_execz .LBB6_2110
; %bb.1365:                             ;   in Loop: Header=BB6_138 Depth=3
	v_cmp_eq_u16_sdwa s74, v9, v117 src0_sel:BYTE_3 src1_sel:DWORD
	s_mov_b32 s16, -1
	s_and_saveexec_b32 s73, s74
; %bb.1366:                             ;   in Loop: Header=BB6_138 Depth=3
	s_xor_b32 s16, exec_lo, -1
; %bb.1367:                             ;   in Loop: Header=BB6_138 Depth=3
	s_or_b32 exec_lo, exec_lo, s73
	s_and_b32 s16, s16, exec_lo
	s_or_saveexec_b32 s72, s72
	v_mov_b32_e32 v8, 0x7f800001
	s_xor_b32 exec_lo, exec_lo, s72
	s_cbranch_execnz .LBB6_2111
.LBB6_1368:                             ;   in Loop: Header=BB6_138 Depth=3
	s_or_b32 exec_lo, exec_lo, s72
	s_and_saveexec_b32 s72, s16
	s_cbranch_execz .LBB6_1370
.LBB6_1369:                             ;   in Loop: Header=BB6_138 Depth=3
	v_bfe_u32 v8, v9, 24, 2
	v_bfe_u32 v82, v9, 26, 5
	v_ffbh_u32_e32 v12, v8
	v_cmp_eq_u32_e32 vcc_lo, 0, v82
	v_min_u32_e32 v12, 32, v12
	v_subrev_nc_u32_e32 v81, 29, v12
	v_sub_nc_u32_e32 v12, 30, v12
	v_lshlrev_b32_sdwa v81, v81, v9 dst_sel:DWORD dst_unused:UNUSED_PAD src0_sel:DWORD src1_sel:BYTE_3
	v_cndmask_b32_e32 v12, v82, v12, vcc_lo
	v_and_b32_e32 v9, 0x80000000, v9
	v_and_b32_e32 v81, 3, v81
	v_lshl_add_u32 v12, v12, 23, 0x37800000
	v_cndmask_b32_e32 v8, v8, v81, vcc_lo
	v_lshlrev_b32_e32 v8, 21, v8
	v_or3_b32 v8, v9, v12, v8
.LBB6_1370:                             ;   in Loop: Header=BB6_138 Depth=3
	s_or_b32 exec_lo, exec_lo, s72
	v_mul_f32_e32 v8, s63, v8
	v_mov_b32_e32 v60, 0x8000
	s_mov_b32 s72, exec_lo
	v_and_b32_e32 v9, 0x7f800000, v8
	v_cmpx_ne_u32_e32 0x7f800000, v9
	s_cbranch_execz .LBB6_1378
; %bb.1371:                             ;   in Loop: Header=BB6_138 Depth=3
	v_mov_b32_e32 v60, 0
	s_mov_b32 s73, exec_lo
	v_cmpx_ne_u32_e32 0, v8
	s_cbranch_execz .LBB6_1377
; %bb.1372:                             ;   in Loop: Header=BB6_138 Depth=3
	v_bfe_u32 v12, v8, 23, 8
	v_and_b32_e32 v9, 0x7fffff, v8
	v_cmp_gt_u32_e64 s16, 0x71, v12
	v_sub_nc_u32_e32 v81, 0x70, v12
	v_cmp_eq_u32_e32 vcc_lo, 0, v12
	v_or_b32_e32 v82, 0x800000, v9
	v_cndmask_b32_e64 v81, 0, v81, s16
	v_cndmask_b32_e32 v9, v82, v9, vcc_lo
	v_cndmask_b32_e64 v81, v81, 0x6f, vcc_lo
	v_lshl_add_u32 v82, 0x200000, v81, -1
	v_lshlrev_b32_e64 v83, v81, 0x100000
	v_and_b32_e32 v82, v82, v9
	v_cmp_eq_u32_e64 s16, v82, v83
	v_lshrrev_b32_e32 v82, v81, v9
	v_add_nc_u32_e32 v9, 0xffffff91, v12
	v_lshrrev_b32_e32 v12, 23, v82
	v_cndmask_b32_e64 v9, v9, 0xffffff92, vcc_lo
	v_xor_b32_e32 v12, 1, v12
	v_add_nc_u32_e32 v9, v81, v9
	v_bfe_u32 v81, v82, 21, 1
	v_add_nc_u32_e32 v81, -1, v81
	v_cndmask_b32_e64 v81, 0, v81, s16
	s_mov_b32 s16, exec_lo
	v_add_nc_u32_e32 v81, v81, v82
	v_and_b32_e32 v81, 0x1fffff, v81
	v_add_nc_u32_e32 v81, v81, v82
                                        ; implicit-def: $vgpr82
	v_cmpx_ne_u32_e64 v9, v12
	s_xor_b32 s16, exec_lo, s16
; %bb.1373:                             ;   in Loop: Header=BB6_138 Depth=3
	v_cmp_lt_u32_e32 vcc_lo, 0xffffff, v81
	v_sub_nc_u32_e32 v9, v9, v12
	v_cndmask_b32_e64 v12, 0, 1, vcc_lo
	v_add_co_ci_u32_e64 v82, null, 0, v9, vcc_lo
	v_lshrrev_b32_e32 v81, v12, v81
; %bb.1374:                             ;   in Loop: Header=BB6_138 Depth=3
	s_andn2_saveexec_b32 s16, s16
; %bb.1375:                             ;   in Loop: Header=BB6_138 Depth=3
	v_bfe_u32 v82, v81, 23, 1
; %bb.1376:                             ;   in Loop: Header=BB6_138 Depth=3
	s_or_b32 exec_lo, exec_lo, s16
	v_lshrrev_b32_e32 v9, 21, v81
	v_min_i32_e32 v12, 31, v82
	v_cmp_gt_i32_e32 vcc_lo, 32, v82
	v_and_b32_sdwa v8, v8, v117 dst_sel:DWORD dst_unused:UNUSED_PAD src0_sel:BYTE_3 src1_sel:DWORD
	v_lshlrev_b32_e32 v12, 2, v12
	v_cndmask_b32_e32 v9, 3, v9, vcc_lo
	v_and_b32_e32 v12, 0xfc, v12
	v_or_b32_e32 v81, v82, v9
	v_and_b32_e32 v9, 3, v9
	v_cmp_ne_u32_e32 vcc_lo, 0, v81
	v_or3_b32 v8, v8, v12, v9
	v_lshlrev_b32_e32 v8, 8, v8
	v_cndmask_b32_e32 v60, 0, v8, vcc_lo
.LBB6_1377:                             ;   in Loop: Header=BB6_138 Depth=3
	s_or_b32 exec_lo, exec_lo, s73
.LBB6_1378:                             ;   in Loop: Header=BB6_138 Depth=3
	s_or_b32 exec_lo, exec_lo, s72
	v_cmp_gt_i16_sdwa s16, v10, v116 src0_sel:BYTE_0 src1_sel:DWORD
	s_mov_b32 s72, 0
	s_and_saveexec_b32 s73, s16
	s_xor_b32 s16, exec_lo, s73
	s_cbranch_execz .LBB6_2112
; %bb.1379:                             ;   in Loop: Header=BB6_138 Depth=3
	v_cmp_eq_u16_sdwa s74, v10, v117 src0_sel:BYTE_0 src1_sel:DWORD
	s_mov_b32 s72, -1
	s_and_saveexec_b32 s73, s74
; %bb.1380:                             ;   in Loop: Header=BB6_138 Depth=3
	s_xor_b32 s72, exec_lo, -1
; %bb.1381:                             ;   in Loop: Header=BB6_138 Depth=3
	s_or_b32 exec_lo, exec_lo, s73
	s_and_b32 s72, s72, exec_lo
	s_or_saveexec_b32 s16, s16
	v_mov_b32_e32 v8, 0x7f800001
	s_xor_b32 exec_lo, exec_lo, s16
	s_cbranch_execnz .LBB6_2113
.LBB6_1382:                             ;   in Loop: Header=BB6_138 Depth=3
	s_or_b32 exec_lo, exec_lo, s16
	s_and_saveexec_b32 s16, s72
	s_cbranch_execz .LBB6_1384
.LBB6_1383:                             ;   in Loop: Header=BB6_138 Depth=3
	v_and_b32_e32 v8, 3, v10
	v_bfe_u32 v9, v10, 2, 5
	v_ffbh_u32_e32 v12, v8
	v_cmp_eq_u32_e32 vcc_lo, 0, v9
	v_min_u32_e32 v12, 32, v12
	v_subrev_nc_u32_e32 v81, 29, v12
	v_sub_nc_u32_e32 v12, 30, v12
	v_lshlrev_b32_e32 v81, v81, v10
	v_cndmask_b32_e32 v9, v9, v12, vcc_lo
	v_lshlrev_b32_e32 v12, 24, v10
	v_and_b32_e32 v81, 3, v81
	v_lshl_add_u32 v9, v9, 23, 0x37800000
	v_and_b32_e32 v12, 0x80000000, v12
	v_cndmask_b32_e32 v8, v8, v81, vcc_lo
	v_lshlrev_b32_e32 v8, 21, v8
	v_or3_b32 v8, v12, v9, v8
.LBB6_1384:                             ;   in Loop: Header=BB6_138 Depth=3
	s_or_b32 exec_lo, exec_lo, s16
	v_mul_f32_e32 v8, s63, v8
	v_mov_b32_e32 v12, 0x80
	s_mov_b32 s72, exec_lo
	v_and_b32_e32 v9, 0x7f800000, v8
	v_cmpx_ne_u32_e32 0x7f800000, v9
	s_cbranch_execz .LBB6_1392
; %bb.1385:                             ;   in Loop: Header=BB6_138 Depth=3
	v_mov_b32_e32 v12, 0
	s_mov_b32 s73, exec_lo
	v_cmpx_ne_u32_e32 0, v8
	s_cbranch_execz .LBB6_1391
; %bb.1386:                             ;   in Loop: Header=BB6_138 Depth=3
	v_bfe_u32 v12, v8, 23, 8
	v_and_b32_e32 v9, 0x7fffff, v8
	v_cmp_gt_u32_e64 s16, 0x71, v12
	v_sub_nc_u32_e32 v81, 0x70, v12
	v_cmp_eq_u32_e32 vcc_lo, 0, v12
	v_or_b32_e32 v82, 0x800000, v9
	v_cndmask_b32_e64 v81, 0, v81, s16
	v_cndmask_b32_e32 v9, v82, v9, vcc_lo
	v_cndmask_b32_e64 v81, v81, 0x6f, vcc_lo
	v_lshl_add_u32 v82, 0x200000, v81, -1
	v_lshlrev_b32_e64 v83, v81, 0x100000
	v_and_b32_e32 v82, v82, v9
	v_cmp_eq_u32_e64 s16, v82, v83
	v_lshrrev_b32_e32 v82, v81, v9
	v_add_nc_u32_e32 v9, 0xffffff91, v12
	v_lshrrev_b32_e32 v12, 23, v82
	v_cndmask_b32_e64 v9, v9, 0xffffff92, vcc_lo
	v_xor_b32_e32 v12, 1, v12
	v_add_nc_u32_e32 v9, v81, v9
	v_bfe_u32 v81, v82, 21, 1
	v_add_nc_u32_e32 v81, -1, v81
	v_cndmask_b32_e64 v81, 0, v81, s16
	s_mov_b32 s16, exec_lo
	v_add_nc_u32_e32 v81, v81, v82
	v_and_b32_e32 v81, 0x1fffff, v81
	v_add_nc_u32_e32 v81, v81, v82
                                        ; implicit-def: $vgpr82
	v_cmpx_ne_u32_e64 v9, v12
	s_xor_b32 s16, exec_lo, s16
; %bb.1387:                             ;   in Loop: Header=BB6_138 Depth=3
	v_cmp_lt_u32_e32 vcc_lo, 0xffffff, v81
	v_sub_nc_u32_e32 v9, v9, v12
	v_cndmask_b32_e64 v12, 0, 1, vcc_lo
	v_add_co_ci_u32_e64 v82, null, 0, v9, vcc_lo
	v_lshrrev_b32_e32 v81, v12, v81
; %bb.1388:                             ;   in Loop: Header=BB6_138 Depth=3
	s_andn2_saveexec_b32 s16, s16
; %bb.1389:                             ;   in Loop: Header=BB6_138 Depth=3
	v_bfe_u32 v82, v81, 23, 1
; %bb.1390:                             ;   in Loop: Header=BB6_138 Depth=3
	s_or_b32 exec_lo, exec_lo, s16
	v_lshrrev_b32_e32 v9, 21, v81
	v_min_i32_e32 v12, 31, v82
	v_cmp_gt_i32_e32 vcc_lo, 32, v82
	v_and_b32_sdwa v8, v8, v117 dst_sel:DWORD dst_unused:UNUSED_PAD src0_sel:BYTE_3 src1_sel:DWORD
	v_lshlrev_b32_e32 v12, 2, v12
	v_cndmask_b32_e32 v9, 3, v9, vcc_lo
	v_and_b32_e32 v12, 0xfc, v12
	v_or_b32_e32 v81, v82, v9
	v_and_b32_e32 v9, 3, v9
	v_cmp_ne_u32_e32 vcc_lo, 0, v81
	v_or3_b32 v8, v12, v8, v9
	v_cndmask_b32_e32 v12, 0, v8, vcc_lo
.LBB6_1391:                             ;   in Loop: Header=BB6_138 Depth=3
	s_or_b32 exec_lo, exec_lo, s73
.LBB6_1392:                             ;   in Loop: Header=BB6_138 Depth=3
	s_or_b32 exec_lo, exec_lo, s72
	v_cmp_gt_i16_sdwa s72, v10, v116 src0_sel:BYTE_1 src1_sel:DWORD
	s_mov_b32 s16, 0
	s_and_saveexec_b32 s73, s72
	s_xor_b32 s72, exec_lo, s73
	s_cbranch_execz .LBB6_2114
; %bb.1393:                             ;   in Loop: Header=BB6_138 Depth=3
	v_cmp_eq_u16_sdwa s74, v10, v117 src0_sel:BYTE_1 src1_sel:DWORD
	s_mov_b32 s16, -1
	s_and_saveexec_b32 s73, s74
; %bb.1394:                             ;   in Loop: Header=BB6_138 Depth=3
	s_xor_b32 s16, exec_lo, -1
; %bb.1395:                             ;   in Loop: Header=BB6_138 Depth=3
	s_or_b32 exec_lo, exec_lo, s73
	s_and_b32 s16, s16, exec_lo
	s_or_saveexec_b32 s72, s72
	v_mov_b32_e32 v8, 0x7f800001
	s_xor_b32 exec_lo, exec_lo, s72
	s_cbranch_execnz .LBB6_2115
.LBB6_1396:                             ;   in Loop: Header=BB6_138 Depth=3
	s_or_b32 exec_lo, exec_lo, s72
	s_and_saveexec_b32 s72, s16
	s_cbranch_execz .LBB6_1398
.LBB6_1397:                             ;   in Loop: Header=BB6_138 Depth=3
	v_and_b32_sdwa v8, v118, v10 dst_sel:DWORD dst_unused:UNUSED_PAD src0_sel:DWORD src1_sel:BYTE_1
	v_and_b32_e32 v9, 3, v8
	v_bfe_u32 v83, v8, 2, 5
	v_ffbh_u32_e32 v81, v9
	v_cmp_eq_u32_e32 vcc_lo, 0, v83
	v_min_u32_e32 v81, 32, v81
	v_subrev_nc_u32_e32 v82, 29, v81
	v_sub_nc_u32_e32 v81, 30, v81
	v_lshlrev_b32_e32 v8, v82, v8
	v_lshlrev_b32_sdwa v82, v119, v10 dst_sel:DWORD dst_unused:UNUSED_PAD src0_sel:DWORD src1_sel:BYTE_1
	v_cndmask_b32_e32 v81, v83, v81, vcc_lo
	v_and_b32_e32 v8, 3, v8
	v_lshl_add_u32 v81, v81, 23, 0x37800000
	v_cndmask_b32_e32 v8, v9, v8, vcc_lo
	v_and_b32_e32 v9, 0x80000000, v82
	v_lshlrev_b32_e32 v8, 21, v8
	v_or3_b32 v8, v9, v81, v8
.LBB6_1398:                             ;   in Loop: Header=BB6_138 Depth=3
	s_or_b32 exec_lo, exec_lo, s72
	v_mul_f32_e32 v8, s63, v8
	v_mov_b32_e32 v81, 0x8000
	s_mov_b32 s72, exec_lo
	v_and_b32_e32 v9, 0x7f800000, v8
	v_cmpx_ne_u32_e32 0x7f800000, v9
	s_cbranch_execz .LBB6_1406
; %bb.1399:                             ;   in Loop: Header=BB6_138 Depth=3
	v_mov_b32_e32 v81, 0
	s_mov_b32 s73, exec_lo
	v_cmpx_ne_u32_e32 0, v8
	s_cbranch_execz .LBB6_1405
; %bb.1400:                             ;   in Loop: Header=BB6_138 Depth=3
	v_bfe_u32 v81, v8, 23, 8
	v_and_b32_e32 v9, 0x7fffff, v8
	v_cmp_gt_u32_e64 s16, 0x71, v81
	v_sub_nc_u32_e32 v82, 0x70, v81
	v_cmp_eq_u32_e32 vcc_lo, 0, v81
	v_or_b32_e32 v83, 0x800000, v9
	v_cndmask_b32_e64 v82, 0, v82, s16
	v_cndmask_b32_e32 v9, v83, v9, vcc_lo
	v_cndmask_b32_e64 v82, v82, 0x6f, vcc_lo
	v_lshl_add_u32 v83, 0x200000, v82, -1
	v_lshlrev_b32_e64 v84, v82, 0x100000
	v_and_b32_e32 v83, v83, v9
	v_cmp_eq_u32_e64 s16, v83, v84
	v_lshrrev_b32_e32 v83, v82, v9
	v_add_nc_u32_e32 v9, 0xffffff91, v81
	v_lshrrev_b32_e32 v81, 23, v83
	v_cndmask_b32_e64 v9, v9, 0xffffff92, vcc_lo
	v_xor_b32_e32 v81, 1, v81
	v_add_nc_u32_e32 v9, v82, v9
	v_bfe_u32 v82, v83, 21, 1
	v_add_nc_u32_e32 v82, -1, v82
	v_cndmask_b32_e64 v82, 0, v82, s16
	s_mov_b32 s16, exec_lo
	v_add_nc_u32_e32 v82, v82, v83
	v_and_b32_e32 v82, 0x1fffff, v82
	v_add_nc_u32_e32 v82, v82, v83
                                        ; implicit-def: $vgpr83
	v_cmpx_ne_u32_e64 v9, v81
	s_xor_b32 s16, exec_lo, s16
; %bb.1401:                             ;   in Loop: Header=BB6_138 Depth=3
	v_cmp_lt_u32_e32 vcc_lo, 0xffffff, v82
	v_sub_nc_u32_e32 v9, v9, v81
	v_cndmask_b32_e64 v81, 0, 1, vcc_lo
	v_add_co_ci_u32_e64 v83, null, 0, v9, vcc_lo
	v_lshrrev_b32_e32 v82, v81, v82
; %bb.1402:                             ;   in Loop: Header=BB6_138 Depth=3
	s_andn2_saveexec_b32 s16, s16
; %bb.1403:                             ;   in Loop: Header=BB6_138 Depth=3
	v_bfe_u32 v83, v82, 23, 1
; %bb.1404:                             ;   in Loop: Header=BB6_138 Depth=3
	s_or_b32 exec_lo, exec_lo, s16
	v_lshrrev_b32_e32 v9, 21, v82
	v_min_i32_e32 v81, 31, v83
	v_cmp_gt_i32_e32 vcc_lo, 32, v83
	v_and_b32_sdwa v8, v8, v117 dst_sel:DWORD dst_unused:UNUSED_PAD src0_sel:BYTE_3 src1_sel:DWORD
	v_lshlrev_b32_e32 v81, 2, v81
	v_cndmask_b32_e32 v9, 3, v9, vcc_lo
	v_and_b32_e32 v81, 0xfc, v81
	v_or_b32_e32 v82, v83, v9
	v_and_b32_e32 v9, 3, v9
	v_cmp_ne_u32_e32 vcc_lo, 0, v82
	v_or3_b32 v8, v8, v81, v9
	v_lshlrev_b32_e32 v8, 8, v8
	v_cndmask_b32_e32 v81, 0, v8, vcc_lo
.LBB6_1405:                             ;   in Loop: Header=BB6_138 Depth=3
	s_or_b32 exec_lo, exec_lo, s73
.LBB6_1406:                             ;   in Loop: Header=BB6_138 Depth=3
	s_or_b32 exec_lo, exec_lo, s72
	v_and_b32_sdwa v9, v10, v40 dst_sel:DWORD dst_unused:UNUSED_PAD src0_sel:WORD_1 src1_sel:DWORD
	s_mov_b32 s72, 0
	s_mov_b32 s16, exec_lo
	v_cmpx_lt_i16_e32 0x7f, v9
	s_xor_b32 s16, exec_lo, s16
	s_cbranch_execz .LBB6_2116
; %bb.1407:                             ;   in Loop: Header=BB6_138 Depth=3
	s_mov_b32 s72, -1
	s_mov_b32 s73, exec_lo
	v_cmpx_eq_u16_e32 0x80, v9
; %bb.1408:                             ;   in Loop: Header=BB6_138 Depth=3
	s_xor_b32 s72, exec_lo, -1
; %bb.1409:                             ;   in Loop: Header=BB6_138 Depth=3
	s_or_b32 exec_lo, exec_lo, s73
	s_and_b32 s72, s72, exec_lo
                                        ; implicit-def: $vgpr9
	s_or_saveexec_b32 s16, s16
	v_mov_b32_e32 v8, 0x7f800001
	s_xor_b32 exec_lo, exec_lo, s16
	s_cbranch_execnz .LBB6_2117
.LBB6_1410:                             ;   in Loop: Header=BB6_138 Depth=3
	s_or_b32 exec_lo, exec_lo, s16
	s_and_saveexec_b32 s16, s72
	s_cbranch_execz .LBB6_1412
.LBB6_1411:                             ;   in Loop: Header=BB6_138 Depth=3
	v_bfe_u32 v8, v10, 16, 2
	v_bfe_u32 v9, v10, 18, 5
	v_ffbh_u32_e32 v82, v8
	v_cmp_eq_u32_e32 vcc_lo, 0, v9
	v_min_u32_e32 v82, 32, v82
	v_subrev_nc_u32_e32 v83, 29, v82
	v_sub_nc_u32_e32 v82, 30, v82
	v_lshlrev_b32_sdwa v83, v83, v10 dst_sel:DWORD dst_unused:UNUSED_PAD src0_sel:DWORD src1_sel:WORD_1
	v_cndmask_b32_e32 v9, v9, v82, vcc_lo
	v_lshlrev_b32_e32 v82, 8, v10
	v_and_b32_e32 v83, 3, v83
	v_lshl_add_u32 v9, v9, 23, 0x37800000
	v_and_b32_e32 v82, 0x80000000, v82
	v_cndmask_b32_e32 v8, v8, v83, vcc_lo
	v_lshlrev_b32_e32 v8, 21, v8
	v_or3_b32 v8, v82, v9, v8
.LBB6_1412:                             ;   in Loop: Header=BB6_138 Depth=3
	s_or_b32 exec_lo, exec_lo, s16
	v_mul_f32_e32 v8, s63, v8
	v_mov_b32_e32 v82, 0x80
	s_mov_b32 s72, exec_lo
	v_and_b32_e32 v9, 0x7f800000, v8
	v_cmpx_ne_u32_e32 0x7f800000, v9
	s_cbranch_execz .LBB6_1420
; %bb.1413:                             ;   in Loop: Header=BB6_138 Depth=3
	v_mov_b32_e32 v82, 0
	s_mov_b32 s73, exec_lo
	v_cmpx_ne_u32_e32 0, v8
	s_cbranch_execz .LBB6_1419
; %bb.1414:                             ;   in Loop: Header=BB6_138 Depth=3
	v_bfe_u32 v82, v8, 23, 8
	v_and_b32_e32 v9, 0x7fffff, v8
	v_cmp_gt_u32_e64 s16, 0x71, v82
	v_sub_nc_u32_e32 v83, 0x70, v82
	v_cmp_eq_u32_e32 vcc_lo, 0, v82
	v_or_b32_e32 v84, 0x800000, v9
	v_cndmask_b32_e64 v83, 0, v83, s16
	v_cndmask_b32_e32 v9, v84, v9, vcc_lo
	v_cndmask_b32_e64 v83, v83, 0x6f, vcc_lo
	v_lshl_add_u32 v84, 0x200000, v83, -1
	v_lshlrev_b32_e64 v85, v83, 0x100000
	v_and_b32_e32 v84, v84, v9
	v_cmp_eq_u32_e64 s16, v84, v85
	v_lshrrev_b32_e32 v84, v83, v9
	v_add_nc_u32_e32 v9, 0xffffff91, v82
	v_lshrrev_b32_e32 v82, 23, v84
	v_cndmask_b32_e64 v9, v9, 0xffffff92, vcc_lo
	v_xor_b32_e32 v82, 1, v82
	v_add_nc_u32_e32 v9, v83, v9
	v_bfe_u32 v83, v84, 21, 1
	v_add_nc_u32_e32 v83, -1, v83
	v_cndmask_b32_e64 v83, 0, v83, s16
	s_mov_b32 s16, exec_lo
	v_add_nc_u32_e32 v83, v83, v84
	v_and_b32_e32 v83, 0x1fffff, v83
	v_add_nc_u32_e32 v83, v83, v84
                                        ; implicit-def: $vgpr84
	v_cmpx_ne_u32_e64 v9, v82
	s_xor_b32 s16, exec_lo, s16
; %bb.1415:                             ;   in Loop: Header=BB6_138 Depth=3
	v_cmp_lt_u32_e32 vcc_lo, 0xffffff, v83
	v_sub_nc_u32_e32 v9, v9, v82
	v_cndmask_b32_e64 v82, 0, 1, vcc_lo
	v_add_co_ci_u32_e64 v84, null, 0, v9, vcc_lo
	v_lshrrev_b32_e32 v83, v82, v83
; %bb.1416:                             ;   in Loop: Header=BB6_138 Depth=3
	s_andn2_saveexec_b32 s16, s16
; %bb.1417:                             ;   in Loop: Header=BB6_138 Depth=3
	v_bfe_u32 v84, v83, 23, 1
; %bb.1418:                             ;   in Loop: Header=BB6_138 Depth=3
	s_or_b32 exec_lo, exec_lo, s16
	v_lshrrev_b32_e32 v9, 21, v83
	v_min_i32_e32 v82, 31, v84
	v_cmp_gt_i32_e32 vcc_lo, 32, v84
	v_and_b32_sdwa v8, v8, v117 dst_sel:DWORD dst_unused:UNUSED_PAD src0_sel:BYTE_3 src1_sel:DWORD
	v_lshlrev_b32_e32 v82, 2, v82
	v_cndmask_b32_e32 v9, 3, v9, vcc_lo
	v_and_b32_e32 v82, 0xfc, v82
	v_or_b32_e32 v83, v84, v9
	v_and_b32_e32 v9, 3, v9
	v_cmp_ne_u32_e32 vcc_lo, 0, v83
	v_or3_b32 v8, v82, v8, v9
	v_cndmask_b32_e32 v82, 0, v8, vcc_lo
.LBB6_1419:                             ;   in Loop: Header=BB6_138 Depth=3
	s_or_b32 exec_lo, exec_lo, s73
.LBB6_1420:                             ;   in Loop: Header=BB6_138 Depth=3
	s_or_b32 exec_lo, exec_lo, s72
	v_cmp_gt_i16_sdwa s72, v10, v116 src0_sel:BYTE_3 src1_sel:DWORD
	s_mov_b32 s16, 0
	s_and_saveexec_b32 s73, s72
	s_xor_b32 s72, exec_lo, s73
	s_cbranch_execz .LBB6_2118
; %bb.1421:                             ;   in Loop: Header=BB6_138 Depth=3
	v_cmp_eq_u16_sdwa s74, v10, v117 src0_sel:BYTE_3 src1_sel:DWORD
	s_mov_b32 s16, -1
	s_and_saveexec_b32 s73, s74
; %bb.1422:                             ;   in Loop: Header=BB6_138 Depth=3
	s_xor_b32 s16, exec_lo, -1
; %bb.1423:                             ;   in Loop: Header=BB6_138 Depth=3
	s_or_b32 exec_lo, exec_lo, s73
	s_and_b32 s16, s16, exec_lo
	s_or_saveexec_b32 s72, s72
	v_mov_b32_e32 v8, 0x7f800001
	s_xor_b32 exec_lo, exec_lo, s72
	s_cbranch_execnz .LBB6_2119
.LBB6_1424:                             ;   in Loop: Header=BB6_138 Depth=3
	s_or_b32 exec_lo, exec_lo, s72
	s_and_saveexec_b32 s72, s16
	s_cbranch_execz .LBB6_1426
.LBB6_1425:                             ;   in Loop: Header=BB6_138 Depth=3
	v_bfe_u32 v8, v10, 24, 2
	v_bfe_u32 v84, v10, 26, 5
	v_ffbh_u32_e32 v9, v8
	v_cmp_eq_u32_e32 vcc_lo, 0, v84
	v_min_u32_e32 v9, 32, v9
	v_subrev_nc_u32_e32 v83, 29, v9
	v_sub_nc_u32_e32 v9, 30, v9
	v_lshlrev_b32_sdwa v83, v83, v10 dst_sel:DWORD dst_unused:UNUSED_PAD src0_sel:DWORD src1_sel:BYTE_3
	v_cndmask_b32_e32 v9, v84, v9, vcc_lo
	v_and_b32_e32 v10, 0x80000000, v10
	v_and_b32_e32 v83, 3, v83
	v_lshl_add_u32 v9, v9, 23, 0x37800000
	v_cndmask_b32_e32 v8, v8, v83, vcc_lo
	v_lshlrev_b32_e32 v8, 21, v8
	v_or3_b32 v8, v10, v9, v8
.LBB6_1426:                             ;   in Loop: Header=BB6_138 Depth=3
	s_or_b32 exec_lo, exec_lo, s72
	v_mul_f32_e32 v8, s63, v8
	v_mov_b32_e32 v83, 0x8000
	s_mov_b32 s72, exec_lo
	v_and_b32_e32 v9, 0x7f800000, v8
	v_cmpx_ne_u32_e32 0x7f800000, v9
	s_cbranch_execz .LBB6_1434
; %bb.1427:                             ;   in Loop: Header=BB6_138 Depth=3
	v_mov_b32_e32 v83, 0
	s_mov_b32 s73, exec_lo
	v_cmpx_ne_u32_e32 0, v8
	s_cbranch_execz .LBB6_1433
; %bb.1428:                             ;   in Loop: Header=BB6_138 Depth=3
	v_bfe_u32 v10, v8, 23, 8
	v_and_b32_e32 v9, 0x7fffff, v8
	v_cmp_gt_u32_e64 s16, 0x71, v10
	v_sub_nc_u32_e32 v83, 0x70, v10
	v_cmp_eq_u32_e32 vcc_lo, 0, v10
	v_or_b32_e32 v84, 0x800000, v9
	v_cndmask_b32_e64 v83, 0, v83, s16
	v_cndmask_b32_e32 v9, v84, v9, vcc_lo
	v_cndmask_b32_e64 v83, v83, 0x6f, vcc_lo
	v_lshl_add_u32 v84, 0x200000, v83, -1
	v_lshlrev_b32_e64 v85, v83, 0x100000
	v_and_b32_e32 v84, v84, v9
	v_cmp_eq_u32_e64 s16, v84, v85
	v_lshrrev_b32_e32 v84, v83, v9
	v_add_nc_u32_e32 v9, 0xffffff91, v10
	v_lshrrev_b32_e32 v10, 23, v84
	v_cndmask_b32_e64 v9, v9, 0xffffff92, vcc_lo
	v_xor_b32_e32 v10, 1, v10
	v_add_nc_u32_e32 v9, v83, v9
	v_bfe_u32 v83, v84, 21, 1
	v_add_nc_u32_e32 v83, -1, v83
	v_cndmask_b32_e64 v83, 0, v83, s16
	s_mov_b32 s16, exec_lo
	v_add_nc_u32_e32 v83, v83, v84
	v_and_b32_e32 v83, 0x1fffff, v83
	v_add_nc_u32_e32 v83, v83, v84
                                        ; implicit-def: $vgpr84
	v_cmpx_ne_u32_e64 v9, v10
	s_xor_b32 s16, exec_lo, s16
; %bb.1429:                             ;   in Loop: Header=BB6_138 Depth=3
	v_cmp_lt_u32_e32 vcc_lo, 0xffffff, v83
	v_sub_nc_u32_e32 v9, v9, v10
	v_cndmask_b32_e64 v10, 0, 1, vcc_lo
	v_add_co_ci_u32_e64 v84, null, 0, v9, vcc_lo
	v_lshrrev_b32_e32 v83, v10, v83
; %bb.1430:                             ;   in Loop: Header=BB6_138 Depth=3
	s_andn2_saveexec_b32 s16, s16
; %bb.1431:                             ;   in Loop: Header=BB6_138 Depth=3
	v_bfe_u32 v84, v83, 23, 1
; %bb.1432:                             ;   in Loop: Header=BB6_138 Depth=3
	s_or_b32 exec_lo, exec_lo, s16
	v_lshrrev_b32_e32 v9, 21, v83
	v_min_i32_e32 v10, 31, v84
	v_cmp_gt_i32_e32 vcc_lo, 32, v84
	v_and_b32_sdwa v8, v8, v117 dst_sel:DWORD dst_unused:UNUSED_PAD src0_sel:BYTE_3 src1_sel:DWORD
	v_lshlrev_b32_e32 v10, 2, v10
	v_cndmask_b32_e32 v9, 3, v9, vcc_lo
	v_and_b32_e32 v10, 0xfc, v10
	v_or_b32_e32 v83, v84, v9
	v_and_b32_e32 v9, 3, v9
	v_cmp_ne_u32_e32 vcc_lo, 0, v83
	v_or3_b32 v8, v8, v10, v9
	v_lshlrev_b32_e32 v8, 8, v8
	v_cndmask_b32_e32 v83, 0, v8, vcc_lo
.LBB6_1433:                             ;   in Loop: Header=BB6_138 Depth=3
	s_or_b32 exec_lo, exec_lo, s73
.LBB6_1434:                             ;   in Loop: Header=BB6_138 Depth=3
	s_or_b32 exec_lo, exec_lo, s72
	v_cmp_gt_i16_sdwa s16, v11, v116 src0_sel:BYTE_0 src1_sel:DWORD
	s_mov_b32 s72, 0
	s_and_saveexec_b32 s73, s16
	s_xor_b32 s16, exec_lo, s73
	s_cbranch_execz .LBB6_2120
; %bb.1435:                             ;   in Loop: Header=BB6_138 Depth=3
	v_cmp_eq_u16_sdwa s74, v11, v117 src0_sel:BYTE_0 src1_sel:DWORD
	s_mov_b32 s72, -1
	s_and_saveexec_b32 s73, s74
; %bb.1436:                             ;   in Loop: Header=BB6_138 Depth=3
	s_xor_b32 s72, exec_lo, -1
; %bb.1437:                             ;   in Loop: Header=BB6_138 Depth=3
	s_or_b32 exec_lo, exec_lo, s73
	s_and_b32 s72, s72, exec_lo
	s_or_saveexec_b32 s16, s16
	v_mov_b32_e32 v8, 0x7f800001
	s_xor_b32 exec_lo, exec_lo, s16
	s_cbranch_execnz .LBB6_2121
.LBB6_1438:                             ;   in Loop: Header=BB6_138 Depth=3
	s_or_b32 exec_lo, exec_lo, s16
	s_and_saveexec_b32 s16, s72
	s_cbranch_execz .LBB6_1440
.LBB6_1439:                             ;   in Loop: Header=BB6_138 Depth=3
	v_and_b32_e32 v8, 3, v11
	v_bfe_u32 v9, v11, 2, 5
	v_ffbh_u32_e32 v10, v8
	v_cmp_eq_u32_e32 vcc_lo, 0, v9
	v_min_u32_e32 v10, 32, v10
	v_subrev_nc_u32_e32 v84, 29, v10
	v_sub_nc_u32_e32 v10, 30, v10
	v_lshlrev_b32_e32 v84, v84, v11
	v_cndmask_b32_e32 v9, v9, v10, vcc_lo
	v_lshlrev_b32_e32 v10, 24, v11
	v_and_b32_e32 v84, 3, v84
	v_lshl_add_u32 v9, v9, 23, 0x37800000
	v_and_b32_e32 v10, 0x80000000, v10
	v_cndmask_b32_e32 v8, v8, v84, vcc_lo
	v_lshlrev_b32_e32 v8, 21, v8
	v_or3_b32 v8, v10, v9, v8
.LBB6_1440:                             ;   in Loop: Header=BB6_138 Depth=3
	s_or_b32 exec_lo, exec_lo, s16
	v_mul_f32_e32 v8, s63, v8
	v_mov_b32_e32 v84, 0x80
	s_mov_b32 s72, exec_lo
	v_and_b32_e32 v9, 0x7f800000, v8
	v_cmpx_ne_u32_e32 0x7f800000, v9
	s_cbranch_execz .LBB6_1448
; %bb.1441:                             ;   in Loop: Header=BB6_138 Depth=3
	v_mov_b32_e32 v84, 0
	s_mov_b32 s73, exec_lo
	v_cmpx_ne_u32_e32 0, v8
	s_cbranch_execz .LBB6_1447
; %bb.1442:                             ;   in Loop: Header=BB6_138 Depth=3
	v_bfe_u32 v10, v8, 23, 8
	v_and_b32_e32 v9, 0x7fffff, v8
	v_cmp_gt_u32_e64 s16, 0x71, v10
	v_sub_nc_u32_e32 v84, 0x70, v10
	v_cmp_eq_u32_e32 vcc_lo, 0, v10
	v_or_b32_e32 v85, 0x800000, v9
	v_cndmask_b32_e64 v84, 0, v84, s16
	v_cndmask_b32_e32 v9, v85, v9, vcc_lo
	v_cndmask_b32_e64 v84, v84, 0x6f, vcc_lo
	v_lshl_add_u32 v85, 0x200000, v84, -1
	v_lshlrev_b32_e64 v86, v84, 0x100000
	v_and_b32_e32 v85, v85, v9
	v_cmp_eq_u32_e64 s16, v85, v86
	v_lshrrev_b32_e32 v85, v84, v9
	v_add_nc_u32_e32 v9, 0xffffff91, v10
	v_lshrrev_b32_e32 v10, 23, v85
	v_cndmask_b32_e64 v9, v9, 0xffffff92, vcc_lo
	v_xor_b32_e32 v10, 1, v10
	v_add_nc_u32_e32 v9, v84, v9
	v_bfe_u32 v84, v85, 21, 1
	v_add_nc_u32_e32 v84, -1, v84
	v_cndmask_b32_e64 v84, 0, v84, s16
	s_mov_b32 s16, exec_lo
	v_add_nc_u32_e32 v84, v84, v85
	v_and_b32_e32 v84, 0x1fffff, v84
	v_add_nc_u32_e32 v84, v84, v85
                                        ; implicit-def: $vgpr85
	v_cmpx_ne_u32_e64 v9, v10
	s_xor_b32 s16, exec_lo, s16
; %bb.1443:                             ;   in Loop: Header=BB6_138 Depth=3
	v_cmp_lt_u32_e32 vcc_lo, 0xffffff, v84
	v_sub_nc_u32_e32 v9, v9, v10
	v_cndmask_b32_e64 v10, 0, 1, vcc_lo
	v_add_co_ci_u32_e64 v85, null, 0, v9, vcc_lo
	v_lshrrev_b32_e32 v84, v10, v84
; %bb.1444:                             ;   in Loop: Header=BB6_138 Depth=3
	s_andn2_saveexec_b32 s16, s16
; %bb.1445:                             ;   in Loop: Header=BB6_138 Depth=3
	v_bfe_u32 v85, v84, 23, 1
; %bb.1446:                             ;   in Loop: Header=BB6_138 Depth=3
	s_or_b32 exec_lo, exec_lo, s16
	v_lshrrev_b32_e32 v9, 21, v84
	v_min_i32_e32 v10, 31, v85
	v_cmp_gt_i32_e32 vcc_lo, 32, v85
	v_and_b32_sdwa v8, v8, v117 dst_sel:DWORD dst_unused:UNUSED_PAD src0_sel:BYTE_3 src1_sel:DWORD
	v_lshlrev_b32_e32 v10, 2, v10
	v_cndmask_b32_e32 v9, 3, v9, vcc_lo
	v_and_b32_e32 v10, 0xfc, v10
	v_or_b32_e32 v84, v85, v9
	v_and_b32_e32 v9, 3, v9
	v_cmp_ne_u32_e32 vcc_lo, 0, v84
	v_or3_b32 v8, v10, v8, v9
	v_cndmask_b32_e32 v84, 0, v8, vcc_lo
.LBB6_1447:                             ;   in Loop: Header=BB6_138 Depth=3
	s_or_b32 exec_lo, exec_lo, s73
.LBB6_1448:                             ;   in Loop: Header=BB6_138 Depth=3
	s_or_b32 exec_lo, exec_lo, s72
	v_cmp_gt_i16_sdwa s72, v11, v116 src0_sel:BYTE_1 src1_sel:DWORD
	s_mov_b32 s16, 0
	s_and_saveexec_b32 s73, s72
	s_xor_b32 s72, exec_lo, s73
	s_cbranch_execz .LBB6_2122
; %bb.1449:                             ;   in Loop: Header=BB6_138 Depth=3
	v_cmp_eq_u16_sdwa s74, v11, v117 src0_sel:BYTE_1 src1_sel:DWORD
	s_mov_b32 s16, -1
	s_and_saveexec_b32 s73, s74
; %bb.1450:                             ;   in Loop: Header=BB6_138 Depth=3
	s_xor_b32 s16, exec_lo, -1
; %bb.1451:                             ;   in Loop: Header=BB6_138 Depth=3
	s_or_b32 exec_lo, exec_lo, s73
	s_and_b32 s16, s16, exec_lo
	s_or_saveexec_b32 s72, s72
	v_mov_b32_e32 v8, 0x7f800001
	s_xor_b32 exec_lo, exec_lo, s72
	s_cbranch_execnz .LBB6_2123
.LBB6_1452:                             ;   in Loop: Header=BB6_138 Depth=3
	s_or_b32 exec_lo, exec_lo, s72
	s_and_saveexec_b32 s72, s16
	s_cbranch_execz .LBB6_1454
.LBB6_1453:                             ;   in Loop: Header=BB6_138 Depth=3
	v_and_b32_sdwa v8, v118, v11 dst_sel:DWORD dst_unused:UNUSED_PAD src0_sel:DWORD src1_sel:BYTE_1
	v_and_b32_e32 v9, 3, v8
	v_bfe_u32 v86, v8, 2, 5
	v_ffbh_u32_e32 v10, v9
	v_cmp_eq_u32_e32 vcc_lo, 0, v86
	v_min_u32_e32 v10, 32, v10
	v_subrev_nc_u32_e32 v85, 29, v10
	v_sub_nc_u32_e32 v10, 30, v10
	v_lshlrev_b32_e32 v8, v85, v8
	v_lshlrev_b32_sdwa v85, v119, v11 dst_sel:DWORD dst_unused:UNUSED_PAD src0_sel:DWORD src1_sel:BYTE_1
	v_cndmask_b32_e32 v10, v86, v10, vcc_lo
	v_and_b32_e32 v8, 3, v8
	v_lshl_add_u32 v10, v10, 23, 0x37800000
	v_cndmask_b32_e32 v8, v9, v8, vcc_lo
	v_and_b32_e32 v9, 0x80000000, v85
	v_lshlrev_b32_e32 v8, 21, v8
	v_or3_b32 v8, v9, v10, v8
.LBB6_1454:                             ;   in Loop: Header=BB6_138 Depth=3
	s_or_b32 exec_lo, exec_lo, s72
	v_mul_f32_e32 v8, s63, v8
	v_mov_b32_e32 v85, 0x8000
	s_mov_b32 s72, exec_lo
	v_and_b32_e32 v9, 0x7f800000, v8
	v_cmpx_ne_u32_e32 0x7f800000, v9
	s_cbranch_execz .LBB6_1462
; %bb.1455:                             ;   in Loop: Header=BB6_138 Depth=3
	v_mov_b32_e32 v85, 0
	s_mov_b32 s73, exec_lo
	v_cmpx_ne_u32_e32 0, v8
	s_cbranch_execz .LBB6_1461
; %bb.1456:                             ;   in Loop: Header=BB6_138 Depth=3
	v_bfe_u32 v10, v8, 23, 8
	v_and_b32_e32 v9, 0x7fffff, v8
	v_cmp_gt_u32_e64 s16, 0x71, v10
	v_sub_nc_u32_e32 v85, 0x70, v10
	v_cmp_eq_u32_e32 vcc_lo, 0, v10
	v_or_b32_e32 v86, 0x800000, v9
	v_cndmask_b32_e64 v85, 0, v85, s16
	v_cndmask_b32_e32 v9, v86, v9, vcc_lo
	v_cndmask_b32_e64 v85, v85, 0x6f, vcc_lo
	v_lshl_add_u32 v86, 0x200000, v85, -1
	v_lshlrev_b32_e64 v87, v85, 0x100000
	v_and_b32_e32 v86, v86, v9
	v_cmp_eq_u32_e64 s16, v86, v87
	v_lshrrev_b32_e32 v86, v85, v9
	v_add_nc_u32_e32 v9, 0xffffff91, v10
	v_lshrrev_b32_e32 v10, 23, v86
	v_cndmask_b32_e64 v9, v9, 0xffffff92, vcc_lo
	v_xor_b32_e32 v10, 1, v10
	v_add_nc_u32_e32 v9, v85, v9
	v_bfe_u32 v85, v86, 21, 1
	v_add_nc_u32_e32 v85, -1, v85
	v_cndmask_b32_e64 v85, 0, v85, s16
	s_mov_b32 s16, exec_lo
	v_add_nc_u32_e32 v85, v85, v86
	v_and_b32_e32 v85, 0x1fffff, v85
	v_add_nc_u32_e32 v85, v85, v86
                                        ; implicit-def: $vgpr86
	v_cmpx_ne_u32_e64 v9, v10
	s_xor_b32 s16, exec_lo, s16
; %bb.1457:                             ;   in Loop: Header=BB6_138 Depth=3
	v_cmp_lt_u32_e32 vcc_lo, 0xffffff, v85
	v_sub_nc_u32_e32 v9, v9, v10
	v_cndmask_b32_e64 v10, 0, 1, vcc_lo
	v_add_co_ci_u32_e64 v86, null, 0, v9, vcc_lo
	v_lshrrev_b32_e32 v85, v10, v85
; %bb.1458:                             ;   in Loop: Header=BB6_138 Depth=3
	s_andn2_saveexec_b32 s16, s16
; %bb.1459:                             ;   in Loop: Header=BB6_138 Depth=3
	v_bfe_u32 v86, v85, 23, 1
; %bb.1460:                             ;   in Loop: Header=BB6_138 Depth=3
	s_or_b32 exec_lo, exec_lo, s16
	v_lshrrev_b32_e32 v9, 21, v85
	v_min_i32_e32 v10, 31, v86
	v_cmp_gt_i32_e32 vcc_lo, 32, v86
	v_and_b32_sdwa v8, v8, v117 dst_sel:DWORD dst_unused:UNUSED_PAD src0_sel:BYTE_3 src1_sel:DWORD
	v_lshlrev_b32_e32 v10, 2, v10
	v_cndmask_b32_e32 v9, 3, v9, vcc_lo
	v_and_b32_e32 v10, 0xfc, v10
	v_or_b32_e32 v85, v86, v9
	v_and_b32_e32 v9, 3, v9
	v_cmp_ne_u32_e32 vcc_lo, 0, v85
	v_or3_b32 v8, v8, v10, v9
	v_lshlrev_b32_e32 v8, 8, v8
	v_cndmask_b32_e32 v85, 0, v8, vcc_lo
.LBB6_1461:                             ;   in Loop: Header=BB6_138 Depth=3
	s_or_b32 exec_lo, exec_lo, s73
.LBB6_1462:                             ;   in Loop: Header=BB6_138 Depth=3
	s_or_b32 exec_lo, exec_lo, s72
	v_and_b32_sdwa v9, v11, v40 dst_sel:DWORD dst_unused:UNUSED_PAD src0_sel:WORD_1 src1_sel:DWORD
	s_mov_b32 s72, 0
	s_mov_b32 s16, exec_lo
	v_cmpx_lt_i16_e32 0x7f, v9
	s_xor_b32 s16, exec_lo, s16
	s_cbranch_execz .LBB6_2124
; %bb.1463:                             ;   in Loop: Header=BB6_138 Depth=3
	s_mov_b32 s72, -1
	s_mov_b32 s73, exec_lo
	v_cmpx_eq_u16_e32 0x80, v9
; %bb.1464:                             ;   in Loop: Header=BB6_138 Depth=3
	s_xor_b32 s72, exec_lo, -1
; %bb.1465:                             ;   in Loop: Header=BB6_138 Depth=3
	s_or_b32 exec_lo, exec_lo, s73
	s_and_b32 s72, s72, exec_lo
                                        ; implicit-def: $vgpr9
	s_or_saveexec_b32 s16, s16
	v_mov_b32_e32 v8, 0x7f800001
	s_xor_b32 exec_lo, exec_lo, s16
	s_cbranch_execnz .LBB6_2125
.LBB6_1466:                             ;   in Loop: Header=BB6_138 Depth=3
	s_or_b32 exec_lo, exec_lo, s16
	s_and_saveexec_b32 s16, s72
	s_cbranch_execz .LBB6_1468
.LBB6_1467:                             ;   in Loop: Header=BB6_138 Depth=3
	v_bfe_u32 v8, v11, 16, 2
	v_bfe_u32 v9, v11, 18, 5
	v_ffbh_u32_e32 v10, v8
	v_cmp_eq_u32_e32 vcc_lo, 0, v9
	v_min_u32_e32 v10, 32, v10
	v_subrev_nc_u32_e32 v86, 29, v10
	v_sub_nc_u32_e32 v10, 30, v10
	v_lshlrev_b32_sdwa v86, v86, v11 dst_sel:DWORD dst_unused:UNUSED_PAD src0_sel:DWORD src1_sel:WORD_1
	v_cndmask_b32_e32 v9, v9, v10, vcc_lo
	v_lshlrev_b32_e32 v10, 8, v11
	v_and_b32_e32 v86, 3, v86
	v_lshl_add_u32 v9, v9, 23, 0x37800000
	v_and_b32_e32 v10, 0x80000000, v10
	v_cndmask_b32_e32 v8, v8, v86, vcc_lo
	v_lshlrev_b32_e32 v8, 21, v8
	v_or3_b32 v8, v10, v9, v8
.LBB6_1468:                             ;   in Loop: Header=BB6_138 Depth=3
	s_or_b32 exec_lo, exec_lo, s16
	v_mul_f32_e32 v8, s63, v8
	v_mov_b32_e32 v86, 0x80
	s_mov_b32 s72, exec_lo
	v_and_b32_e32 v9, 0x7f800000, v8
	v_cmpx_ne_u32_e32 0x7f800000, v9
	s_cbranch_execz .LBB6_1476
; %bb.1469:                             ;   in Loop: Header=BB6_138 Depth=3
	v_mov_b32_e32 v86, 0
	s_mov_b32 s73, exec_lo
	v_cmpx_ne_u32_e32 0, v8
	s_cbranch_execz .LBB6_1475
; %bb.1470:                             ;   in Loop: Header=BB6_138 Depth=3
	v_bfe_u32 v10, v8, 23, 8
	v_and_b32_e32 v9, 0x7fffff, v8
	v_cmp_gt_u32_e64 s16, 0x71, v10
	v_sub_nc_u32_e32 v86, 0x70, v10
	v_cmp_eq_u32_e32 vcc_lo, 0, v10
	v_or_b32_e32 v87, 0x800000, v9
	v_cndmask_b32_e64 v86, 0, v86, s16
	v_cndmask_b32_e32 v9, v87, v9, vcc_lo
	v_cndmask_b32_e64 v86, v86, 0x6f, vcc_lo
	v_lshl_add_u32 v87, 0x200000, v86, -1
	v_lshlrev_b32_e64 v96, v86, 0x100000
	v_and_b32_e32 v87, v87, v9
	v_cmp_eq_u32_e64 s16, v87, v96
	v_lshrrev_b32_e32 v87, v86, v9
	v_add_nc_u32_e32 v9, 0xffffff91, v10
	v_lshrrev_b32_e32 v10, 23, v87
	v_cndmask_b32_e64 v9, v9, 0xffffff92, vcc_lo
	v_xor_b32_e32 v10, 1, v10
	v_add_nc_u32_e32 v9, v86, v9
	v_bfe_u32 v86, v87, 21, 1
	v_add_nc_u32_e32 v86, -1, v86
	v_cndmask_b32_e64 v86, 0, v86, s16
	s_mov_b32 s16, exec_lo
	v_add_nc_u32_e32 v86, v86, v87
	v_and_b32_e32 v86, 0x1fffff, v86
	v_add_nc_u32_e32 v86, v86, v87
                                        ; implicit-def: $vgpr87
	v_cmpx_ne_u32_e64 v9, v10
	s_xor_b32 s16, exec_lo, s16
; %bb.1471:                             ;   in Loop: Header=BB6_138 Depth=3
	v_cmp_lt_u32_e32 vcc_lo, 0xffffff, v86
	v_sub_nc_u32_e32 v9, v9, v10
	v_cndmask_b32_e64 v10, 0, 1, vcc_lo
	v_add_co_ci_u32_e64 v87, null, 0, v9, vcc_lo
	v_lshrrev_b32_e32 v86, v10, v86
; %bb.1472:                             ;   in Loop: Header=BB6_138 Depth=3
	s_andn2_saveexec_b32 s16, s16
; %bb.1473:                             ;   in Loop: Header=BB6_138 Depth=3
	v_bfe_u32 v87, v86, 23, 1
; %bb.1474:                             ;   in Loop: Header=BB6_138 Depth=3
	s_or_b32 exec_lo, exec_lo, s16
	v_lshrrev_b32_e32 v9, 21, v86
	v_min_i32_e32 v10, 31, v87
	v_cmp_gt_i32_e32 vcc_lo, 32, v87
	v_and_b32_sdwa v8, v8, v117 dst_sel:DWORD dst_unused:UNUSED_PAD src0_sel:BYTE_3 src1_sel:DWORD
	v_lshlrev_b32_e32 v10, 2, v10
	v_cndmask_b32_e32 v9, 3, v9, vcc_lo
	v_and_b32_e32 v10, 0xfc, v10
	v_or_b32_e32 v86, v87, v9
	v_and_b32_e32 v9, 3, v9
	v_cmp_ne_u32_e32 vcc_lo, 0, v86
	v_or3_b32 v8, v10, v8, v9
	v_cndmask_b32_e32 v86, 0, v8, vcc_lo
.LBB6_1475:                             ;   in Loop: Header=BB6_138 Depth=3
	s_or_b32 exec_lo, exec_lo, s73
.LBB6_1476:                             ;   in Loop: Header=BB6_138 Depth=3
	s_or_b32 exec_lo, exec_lo, s72
	v_cmp_gt_i16_sdwa s72, v11, v116 src0_sel:BYTE_3 src1_sel:DWORD
	s_mov_b32 s16, 0
	s_and_saveexec_b32 s73, s72
	s_xor_b32 s72, exec_lo, s73
	s_cbranch_execz .LBB6_2126
; %bb.1477:                             ;   in Loop: Header=BB6_138 Depth=3
	v_cmp_eq_u16_sdwa s74, v11, v117 src0_sel:BYTE_3 src1_sel:DWORD
	s_mov_b32 s16, -1
	s_and_saveexec_b32 s73, s74
; %bb.1478:                             ;   in Loop: Header=BB6_138 Depth=3
	s_xor_b32 s16, exec_lo, -1
; %bb.1479:                             ;   in Loop: Header=BB6_138 Depth=3
	s_or_b32 exec_lo, exec_lo, s73
	s_and_b32 s16, s16, exec_lo
	s_or_saveexec_b32 s72, s72
	v_mov_b32_e32 v8, 0x7f800001
	s_xor_b32 exec_lo, exec_lo, s72
	s_cbranch_execnz .LBB6_2127
.LBB6_1480:                             ;   in Loop: Header=BB6_138 Depth=3
	s_or_b32 exec_lo, exec_lo, s72
	s_and_saveexec_b32 s72, s16
	s_cbranch_execz .LBB6_1482
.LBB6_1481:                             ;   in Loop: Header=BB6_138 Depth=3
	v_bfe_u32 v8, v11, 24, 2
	v_bfe_u32 v87, v11, 26, 5
	v_ffbh_u32_e32 v9, v8
	v_cmp_eq_u32_e32 vcc_lo, 0, v87
	v_min_u32_e32 v9, 32, v9
	v_subrev_nc_u32_e32 v10, 29, v9
	v_sub_nc_u32_e32 v9, 30, v9
	v_lshlrev_b32_sdwa v10, v10, v11 dst_sel:DWORD dst_unused:UNUSED_PAD src0_sel:DWORD src1_sel:BYTE_3
	v_cndmask_b32_e32 v9, v87, v9, vcc_lo
	v_and_b32_e32 v10, 3, v10
	v_lshl_add_u32 v9, v9, 23, 0x37800000
	v_cndmask_b32_e32 v8, v8, v10, vcc_lo
	v_and_b32_e32 v10, 0x80000000, v11
	v_lshlrev_b32_e32 v8, 21, v8
	v_or3_b32 v8, v10, v9, v8
.LBB6_1482:                             ;   in Loop: Header=BB6_138 Depth=3
	s_or_b32 exec_lo, exec_lo, s72
	v_mul_f32_e32 v8, s63, v8
	v_mov_b32_e32 v87, 0x8000
	s_mov_b32 s72, exec_lo
	v_and_b32_e32 v9, 0x7f800000, v8
	v_cmpx_ne_u32_e32 0x7f800000, v9
	s_cbranch_execz .LBB6_1490
; %bb.1483:                             ;   in Loop: Header=BB6_138 Depth=3
	v_mov_b32_e32 v87, 0
	s_mov_b32 s73, exec_lo
	v_cmpx_ne_u32_e32 0, v8
	s_cbranch_execz .LBB6_1489
; %bb.1484:                             ;   in Loop: Header=BB6_138 Depth=3
	v_bfe_u32 v10, v8, 23, 8
	v_and_b32_e32 v9, 0x7fffff, v8
	v_cmp_gt_u32_e64 s16, 0x71, v10
	v_sub_nc_u32_e32 v11, 0x70, v10
	v_cmp_eq_u32_e32 vcc_lo, 0, v10
	v_or_b32_e32 v87, 0x800000, v9
	v_cndmask_b32_e64 v11, 0, v11, s16
	v_cndmask_b32_e32 v9, v87, v9, vcc_lo
	v_cndmask_b32_e64 v11, v11, 0x6f, vcc_lo
	v_lshl_add_u32 v87, 0x200000, v11, -1
	v_lshlrev_b32_e64 v96, v11, 0x100000
	v_and_b32_e32 v87, v87, v9
	v_cmp_eq_u32_e64 s16, v87, v96
	v_lshrrev_b32_e32 v87, v11, v9
	v_add_nc_u32_e32 v9, 0xffffff91, v10
	v_lshrrev_b32_e32 v10, 23, v87
	v_cndmask_b32_e64 v9, v9, 0xffffff92, vcc_lo
	v_xor_b32_e32 v10, 1, v10
	v_add_nc_u32_e32 v9, v11, v9
	v_bfe_u32 v11, v87, 21, 1
	v_add_nc_u32_e32 v11, -1, v11
	v_cndmask_b32_e64 v11, 0, v11, s16
	s_mov_b32 s16, exec_lo
	v_add_nc_u32_e32 v11, v11, v87
	v_and_b32_e32 v11, 0x1fffff, v11
	v_add_nc_u32_e32 v11, v11, v87
                                        ; implicit-def: $vgpr87
	v_cmpx_ne_u32_e64 v9, v10
	s_xor_b32 s16, exec_lo, s16
; %bb.1485:                             ;   in Loop: Header=BB6_138 Depth=3
	v_cmp_lt_u32_e32 vcc_lo, 0xffffff, v11
	v_sub_nc_u32_e32 v9, v9, v10
	v_cndmask_b32_e64 v10, 0, 1, vcc_lo
	v_add_co_ci_u32_e64 v87, null, 0, v9, vcc_lo
	v_lshrrev_b32_e32 v11, v10, v11
; %bb.1486:                             ;   in Loop: Header=BB6_138 Depth=3
	s_andn2_saveexec_b32 s16, s16
; %bb.1487:                             ;   in Loop: Header=BB6_138 Depth=3
	v_bfe_u32 v87, v11, 23, 1
; %bb.1488:                             ;   in Loop: Header=BB6_138 Depth=3
	s_or_b32 exec_lo, exec_lo, s16
	v_lshrrev_b32_e32 v9, 21, v11
	v_min_i32_e32 v10, 31, v87
	v_cmp_gt_i32_e32 vcc_lo, 32, v87
	v_and_b32_sdwa v8, v8, v117 dst_sel:DWORD dst_unused:UNUSED_PAD src0_sel:BYTE_3 src1_sel:DWORD
	v_lshlrev_b32_e32 v10, 2, v10
	v_cndmask_b32_e32 v9, 3, v9, vcc_lo
	v_and_b32_e32 v10, 0xfc, v10
	v_or_b32_e32 v11, v87, v9
	v_and_b32_e32 v9, 3, v9
	v_cmp_ne_u32_e32 vcc_lo, 0, v11
	v_or3_b32 v8, v8, v10, v9
	v_lshlrev_b32_e32 v8, 8, v8
	v_cndmask_b32_e32 v87, 0, v8, vcc_lo
.LBB6_1489:                             ;   in Loop: Header=BB6_138 Depth=3
	s_or_b32 exec_lo, exec_lo, s73
.LBB6_1490:                             ;   in Loop: Header=BB6_138 Depth=3
	s_or_b32 exec_lo, exec_lo, s72
	global_load_dwordx4 v[8:11], v[68:69], off offset:1024 slc
	s_mov_b32 s72, 0
	s_waitcnt vmcnt(0)
	v_cmp_gt_i16_sdwa s16, v8, v116 src0_sel:BYTE_0 src1_sel:DWORD
	s_and_saveexec_b32 s73, s16
	s_xor_b32 s16, exec_lo, s73
	s_cbranch_execz .LBB6_2128
; %bb.1491:                             ;   in Loop: Header=BB6_138 Depth=3
	v_cmp_eq_u16_sdwa s74, v8, v117 src0_sel:BYTE_0 src1_sel:DWORD
	s_mov_b32 s72, -1
	s_and_saveexec_b32 s73, s74
; %bb.1492:                             ;   in Loop: Header=BB6_138 Depth=3
	s_xor_b32 s72, exec_lo, -1
; %bb.1493:                             ;   in Loop: Header=BB6_138 Depth=3
	s_or_b32 exec_lo, exec_lo, s73
	s_and_b32 s72, s72, exec_lo
	s_or_saveexec_b32 s16, s16
	v_mov_b32_e32 v96, 0x7f800001
	s_xor_b32 exec_lo, exec_lo, s16
	s_cbranch_execnz .LBB6_2129
.LBB6_1494:                             ;   in Loop: Header=BB6_138 Depth=3
	s_or_b32 exec_lo, exec_lo, s16
	s_and_saveexec_b32 s16, s72
	s_cbranch_execz .LBB6_1496
.LBB6_1495:                             ;   in Loop: Header=BB6_138 Depth=3
	v_and_b32_e32 v96, 3, v8
	v_bfe_u32 v97, v8, 2, 5
	v_ffbh_u32_e32 v98, v96
	v_cmp_eq_u32_e32 vcc_lo, 0, v97
	v_min_u32_e32 v98, 32, v98
	v_subrev_nc_u32_e32 v99, 29, v98
	v_sub_nc_u32_e32 v98, 30, v98
	v_lshlrev_b32_e32 v99, v99, v8
	v_cndmask_b32_e32 v97, v97, v98, vcc_lo
	v_lshlrev_b32_e32 v98, 24, v8
	v_and_b32_e32 v99, 3, v99
	v_lshl_add_u32 v97, v97, 23, 0x37800000
	v_and_b32_e32 v98, 0x80000000, v98
	v_cndmask_b32_e32 v96, v96, v99, vcc_lo
	v_lshlrev_b32_e32 v96, 21, v96
	v_or3_b32 v96, v98, v97, v96
.LBB6_1496:                             ;   in Loop: Header=BB6_138 Depth=3
	s_or_b32 exec_lo, exec_lo, s16
	v_mul_f32_e32 v97, s63, v96
	v_and_b32_e32 v96, 0x7f800000, v97
	v_cmp_ne_u32_e32 vcc_lo, 0x7f800000, v96
	v_mov_b32_e32 v96, 0x80
	s_and_saveexec_b32 s72, vcc_lo
	s_cbranch_execz .LBB6_1504
; %bb.1497:                             ;   in Loop: Header=BB6_138 Depth=3
	v_mov_b32_e32 v96, 0
	s_mov_b32 s73, exec_lo
	v_cmpx_ne_u32_e32 0, v97
	s_cbranch_execz .LBB6_1503
; %bb.1498:                             ;   in Loop: Header=BB6_138 Depth=3
	v_bfe_u32 v98, v97, 23, 8
	v_and_b32_e32 v96, 0x7fffff, v97
	v_cmp_gt_u32_e64 s16, 0x71, v98
	v_sub_nc_u32_e32 v99, 0x70, v98
	v_cmp_eq_u32_e32 vcc_lo, 0, v98
	v_or_b32_e32 v45, 0x800000, v96
	v_cndmask_b32_e64 v99, 0, v99, s16
	v_cndmask_b32_e32 v96, v45, v96, vcc_lo
	v_cndmask_b32_e64 v99, v99, 0x6f, vcc_lo
	v_lshl_add_u32 v45, 0x200000, v99, -1
	v_lshlrev_b32_e64 v76, v99, 0x100000
	v_and_b32_e32 v45, v45, v96
	v_cmp_eq_u32_e64 s16, v45, v76
	v_lshrrev_b32_e32 v45, v99, v96
	v_add_nc_u32_e32 v96, 0xffffff91, v98
	v_lshrrev_b32_e32 v98, 23, v45
	v_cndmask_b32_e64 v96, v96, 0xffffff92, vcc_lo
	v_xor_b32_e32 v98, 1, v98
	v_add_nc_u32_e32 v96, v99, v96
	v_bfe_u32 v99, v45, 21, 1
	v_add_nc_u32_e32 v99, -1, v99
	v_cndmask_b32_e64 v99, 0, v99, s16
	s_mov_b32 s16, exec_lo
	v_add_nc_u32_e32 v99, v99, v45
	v_and_b32_e32 v99, 0x1fffff, v99
	v_add_nc_u32_e32 v99, v99, v45
                                        ; implicit-def: $vgpr45
	v_cmpx_ne_u32_e64 v96, v98
	s_xor_b32 s16, exec_lo, s16
; %bb.1499:                             ;   in Loop: Header=BB6_138 Depth=3
	v_cmp_lt_u32_e32 vcc_lo, 0xffffff, v99
	v_sub_nc_u32_e32 v96, v96, v98
	v_cndmask_b32_e64 v98, 0, 1, vcc_lo
	v_add_co_ci_u32_e64 v45, null, 0, v96, vcc_lo
	v_lshrrev_b32_e32 v99, v98, v99
; %bb.1500:                             ;   in Loop: Header=BB6_138 Depth=3
	s_andn2_saveexec_b32 s16, s16
; %bb.1501:                             ;   in Loop: Header=BB6_138 Depth=3
	v_bfe_u32 v45, v99, 23, 1
; %bb.1502:                             ;   in Loop: Header=BB6_138 Depth=3
	s_or_b32 exec_lo, exec_lo, s16
	v_and_b32_sdwa v96, v97, v117 dst_sel:DWORD dst_unused:UNUSED_PAD src0_sel:BYTE_3 src1_sel:DWORD
	v_lshrrev_b32_e32 v97, 21, v99
	v_min_i32_e32 v98, 31, v45
	v_cmp_gt_i32_e32 vcc_lo, 32, v45
	v_lshlrev_b32_e32 v98, 2, v98
	v_cndmask_b32_e32 v97, 3, v97, vcc_lo
	v_and_b32_e32 v98, 0xfc, v98
	v_or_b32_e32 v99, v45, v97
	v_and_b32_e32 v97, 3, v97
	v_cmp_ne_u32_e32 vcc_lo, 0, v99
	v_or3_b32 v96, v98, v96, v97
	v_cndmask_b32_e32 v96, 0, v96, vcc_lo
.LBB6_1503:                             ;   in Loop: Header=BB6_138 Depth=3
	s_or_b32 exec_lo, exec_lo, s73
.LBB6_1504:                             ;   in Loop: Header=BB6_138 Depth=3
	s_or_b32 exec_lo, exec_lo, s72
	v_cmp_gt_i16_sdwa s72, v8, v116 src0_sel:BYTE_1 src1_sel:DWORD
	s_mov_b32 s16, 0
	s_and_saveexec_b32 s73, s72
	s_xor_b32 s72, exec_lo, s73
	s_cbranch_execz .LBB6_2130
; %bb.1505:                             ;   in Loop: Header=BB6_138 Depth=3
	v_cmp_eq_u16_sdwa s74, v8, v117 src0_sel:BYTE_1 src1_sel:DWORD
	s_mov_b32 s16, -1
	s_and_saveexec_b32 s73, s74
; %bb.1506:                             ;   in Loop: Header=BB6_138 Depth=3
	s_xor_b32 s16, exec_lo, -1
; %bb.1507:                             ;   in Loop: Header=BB6_138 Depth=3
	s_or_b32 exec_lo, exec_lo, s73
	s_and_b32 s16, s16, exec_lo
	s_or_saveexec_b32 s72, s72
	v_mov_b32_e32 v97, 0x7f800001
	s_xor_b32 exec_lo, exec_lo, s72
	s_cbranch_execnz .LBB6_2131
.LBB6_1508:                             ;   in Loop: Header=BB6_138 Depth=3
	s_or_b32 exec_lo, exec_lo, s72
	s_and_saveexec_b32 s72, s16
	s_cbranch_execz .LBB6_1510
.LBB6_1509:                             ;   in Loop: Header=BB6_138 Depth=3
	v_and_b32_sdwa v97, v118, v8 dst_sel:DWORD dst_unused:UNUSED_PAD src0_sel:DWORD src1_sel:BYTE_1
	v_and_b32_e32 v98, 3, v97
	v_bfe_u32 v76, v97, 2, 5
	v_ffbh_u32_e32 v99, v98
	v_cmp_eq_u32_e32 vcc_lo, 0, v76
	v_min_u32_e32 v99, 32, v99
	v_subrev_nc_u32_e32 v45, 29, v99
	v_sub_nc_u32_e32 v99, 30, v99
	v_lshlrev_b32_e32 v97, v45, v97
	v_lshlrev_b32_sdwa v45, v119, v8 dst_sel:DWORD dst_unused:UNUSED_PAD src0_sel:DWORD src1_sel:BYTE_1
	v_cndmask_b32_e32 v99, v76, v99, vcc_lo
	v_and_b32_e32 v97, 3, v97
	v_lshl_add_u32 v99, v99, 23, 0x37800000
	v_cndmask_b32_e32 v97, v98, v97, vcc_lo
	v_and_b32_e32 v98, 0x80000000, v45
	v_lshlrev_b32_e32 v97, 21, v97
	v_or3_b32 v97, v98, v99, v97
.LBB6_1510:                             ;   in Loop: Header=BB6_138 Depth=3
	s_or_b32 exec_lo, exec_lo, s72
	v_mul_f32_e32 v98, s63, v97
	v_and_b32_e32 v97, 0x7f800000, v98
	v_cmp_ne_u32_e32 vcc_lo, 0x7f800000, v97
	v_mov_b32_e32 v97, 0x8000
	s_and_saveexec_b32 s72, vcc_lo
	s_cbranch_execz .LBB6_1518
; %bb.1511:                             ;   in Loop: Header=BB6_138 Depth=3
	v_mov_b32_e32 v97, 0
	s_mov_b32 s73, exec_lo
	v_cmpx_ne_u32_e32 0, v98
	s_cbranch_execz .LBB6_1517
; %bb.1512:                             ;   in Loop: Header=BB6_138 Depth=3
	v_bfe_u32 v99, v98, 23, 8
	v_and_b32_e32 v97, 0x7fffff, v98
	v_cmp_gt_u32_e64 s16, 0x71, v99
	v_sub_nc_u32_e32 v45, 0x70, v99
	v_cmp_eq_u32_e32 vcc_lo, 0, v99
	v_or_b32_e32 v76, 0x800000, v97
	v_cndmask_b32_e64 v45, 0, v45, s16
	v_cndmask_b32_e32 v97, v76, v97, vcc_lo
	v_cndmask_b32_e64 v45, v45, 0x6f, vcc_lo
	v_lshl_add_u32 v76, 0x200000, v45, -1
	v_lshlrev_b32_e64 v77, v45, 0x100000
	v_and_b32_e32 v76, v76, v97
	v_cmp_eq_u32_e64 s16, v76, v77
	v_lshrrev_b32_e32 v76, v45, v97
	v_add_nc_u32_e32 v97, 0xffffff91, v99
	v_lshrrev_b32_e32 v99, 23, v76
	v_cndmask_b32_e64 v97, v97, 0xffffff92, vcc_lo
	v_xor_b32_e32 v99, 1, v99
	v_add_nc_u32_e32 v97, v45, v97
	v_bfe_u32 v45, v76, 21, 1
	v_add_nc_u32_e32 v45, -1, v45
	v_cndmask_b32_e64 v45, 0, v45, s16
	s_mov_b32 s16, exec_lo
	v_add_nc_u32_e32 v45, v45, v76
	v_and_b32_e32 v45, 0x1fffff, v45
	v_add_nc_u32_e32 v45, v45, v76
                                        ; implicit-def: $vgpr76
	v_cmpx_ne_u32_e64 v97, v99
	s_xor_b32 s16, exec_lo, s16
; %bb.1513:                             ;   in Loop: Header=BB6_138 Depth=3
	v_cmp_lt_u32_e32 vcc_lo, 0xffffff, v45
	v_sub_nc_u32_e32 v97, v97, v99
	v_cndmask_b32_e64 v99, 0, 1, vcc_lo
	v_add_co_ci_u32_e64 v76, null, 0, v97, vcc_lo
	v_lshrrev_b32_e32 v45, v99, v45
; %bb.1514:                             ;   in Loop: Header=BB6_138 Depth=3
	s_andn2_saveexec_b32 s16, s16
; %bb.1515:                             ;   in Loop: Header=BB6_138 Depth=3
	v_bfe_u32 v76, v45, 23, 1
; %bb.1516:                             ;   in Loop: Header=BB6_138 Depth=3
	s_or_b32 exec_lo, exec_lo, s16
	v_and_b32_sdwa v97, v98, v117 dst_sel:DWORD dst_unused:UNUSED_PAD src0_sel:BYTE_3 src1_sel:DWORD
	v_lshrrev_b32_e32 v98, 21, v45
	v_min_i32_e32 v99, 31, v76
	v_cmp_gt_i32_e32 vcc_lo, 32, v76
	v_lshlrev_b32_e32 v99, 2, v99
	v_cndmask_b32_e32 v98, 3, v98, vcc_lo
	v_and_b32_e32 v99, 0xfc, v99
	v_or_b32_e32 v45, v76, v98
	v_and_b32_e32 v98, 3, v98
	v_cmp_ne_u32_e32 vcc_lo, 0, v45
	v_or3_b32 v97, v97, v99, v98
	v_lshlrev_b32_e32 v97, 8, v97
	v_cndmask_b32_e32 v97, 0, v97, vcc_lo
.LBB6_1517:                             ;   in Loop: Header=BB6_138 Depth=3
	s_or_b32 exec_lo, exec_lo, s73
.LBB6_1518:                             ;   in Loop: Header=BB6_138 Depth=3
	s_or_b32 exec_lo, exec_lo, s72
	v_and_b32_sdwa v99, v8, v40 dst_sel:DWORD dst_unused:UNUSED_PAD src0_sel:WORD_1 src1_sel:DWORD
	s_mov_b32 s72, 0
	s_mov_b32 s16, exec_lo
	v_cmpx_lt_i16_e32 0x7f, v99
	s_xor_b32 s16, exec_lo, s16
	s_cbranch_execz .LBB6_2132
; %bb.1519:                             ;   in Loop: Header=BB6_138 Depth=3
	s_mov_b32 s72, -1
	s_mov_b32 s73, exec_lo
	v_cmpx_eq_u16_e32 0x80, v99
; %bb.1520:                             ;   in Loop: Header=BB6_138 Depth=3
	s_xor_b32 s72, exec_lo, -1
; %bb.1521:                             ;   in Loop: Header=BB6_138 Depth=3
	s_or_b32 exec_lo, exec_lo, s73
	s_and_b32 s72, s72, exec_lo
                                        ; implicit-def: $vgpr99
	s_or_saveexec_b32 s16, s16
	v_mov_b32_e32 v98, 0x7f800001
	s_xor_b32 exec_lo, exec_lo, s16
	s_cbranch_execnz .LBB6_2133
.LBB6_1522:                             ;   in Loop: Header=BB6_138 Depth=3
	s_or_b32 exec_lo, exec_lo, s16
	s_and_saveexec_b32 s16, s72
	s_cbranch_execz .LBB6_1524
.LBB6_1523:                             ;   in Loop: Header=BB6_138 Depth=3
	v_bfe_u32 v98, v8, 16, 2
	v_bfe_u32 v99, v8, 18, 5
	v_ffbh_u32_e32 v45, v98
	v_cmp_eq_u32_e32 vcc_lo, 0, v99
	v_min_u32_e32 v45, 32, v45
	v_subrev_nc_u32_e32 v76, 29, v45
	v_sub_nc_u32_e32 v45, 30, v45
	v_lshlrev_b32_sdwa v76, v76, v8 dst_sel:DWORD dst_unused:UNUSED_PAD src0_sel:DWORD src1_sel:WORD_1
	v_cndmask_b32_e32 v99, v99, v45, vcc_lo
	v_lshlrev_b32_e32 v45, 8, v8
	v_and_b32_e32 v76, 3, v76
	v_lshl_add_u32 v99, v99, 23, 0x37800000
	v_and_b32_e32 v45, 0x80000000, v45
	v_cndmask_b32_e32 v98, v98, v76, vcc_lo
	v_lshlrev_b32_e32 v98, 21, v98
	v_or3_b32 v98, v45, v99, v98
.LBB6_1524:                             ;   in Loop: Header=BB6_138 Depth=3
	s_or_b32 exec_lo, exec_lo, s16
	v_mul_f32_e32 v99, s63, v98
	v_and_b32_e32 v98, 0x7f800000, v99
	v_cmp_ne_u32_e32 vcc_lo, 0x7f800000, v98
	v_mov_b32_e32 v98, 0x80
	s_and_saveexec_b32 s72, vcc_lo
	s_cbranch_execz .LBB6_1532
; %bb.1525:                             ;   in Loop: Header=BB6_138 Depth=3
	v_mov_b32_e32 v98, 0
	s_mov_b32 s73, exec_lo
	v_cmpx_ne_u32_e32 0, v99
	s_cbranch_execz .LBB6_1531
; %bb.1526:                             ;   in Loop: Header=BB6_138 Depth=3
	v_bfe_u32 v45, v99, 23, 8
	v_and_b32_e32 v98, 0x7fffff, v99
	v_cmp_gt_u32_e64 s16, 0x71, v45
	v_sub_nc_u32_e32 v76, 0x70, v45
	v_cmp_eq_u32_e32 vcc_lo, 0, v45
	v_or_b32_e32 v77, 0x800000, v98
	v_cndmask_b32_e64 v76, 0, v76, s16
	v_cndmask_b32_e32 v98, v77, v98, vcc_lo
	v_cndmask_b32_e64 v76, v76, 0x6f, vcc_lo
	v_lshl_add_u32 v77, 0x200000, v76, -1
	v_lshlrev_b32_e64 v78, v76, 0x100000
	v_and_b32_e32 v77, v77, v98
	v_cmp_eq_u32_e64 s16, v77, v78
	v_lshrrev_b32_e32 v77, v76, v98
	v_add_nc_u32_e32 v98, 0xffffff91, v45
	v_lshrrev_b32_e32 v45, 23, v77
	v_cndmask_b32_e64 v98, v98, 0xffffff92, vcc_lo
	v_xor_b32_e32 v45, 1, v45
	v_add_nc_u32_e32 v98, v76, v98
	v_bfe_u32 v76, v77, 21, 1
	v_add_nc_u32_e32 v76, -1, v76
	v_cndmask_b32_e64 v76, 0, v76, s16
	s_mov_b32 s16, exec_lo
	v_add_nc_u32_e32 v76, v76, v77
	v_and_b32_e32 v76, 0x1fffff, v76
	v_add_nc_u32_e32 v76, v76, v77
                                        ; implicit-def: $vgpr77
	v_cmpx_ne_u32_e64 v98, v45
	s_xor_b32 s16, exec_lo, s16
; %bb.1527:                             ;   in Loop: Header=BB6_138 Depth=3
	v_cmp_lt_u32_e32 vcc_lo, 0xffffff, v76
	v_sub_nc_u32_e32 v98, v98, v45
	v_cndmask_b32_e64 v45, 0, 1, vcc_lo
	v_add_co_ci_u32_e64 v77, null, 0, v98, vcc_lo
	v_lshrrev_b32_e32 v76, v45, v76
; %bb.1528:                             ;   in Loop: Header=BB6_138 Depth=3
	s_andn2_saveexec_b32 s16, s16
; %bb.1529:                             ;   in Loop: Header=BB6_138 Depth=3
	v_bfe_u32 v77, v76, 23, 1
; %bb.1530:                             ;   in Loop: Header=BB6_138 Depth=3
	s_or_b32 exec_lo, exec_lo, s16
	v_and_b32_sdwa v98, v99, v117 dst_sel:DWORD dst_unused:UNUSED_PAD src0_sel:BYTE_3 src1_sel:DWORD
	v_lshrrev_b32_e32 v99, 21, v76
	v_min_i32_e32 v45, 31, v77
	v_cmp_gt_i32_e32 vcc_lo, 32, v77
	v_lshlrev_b32_e32 v45, 2, v45
	v_cndmask_b32_e32 v99, 3, v99, vcc_lo
	v_and_b32_e32 v45, 0xfc, v45
	v_or_b32_e32 v76, v77, v99
	v_and_b32_e32 v99, 3, v99
	v_cmp_ne_u32_e32 vcc_lo, 0, v76
	v_or3_b32 v98, v45, v98, v99
	v_cndmask_b32_e32 v98, 0, v98, vcc_lo
.LBB6_1531:                             ;   in Loop: Header=BB6_138 Depth=3
	s_or_b32 exec_lo, exec_lo, s73
.LBB6_1532:                             ;   in Loop: Header=BB6_138 Depth=3
	s_or_b32 exec_lo, exec_lo, s72
	v_cmp_gt_i16_sdwa s72, v8, v116 src0_sel:BYTE_3 src1_sel:DWORD
	s_mov_b32 s16, 0
	s_and_saveexec_b32 s73, s72
	s_xor_b32 s72, exec_lo, s73
	s_cbranch_execz .LBB6_2134
; %bb.1533:                             ;   in Loop: Header=BB6_138 Depth=3
	v_cmp_eq_u16_sdwa s74, v8, v117 src0_sel:BYTE_3 src1_sel:DWORD
	s_mov_b32 s16, -1
	s_and_saveexec_b32 s73, s74
; %bb.1534:                             ;   in Loop: Header=BB6_138 Depth=3
	s_xor_b32 s16, exec_lo, -1
; %bb.1535:                             ;   in Loop: Header=BB6_138 Depth=3
	s_or_b32 exec_lo, exec_lo, s73
	s_and_b32 s16, s16, exec_lo
	s_or_saveexec_b32 s72, s72
	v_mov_b32_e32 v99, 0x7f800001
	s_xor_b32 exec_lo, exec_lo, s72
	s_cbranch_execnz .LBB6_2135
.LBB6_1536:                             ;   in Loop: Header=BB6_138 Depth=3
	s_or_b32 exec_lo, exec_lo, s72
	s_and_saveexec_b32 s72, s16
	s_cbranch_execz .LBB6_1538
.LBB6_1537:                             ;   in Loop: Header=BB6_138 Depth=3
	v_bfe_u32 v99, v8, 24, 2
	v_bfe_u32 v77, v8, 26, 5
	v_ffbh_u32_e32 v45, v99
	v_cmp_eq_u32_e32 vcc_lo, 0, v77
	v_min_u32_e32 v45, 32, v45
	v_subrev_nc_u32_e32 v76, 29, v45
	v_sub_nc_u32_e32 v45, 30, v45
	v_lshlrev_b32_sdwa v76, v76, v8 dst_sel:DWORD dst_unused:UNUSED_PAD src0_sel:DWORD src1_sel:BYTE_3
	v_cndmask_b32_e32 v45, v77, v45, vcc_lo
	v_and_b32_e32 v8, 0x80000000, v8
	v_and_b32_e32 v76, 3, v76
	v_lshl_add_u32 v45, v45, 23, 0x37800000
	v_cndmask_b32_e32 v99, v99, v76, vcc_lo
	v_lshlrev_b32_e32 v99, 21, v99
	v_or3_b32 v99, v8, v45, v99
.LBB6_1538:                             ;   in Loop: Header=BB6_138 Depth=3
	s_or_b32 exec_lo, exec_lo, s72
	v_mul_f32_e32 v8, s63, v99
	v_and_b32_e32 v99, 0x7f800000, v8
	v_cmp_ne_u32_e32 vcc_lo, 0x7f800000, v99
	v_mov_b32_e32 v99, 0x8000
	s_and_saveexec_b32 s72, vcc_lo
	s_cbranch_execz .LBB6_1546
; %bb.1539:                             ;   in Loop: Header=BB6_138 Depth=3
	v_mov_b32_e32 v99, 0
	s_mov_b32 s73, exec_lo
	v_cmpx_ne_u32_e32 0, v8
	s_cbranch_execz .LBB6_1545
; %bb.1540:                             ;   in Loop: Header=BB6_138 Depth=3
	v_bfe_u32 v45, v8, 23, 8
	v_and_b32_e32 v99, 0x7fffff, v8
	v_cmp_gt_u32_e64 s16, 0x71, v45
	v_sub_nc_u32_e32 v76, 0x70, v45
	v_cmp_eq_u32_e32 vcc_lo, 0, v45
	v_or_b32_e32 v77, 0x800000, v99
	v_cndmask_b32_e64 v76, 0, v76, s16
	v_cndmask_b32_e32 v99, v77, v99, vcc_lo
	v_cndmask_b32_e64 v76, v76, 0x6f, vcc_lo
	v_lshl_add_u32 v77, 0x200000, v76, -1
	v_lshlrev_b32_e64 v78, v76, 0x100000
	v_and_b32_e32 v77, v77, v99
	v_cmp_eq_u32_e64 s16, v77, v78
	v_lshrrev_b32_e32 v77, v76, v99
	v_add_nc_u32_e32 v99, 0xffffff91, v45
	v_lshrrev_b32_e32 v45, 23, v77
	v_cndmask_b32_e64 v99, v99, 0xffffff92, vcc_lo
	v_xor_b32_e32 v45, 1, v45
	v_add_nc_u32_e32 v99, v76, v99
	v_bfe_u32 v76, v77, 21, 1
	v_add_nc_u32_e32 v76, -1, v76
	v_cndmask_b32_e64 v76, 0, v76, s16
	s_mov_b32 s16, exec_lo
	v_add_nc_u32_e32 v76, v76, v77
	v_and_b32_e32 v76, 0x1fffff, v76
	v_add_nc_u32_e32 v76, v76, v77
                                        ; implicit-def: $vgpr77
	v_cmpx_ne_u32_e64 v99, v45
	s_xor_b32 s16, exec_lo, s16
; %bb.1541:                             ;   in Loop: Header=BB6_138 Depth=3
	v_cmp_lt_u32_e32 vcc_lo, 0xffffff, v76
	v_sub_nc_u32_e32 v99, v99, v45
	v_cndmask_b32_e64 v45, 0, 1, vcc_lo
	v_add_co_ci_u32_e64 v77, null, 0, v99, vcc_lo
	v_lshrrev_b32_e32 v76, v45, v76
; %bb.1542:                             ;   in Loop: Header=BB6_138 Depth=3
	s_andn2_saveexec_b32 s16, s16
; %bb.1543:                             ;   in Loop: Header=BB6_138 Depth=3
	v_bfe_u32 v77, v76, 23, 1
; %bb.1544:                             ;   in Loop: Header=BB6_138 Depth=3
	s_or_b32 exec_lo, exec_lo, s16
	v_lshrrev_b32_e32 v99, 21, v76
	v_min_i32_e32 v45, 31, v77
	v_cmp_gt_i32_e32 vcc_lo, 32, v77
	v_and_b32_sdwa v8, v8, v117 dst_sel:DWORD dst_unused:UNUSED_PAD src0_sel:BYTE_3 src1_sel:DWORD
	v_lshlrev_b32_e32 v45, 2, v45
	v_cndmask_b32_e32 v99, 3, v99, vcc_lo
	v_and_b32_e32 v45, 0xfc, v45
	v_or_b32_e32 v76, v77, v99
	v_and_b32_e32 v99, 3, v99
	v_cmp_ne_u32_e32 vcc_lo, 0, v76
	v_or3_b32 v8, v8, v45, v99
	v_lshlrev_b32_e32 v8, 8, v8
	v_cndmask_b32_e32 v99, 0, v8, vcc_lo
.LBB6_1545:                             ;   in Loop: Header=BB6_138 Depth=3
	s_or_b32 exec_lo, exec_lo, s73
.LBB6_1546:                             ;   in Loop: Header=BB6_138 Depth=3
	s_or_b32 exec_lo, exec_lo, s72
	v_cmp_gt_i16_sdwa s16, v9, v116 src0_sel:BYTE_0 src1_sel:DWORD
	s_mov_b32 s72, 0
	s_and_saveexec_b32 s73, s16
	s_xor_b32 s16, exec_lo, s73
	s_cbranch_execz .LBB6_2136
; %bb.1547:                             ;   in Loop: Header=BB6_138 Depth=3
	v_cmp_eq_u16_sdwa s74, v9, v117 src0_sel:BYTE_0 src1_sel:DWORD
	s_mov_b32 s72, -1
	s_and_saveexec_b32 s73, s74
; %bb.1548:                             ;   in Loop: Header=BB6_138 Depth=3
	s_xor_b32 s72, exec_lo, -1
; %bb.1549:                             ;   in Loop: Header=BB6_138 Depth=3
	s_or_b32 exec_lo, exec_lo, s73
	s_and_b32 s72, s72, exec_lo
	s_or_saveexec_b32 s16, s16
	v_mov_b32_e32 v8, 0x7f800001
	s_xor_b32 exec_lo, exec_lo, s16
	s_cbranch_execnz .LBB6_2137
.LBB6_1550:                             ;   in Loop: Header=BB6_138 Depth=3
	s_or_b32 exec_lo, exec_lo, s16
	s_and_saveexec_b32 s16, s72
	s_cbranch_execz .LBB6_1552
.LBB6_1551:                             ;   in Loop: Header=BB6_138 Depth=3
	v_and_b32_e32 v8, 3, v9
	v_bfe_u32 v45, v9, 2, 5
	v_ffbh_u32_e32 v76, v8
	v_cmp_eq_u32_e32 vcc_lo, 0, v45
	v_min_u32_e32 v76, 32, v76
	v_subrev_nc_u32_e32 v77, 29, v76
	v_sub_nc_u32_e32 v76, 30, v76
	v_lshlrev_b32_e32 v77, v77, v9
	v_cndmask_b32_e32 v45, v45, v76, vcc_lo
	v_lshlrev_b32_e32 v76, 24, v9
	v_and_b32_e32 v77, 3, v77
	v_lshl_add_u32 v45, v45, 23, 0x37800000
	v_and_b32_e32 v76, 0x80000000, v76
	v_cndmask_b32_e32 v8, v8, v77, vcc_lo
	v_lshlrev_b32_e32 v8, 21, v8
	v_or3_b32 v8, v76, v45, v8
.LBB6_1552:                             ;   in Loop: Header=BB6_138 Depth=3
	s_or_b32 exec_lo, exec_lo, s16
	v_mul_f32_e32 v8, s63, v8
	v_mov_b32_e32 v76, 0x80
	s_mov_b32 s72, exec_lo
	v_and_b32_e32 v45, 0x7f800000, v8
	v_cmpx_ne_u32_e32 0x7f800000, v45
	s_cbranch_execz .LBB6_1560
; %bb.1553:                             ;   in Loop: Header=BB6_138 Depth=3
	v_mov_b32_e32 v76, 0
	s_mov_b32 s73, exec_lo
	v_cmpx_ne_u32_e32 0, v8
	s_cbranch_execz .LBB6_1559
; %bb.1554:                             ;   in Loop: Header=BB6_138 Depth=3
	v_bfe_u32 v76, v8, 23, 8
	v_and_b32_e32 v45, 0x7fffff, v8
	v_cmp_gt_u32_e64 s16, 0x71, v76
	v_sub_nc_u32_e32 v77, 0x70, v76
	v_cmp_eq_u32_e32 vcc_lo, 0, v76
	v_or_b32_e32 v78, 0x800000, v45
	v_cndmask_b32_e64 v77, 0, v77, s16
	v_cndmask_b32_e32 v45, v78, v45, vcc_lo
	v_cndmask_b32_e64 v77, v77, 0x6f, vcc_lo
	v_lshl_add_u32 v78, 0x200000, v77, -1
	v_lshlrev_b32_e64 v79, v77, 0x100000
	v_and_b32_e32 v78, v78, v45
	v_cmp_eq_u32_e64 s16, v78, v79
	v_lshrrev_b32_e32 v78, v77, v45
	v_add_nc_u32_e32 v45, 0xffffff91, v76
	v_lshrrev_b32_e32 v76, 23, v78
	v_cndmask_b32_e64 v45, v45, 0xffffff92, vcc_lo
	v_xor_b32_e32 v76, 1, v76
	v_add_nc_u32_e32 v45, v77, v45
	v_bfe_u32 v77, v78, 21, 1
	v_add_nc_u32_e32 v77, -1, v77
	v_cndmask_b32_e64 v77, 0, v77, s16
	s_mov_b32 s16, exec_lo
	v_add_nc_u32_e32 v77, v77, v78
	v_and_b32_e32 v77, 0x1fffff, v77
	v_add_nc_u32_e32 v77, v77, v78
                                        ; implicit-def: $vgpr78
	v_cmpx_ne_u32_e64 v45, v76
	s_xor_b32 s16, exec_lo, s16
; %bb.1555:                             ;   in Loop: Header=BB6_138 Depth=3
	v_cmp_lt_u32_e32 vcc_lo, 0xffffff, v77
	v_sub_nc_u32_e32 v45, v45, v76
	v_cndmask_b32_e64 v76, 0, 1, vcc_lo
	v_add_co_ci_u32_e64 v78, null, 0, v45, vcc_lo
	v_lshrrev_b32_e32 v77, v76, v77
; %bb.1556:                             ;   in Loop: Header=BB6_138 Depth=3
	s_andn2_saveexec_b32 s16, s16
; %bb.1557:                             ;   in Loop: Header=BB6_138 Depth=3
	v_bfe_u32 v78, v77, 23, 1
; %bb.1558:                             ;   in Loop: Header=BB6_138 Depth=3
	s_or_b32 exec_lo, exec_lo, s16
	v_lshrrev_b32_e32 v45, 21, v77
	v_min_i32_e32 v76, 31, v78
	v_cmp_gt_i32_e32 vcc_lo, 32, v78
	v_and_b32_sdwa v8, v8, v117 dst_sel:DWORD dst_unused:UNUSED_PAD src0_sel:BYTE_3 src1_sel:DWORD
	v_lshlrev_b32_e32 v76, 2, v76
	v_cndmask_b32_e32 v45, 3, v45, vcc_lo
	v_and_b32_e32 v76, 0xfc, v76
	v_or_b32_e32 v77, v78, v45
	v_and_b32_e32 v45, 3, v45
	v_cmp_ne_u32_e32 vcc_lo, 0, v77
	v_or3_b32 v8, v76, v8, v45
	v_cndmask_b32_e32 v76, 0, v8, vcc_lo
.LBB6_1559:                             ;   in Loop: Header=BB6_138 Depth=3
	s_or_b32 exec_lo, exec_lo, s73
.LBB6_1560:                             ;   in Loop: Header=BB6_138 Depth=3
	s_or_b32 exec_lo, exec_lo, s72
	v_cmp_gt_i16_sdwa s72, v9, v116 src0_sel:BYTE_1 src1_sel:DWORD
	s_mov_b32 s16, 0
	s_and_saveexec_b32 s73, s72
	s_xor_b32 s72, exec_lo, s73
	s_cbranch_execz .LBB6_2138
; %bb.1561:                             ;   in Loop: Header=BB6_138 Depth=3
	v_cmp_eq_u16_sdwa s74, v9, v117 src0_sel:BYTE_1 src1_sel:DWORD
	s_mov_b32 s16, -1
	s_and_saveexec_b32 s73, s74
; %bb.1562:                             ;   in Loop: Header=BB6_138 Depth=3
	s_xor_b32 s16, exec_lo, -1
; %bb.1563:                             ;   in Loop: Header=BB6_138 Depth=3
	s_or_b32 exec_lo, exec_lo, s73
	s_and_b32 s16, s16, exec_lo
	s_or_saveexec_b32 s72, s72
	v_mov_b32_e32 v8, 0x7f800001
	s_xor_b32 exec_lo, exec_lo, s72
	s_cbranch_execnz .LBB6_2139
.LBB6_1564:                             ;   in Loop: Header=BB6_138 Depth=3
	s_or_b32 exec_lo, exec_lo, s72
	s_and_saveexec_b32 s72, s16
	s_cbranch_execz .LBB6_1566
.LBB6_1565:                             ;   in Loop: Header=BB6_138 Depth=3
	v_and_b32_sdwa v8, v118, v9 dst_sel:DWORD dst_unused:UNUSED_PAD src0_sel:DWORD src1_sel:BYTE_1
	v_and_b32_e32 v45, 3, v8
	v_bfe_u32 v79, v8, 2, 5
	v_ffbh_u32_e32 v77, v45
	v_cmp_eq_u32_e32 vcc_lo, 0, v79
	v_min_u32_e32 v77, 32, v77
	v_subrev_nc_u32_e32 v78, 29, v77
	v_sub_nc_u32_e32 v77, 30, v77
	v_lshlrev_b32_e32 v8, v78, v8
	v_lshlrev_b32_sdwa v78, v119, v9 dst_sel:DWORD dst_unused:UNUSED_PAD src0_sel:DWORD src1_sel:BYTE_1
	v_cndmask_b32_e32 v77, v79, v77, vcc_lo
	v_and_b32_e32 v8, 3, v8
	v_lshl_add_u32 v77, v77, 23, 0x37800000
	v_cndmask_b32_e32 v8, v45, v8, vcc_lo
	v_and_b32_e32 v45, 0x80000000, v78
	v_lshlrev_b32_e32 v8, 21, v8
	v_or3_b32 v8, v45, v77, v8
.LBB6_1566:                             ;   in Loop: Header=BB6_138 Depth=3
	s_or_b32 exec_lo, exec_lo, s72
	v_mul_f32_e32 v8, s63, v8
	v_mov_b32_e32 v77, 0x8000
	s_mov_b32 s72, exec_lo
	v_and_b32_e32 v45, 0x7f800000, v8
	v_cmpx_ne_u32_e32 0x7f800000, v45
	s_cbranch_execz .LBB6_1574
; %bb.1567:                             ;   in Loop: Header=BB6_138 Depth=3
	v_mov_b32_e32 v77, 0
	s_mov_b32 s73, exec_lo
	v_cmpx_ne_u32_e32 0, v8
	s_cbranch_execz .LBB6_1573
; %bb.1568:                             ;   in Loop: Header=BB6_138 Depth=3
	v_bfe_u32 v77, v8, 23, 8
	v_and_b32_e32 v45, 0x7fffff, v8
	v_cmp_gt_u32_e64 s16, 0x71, v77
	v_sub_nc_u32_e32 v78, 0x70, v77
	v_cmp_eq_u32_e32 vcc_lo, 0, v77
	v_or_b32_e32 v79, 0x800000, v45
	v_cndmask_b32_e64 v78, 0, v78, s16
	v_cndmask_b32_e32 v45, v79, v45, vcc_lo
	v_cndmask_b32_e64 v78, v78, 0x6f, vcc_lo
	v_lshl_add_u32 v79, 0x200000, v78, -1
	v_lshlrev_b32_e64 v88, v78, 0x100000
	v_and_b32_e32 v79, v79, v45
	v_cmp_eq_u32_e64 s16, v79, v88
	v_lshrrev_b32_e32 v79, v78, v45
	v_add_nc_u32_e32 v45, 0xffffff91, v77
	v_lshrrev_b32_e32 v77, 23, v79
	v_cndmask_b32_e64 v45, v45, 0xffffff92, vcc_lo
	v_xor_b32_e32 v77, 1, v77
	v_add_nc_u32_e32 v45, v78, v45
	v_bfe_u32 v78, v79, 21, 1
	v_add_nc_u32_e32 v78, -1, v78
	v_cndmask_b32_e64 v78, 0, v78, s16
	s_mov_b32 s16, exec_lo
	v_add_nc_u32_e32 v78, v78, v79
	v_and_b32_e32 v78, 0x1fffff, v78
	v_add_nc_u32_e32 v78, v78, v79
                                        ; implicit-def: $vgpr79
	v_cmpx_ne_u32_e64 v45, v77
	s_xor_b32 s16, exec_lo, s16
; %bb.1569:                             ;   in Loop: Header=BB6_138 Depth=3
	v_cmp_lt_u32_e32 vcc_lo, 0xffffff, v78
	v_sub_nc_u32_e32 v45, v45, v77
	v_cndmask_b32_e64 v77, 0, 1, vcc_lo
	v_add_co_ci_u32_e64 v79, null, 0, v45, vcc_lo
	v_lshrrev_b32_e32 v78, v77, v78
; %bb.1570:                             ;   in Loop: Header=BB6_138 Depth=3
	s_andn2_saveexec_b32 s16, s16
; %bb.1571:                             ;   in Loop: Header=BB6_138 Depth=3
	v_bfe_u32 v79, v78, 23, 1
; %bb.1572:                             ;   in Loop: Header=BB6_138 Depth=3
	s_or_b32 exec_lo, exec_lo, s16
	v_lshrrev_b32_e32 v45, 21, v78
	v_min_i32_e32 v77, 31, v79
	v_cmp_gt_i32_e32 vcc_lo, 32, v79
	v_and_b32_sdwa v8, v8, v117 dst_sel:DWORD dst_unused:UNUSED_PAD src0_sel:BYTE_3 src1_sel:DWORD
	v_lshlrev_b32_e32 v77, 2, v77
	v_cndmask_b32_e32 v45, 3, v45, vcc_lo
	v_and_b32_e32 v77, 0xfc, v77
	v_or_b32_e32 v78, v79, v45
	v_and_b32_e32 v45, 3, v45
	v_cmp_ne_u32_e32 vcc_lo, 0, v78
	v_or3_b32 v8, v8, v77, v45
	v_lshlrev_b32_e32 v8, 8, v8
	v_cndmask_b32_e32 v77, 0, v8, vcc_lo
.LBB6_1573:                             ;   in Loop: Header=BB6_138 Depth=3
	s_or_b32 exec_lo, exec_lo, s73
.LBB6_1574:                             ;   in Loop: Header=BB6_138 Depth=3
	s_or_b32 exec_lo, exec_lo, s72
	v_and_b32_sdwa v45, v9, v40 dst_sel:DWORD dst_unused:UNUSED_PAD src0_sel:WORD_1 src1_sel:DWORD
	s_mov_b32 s72, 0
	s_mov_b32 s16, exec_lo
	v_cmpx_lt_i16_e32 0x7f, v45
	s_xor_b32 s16, exec_lo, s16
	s_cbranch_execz .LBB6_2140
; %bb.1575:                             ;   in Loop: Header=BB6_138 Depth=3
	s_mov_b32 s72, -1
	s_mov_b32 s73, exec_lo
	v_cmpx_eq_u16_e32 0x80, v45
; %bb.1576:                             ;   in Loop: Header=BB6_138 Depth=3
	s_xor_b32 s72, exec_lo, -1
; %bb.1577:                             ;   in Loop: Header=BB6_138 Depth=3
	s_or_b32 exec_lo, exec_lo, s73
	s_and_b32 s72, s72, exec_lo
                                        ; implicit-def: $vgpr45
	s_or_saveexec_b32 s16, s16
	v_mov_b32_e32 v8, 0x7f800001
	s_xor_b32 exec_lo, exec_lo, s16
	s_cbranch_execnz .LBB6_2141
.LBB6_1578:                             ;   in Loop: Header=BB6_138 Depth=3
	s_or_b32 exec_lo, exec_lo, s16
	s_and_saveexec_b32 s16, s72
	s_cbranch_execz .LBB6_1580
.LBB6_1579:                             ;   in Loop: Header=BB6_138 Depth=3
	v_bfe_u32 v8, v9, 16, 2
	v_bfe_u32 v45, v9, 18, 5
	v_ffbh_u32_e32 v78, v8
	v_cmp_eq_u32_e32 vcc_lo, 0, v45
	v_min_u32_e32 v78, 32, v78
	v_subrev_nc_u32_e32 v79, 29, v78
	v_sub_nc_u32_e32 v78, 30, v78
	v_lshlrev_b32_sdwa v79, v79, v9 dst_sel:DWORD dst_unused:UNUSED_PAD src0_sel:DWORD src1_sel:WORD_1
	v_cndmask_b32_e32 v45, v45, v78, vcc_lo
	v_lshlrev_b32_e32 v78, 8, v9
	v_and_b32_e32 v79, 3, v79
	v_lshl_add_u32 v45, v45, 23, 0x37800000
	v_and_b32_e32 v78, 0x80000000, v78
	v_cndmask_b32_e32 v8, v8, v79, vcc_lo
	v_lshlrev_b32_e32 v8, 21, v8
	v_or3_b32 v8, v78, v45, v8
.LBB6_1580:                             ;   in Loop: Header=BB6_138 Depth=3
	s_or_b32 exec_lo, exec_lo, s16
	v_mul_f32_e32 v8, s63, v8
	v_mov_b32_e32 v78, 0x80
	s_mov_b32 s72, exec_lo
	v_and_b32_e32 v45, 0x7f800000, v8
	v_cmpx_ne_u32_e32 0x7f800000, v45
	s_cbranch_execz .LBB6_1588
; %bb.1581:                             ;   in Loop: Header=BB6_138 Depth=3
	v_mov_b32_e32 v78, 0
	s_mov_b32 s73, exec_lo
	v_cmpx_ne_u32_e32 0, v8
	s_cbranch_execz .LBB6_1587
; %bb.1582:                             ;   in Loop: Header=BB6_138 Depth=3
	v_bfe_u32 v78, v8, 23, 8
	v_and_b32_e32 v45, 0x7fffff, v8
	v_cmp_gt_u32_e64 s16, 0x71, v78
	v_sub_nc_u32_e32 v79, 0x70, v78
	v_cmp_eq_u32_e32 vcc_lo, 0, v78
	v_or_b32_e32 v88, 0x800000, v45
	v_cndmask_b32_e64 v79, 0, v79, s16
	v_cndmask_b32_e32 v45, v88, v45, vcc_lo
	v_cndmask_b32_e64 v79, v79, 0x6f, vcc_lo
	v_lshl_add_u32 v88, 0x200000, v79, -1
	v_lshlrev_b32_e64 v89, v79, 0x100000
	v_and_b32_e32 v88, v88, v45
	v_cmp_eq_u32_e64 s16, v88, v89
	v_lshrrev_b32_e32 v88, v79, v45
	v_add_nc_u32_e32 v45, 0xffffff91, v78
	v_lshrrev_b32_e32 v78, 23, v88
	v_cndmask_b32_e64 v45, v45, 0xffffff92, vcc_lo
	v_xor_b32_e32 v78, 1, v78
	v_add_nc_u32_e32 v45, v79, v45
	v_bfe_u32 v79, v88, 21, 1
	v_add_nc_u32_e32 v79, -1, v79
	v_cndmask_b32_e64 v79, 0, v79, s16
	s_mov_b32 s16, exec_lo
	v_add_nc_u32_e32 v79, v79, v88
	v_and_b32_e32 v79, 0x1fffff, v79
	v_add_nc_u32_e32 v79, v79, v88
                                        ; implicit-def: $vgpr88
	v_cmpx_ne_u32_e64 v45, v78
	s_xor_b32 s16, exec_lo, s16
; %bb.1583:                             ;   in Loop: Header=BB6_138 Depth=3
	v_cmp_lt_u32_e32 vcc_lo, 0xffffff, v79
	v_sub_nc_u32_e32 v45, v45, v78
	v_cndmask_b32_e64 v78, 0, 1, vcc_lo
	v_add_co_ci_u32_e64 v88, null, 0, v45, vcc_lo
	v_lshrrev_b32_e32 v79, v78, v79
; %bb.1584:                             ;   in Loop: Header=BB6_138 Depth=3
	s_andn2_saveexec_b32 s16, s16
; %bb.1585:                             ;   in Loop: Header=BB6_138 Depth=3
	v_bfe_u32 v88, v79, 23, 1
; %bb.1586:                             ;   in Loop: Header=BB6_138 Depth=3
	s_or_b32 exec_lo, exec_lo, s16
	v_lshrrev_b32_e32 v45, 21, v79
	v_min_i32_e32 v78, 31, v88
	v_cmp_gt_i32_e32 vcc_lo, 32, v88
	v_and_b32_sdwa v8, v8, v117 dst_sel:DWORD dst_unused:UNUSED_PAD src0_sel:BYTE_3 src1_sel:DWORD
	v_lshlrev_b32_e32 v78, 2, v78
	v_cndmask_b32_e32 v45, 3, v45, vcc_lo
	v_and_b32_e32 v78, 0xfc, v78
	v_or_b32_e32 v79, v88, v45
	v_and_b32_e32 v45, 3, v45
	v_cmp_ne_u32_e32 vcc_lo, 0, v79
	v_or3_b32 v8, v78, v8, v45
	v_cndmask_b32_e32 v78, 0, v8, vcc_lo
.LBB6_1587:                             ;   in Loop: Header=BB6_138 Depth=3
	s_or_b32 exec_lo, exec_lo, s73
.LBB6_1588:                             ;   in Loop: Header=BB6_138 Depth=3
	s_or_b32 exec_lo, exec_lo, s72
	v_cmp_gt_i16_sdwa s72, v9, v116 src0_sel:BYTE_3 src1_sel:DWORD
	s_mov_b32 s16, 0
	s_and_saveexec_b32 s73, s72
	s_xor_b32 s72, exec_lo, s73
	s_cbranch_execz .LBB6_2142
; %bb.1589:                             ;   in Loop: Header=BB6_138 Depth=3
	v_cmp_eq_u16_sdwa s74, v9, v117 src0_sel:BYTE_3 src1_sel:DWORD
	s_mov_b32 s16, -1
	s_and_saveexec_b32 s73, s74
; %bb.1590:                             ;   in Loop: Header=BB6_138 Depth=3
	s_xor_b32 s16, exec_lo, -1
; %bb.1591:                             ;   in Loop: Header=BB6_138 Depth=3
	s_or_b32 exec_lo, exec_lo, s73
	s_and_b32 s16, s16, exec_lo
	s_or_saveexec_b32 s72, s72
	v_mov_b32_e32 v8, 0x7f800001
	s_xor_b32 exec_lo, exec_lo, s72
	s_cbranch_execnz .LBB6_2143
.LBB6_1592:                             ;   in Loop: Header=BB6_138 Depth=3
	s_or_b32 exec_lo, exec_lo, s72
	s_and_saveexec_b32 s72, s16
	s_cbranch_execz .LBB6_1594
.LBB6_1593:                             ;   in Loop: Header=BB6_138 Depth=3
	v_bfe_u32 v8, v9, 24, 2
	v_bfe_u32 v88, v9, 26, 5
	v_ffbh_u32_e32 v45, v8
	v_cmp_eq_u32_e32 vcc_lo, 0, v88
	v_min_u32_e32 v45, 32, v45
	v_subrev_nc_u32_e32 v79, 29, v45
	v_sub_nc_u32_e32 v45, 30, v45
	v_lshlrev_b32_sdwa v79, v79, v9 dst_sel:DWORD dst_unused:UNUSED_PAD src0_sel:DWORD src1_sel:BYTE_3
	v_cndmask_b32_e32 v45, v88, v45, vcc_lo
	v_and_b32_e32 v9, 0x80000000, v9
	v_and_b32_e32 v79, 3, v79
	v_lshl_add_u32 v45, v45, 23, 0x37800000
	v_cndmask_b32_e32 v8, v8, v79, vcc_lo
	v_lshlrev_b32_e32 v8, 21, v8
	v_or3_b32 v8, v9, v45, v8
.LBB6_1594:                             ;   in Loop: Header=BB6_138 Depth=3
	s_or_b32 exec_lo, exec_lo, s72
	v_mul_f32_e32 v8, s63, v8
	v_mov_b32_e32 v79, 0x8000
	s_mov_b32 s72, exec_lo
	v_and_b32_e32 v9, 0x7f800000, v8
	v_cmpx_ne_u32_e32 0x7f800000, v9
	s_cbranch_execz .LBB6_1602
; %bb.1595:                             ;   in Loop: Header=BB6_138 Depth=3
	v_mov_b32_e32 v79, 0
	s_mov_b32 s73, exec_lo
	v_cmpx_ne_u32_e32 0, v8
	s_cbranch_execz .LBB6_1601
; %bb.1596:                             ;   in Loop: Header=BB6_138 Depth=3
	v_bfe_u32 v45, v8, 23, 8
	v_and_b32_e32 v9, 0x7fffff, v8
	v_cmp_gt_u32_e64 s16, 0x71, v45
	v_sub_nc_u32_e32 v79, 0x70, v45
	v_cmp_eq_u32_e32 vcc_lo, 0, v45
	v_or_b32_e32 v88, 0x800000, v9
	v_cndmask_b32_e64 v79, 0, v79, s16
	v_cndmask_b32_e32 v9, v88, v9, vcc_lo
	v_cndmask_b32_e64 v79, v79, 0x6f, vcc_lo
	v_lshl_add_u32 v88, 0x200000, v79, -1
	v_lshlrev_b32_e64 v89, v79, 0x100000
	v_and_b32_e32 v88, v88, v9
	v_cmp_eq_u32_e64 s16, v88, v89
	v_lshrrev_b32_e32 v88, v79, v9
	v_add_nc_u32_e32 v9, 0xffffff91, v45
	v_lshrrev_b32_e32 v45, 23, v88
	v_cndmask_b32_e64 v9, v9, 0xffffff92, vcc_lo
	v_xor_b32_e32 v45, 1, v45
	v_add_nc_u32_e32 v9, v79, v9
	v_bfe_u32 v79, v88, 21, 1
	v_add_nc_u32_e32 v79, -1, v79
	v_cndmask_b32_e64 v79, 0, v79, s16
	s_mov_b32 s16, exec_lo
	v_add_nc_u32_e32 v79, v79, v88
	v_and_b32_e32 v79, 0x1fffff, v79
	v_add_nc_u32_e32 v79, v79, v88
                                        ; implicit-def: $vgpr88
	v_cmpx_ne_u32_e64 v9, v45
	s_xor_b32 s16, exec_lo, s16
; %bb.1597:                             ;   in Loop: Header=BB6_138 Depth=3
	v_cmp_lt_u32_e32 vcc_lo, 0xffffff, v79
	v_sub_nc_u32_e32 v9, v9, v45
	v_cndmask_b32_e64 v45, 0, 1, vcc_lo
	v_add_co_ci_u32_e64 v88, null, 0, v9, vcc_lo
	v_lshrrev_b32_e32 v79, v45, v79
; %bb.1598:                             ;   in Loop: Header=BB6_138 Depth=3
	s_andn2_saveexec_b32 s16, s16
; %bb.1599:                             ;   in Loop: Header=BB6_138 Depth=3
	v_bfe_u32 v88, v79, 23, 1
; %bb.1600:                             ;   in Loop: Header=BB6_138 Depth=3
	s_or_b32 exec_lo, exec_lo, s16
	v_lshrrev_b32_e32 v9, 21, v79
	v_min_i32_e32 v45, 31, v88
	v_cmp_gt_i32_e32 vcc_lo, 32, v88
	v_and_b32_sdwa v8, v8, v117 dst_sel:DWORD dst_unused:UNUSED_PAD src0_sel:BYTE_3 src1_sel:DWORD
	v_lshlrev_b32_e32 v45, 2, v45
	v_cndmask_b32_e32 v9, 3, v9, vcc_lo
	v_and_b32_e32 v45, 0xfc, v45
	v_or_b32_e32 v79, v88, v9
	v_and_b32_e32 v9, 3, v9
	v_cmp_ne_u32_e32 vcc_lo, 0, v79
	v_or3_b32 v8, v8, v45, v9
	v_lshlrev_b32_e32 v8, 8, v8
	v_cndmask_b32_e32 v79, 0, v8, vcc_lo
.LBB6_1601:                             ;   in Loop: Header=BB6_138 Depth=3
	s_or_b32 exec_lo, exec_lo, s73
.LBB6_1602:                             ;   in Loop: Header=BB6_138 Depth=3
	s_or_b32 exec_lo, exec_lo, s72
	v_cmp_gt_i16_sdwa s16, v10, v116 src0_sel:BYTE_0 src1_sel:DWORD
	s_mov_b32 s72, 0
	s_and_saveexec_b32 s73, s16
	s_xor_b32 s16, exec_lo, s73
	s_cbranch_execz .LBB6_2144
; %bb.1603:                             ;   in Loop: Header=BB6_138 Depth=3
	v_cmp_eq_u16_sdwa s74, v10, v117 src0_sel:BYTE_0 src1_sel:DWORD
	s_mov_b32 s72, -1
	s_and_saveexec_b32 s73, s74
; %bb.1604:                             ;   in Loop: Header=BB6_138 Depth=3
	s_xor_b32 s72, exec_lo, -1
; %bb.1605:                             ;   in Loop: Header=BB6_138 Depth=3
	s_or_b32 exec_lo, exec_lo, s73
	s_and_b32 s72, s72, exec_lo
	s_or_saveexec_b32 s16, s16
	v_mov_b32_e32 v8, 0x7f800001
	s_xor_b32 exec_lo, exec_lo, s16
	s_cbranch_execnz .LBB6_2145
.LBB6_1606:                             ;   in Loop: Header=BB6_138 Depth=3
	s_or_b32 exec_lo, exec_lo, s16
	s_and_saveexec_b32 s16, s72
	s_cbranch_execz .LBB6_1608
.LBB6_1607:                             ;   in Loop: Header=BB6_138 Depth=3
	v_and_b32_e32 v8, 3, v10
	v_bfe_u32 v9, v10, 2, 5
	v_ffbh_u32_e32 v45, v8
	v_cmp_eq_u32_e32 vcc_lo, 0, v9
	v_min_u32_e32 v45, 32, v45
	v_subrev_nc_u32_e32 v88, 29, v45
	v_sub_nc_u32_e32 v45, 30, v45
	v_lshlrev_b32_e32 v88, v88, v10
	v_cndmask_b32_e32 v9, v9, v45, vcc_lo
	v_lshlrev_b32_e32 v45, 24, v10
	v_and_b32_e32 v88, 3, v88
	v_lshl_add_u32 v9, v9, 23, 0x37800000
	v_and_b32_e32 v45, 0x80000000, v45
	v_cndmask_b32_e32 v8, v8, v88, vcc_lo
	v_lshlrev_b32_e32 v8, 21, v8
	v_or3_b32 v8, v45, v9, v8
.LBB6_1608:                             ;   in Loop: Header=BB6_138 Depth=3
	s_or_b32 exec_lo, exec_lo, s16
	v_mul_f32_e32 v8, s63, v8
	v_mov_b32_e32 v88, 0x80
	s_mov_b32 s72, exec_lo
	v_and_b32_e32 v9, 0x7f800000, v8
	v_cmpx_ne_u32_e32 0x7f800000, v9
	s_cbranch_execz .LBB6_1616
; %bb.1609:                             ;   in Loop: Header=BB6_138 Depth=3
	v_mov_b32_e32 v88, 0
	s_mov_b32 s73, exec_lo
	v_cmpx_ne_u32_e32 0, v8
	s_cbranch_execz .LBB6_1615
; %bb.1610:                             ;   in Loop: Header=BB6_138 Depth=3
	v_bfe_u32 v45, v8, 23, 8
	v_and_b32_e32 v9, 0x7fffff, v8
	v_cmp_gt_u32_e64 s16, 0x71, v45
	v_sub_nc_u32_e32 v88, 0x70, v45
	v_cmp_eq_u32_e32 vcc_lo, 0, v45
	v_or_b32_e32 v89, 0x800000, v9
	v_cndmask_b32_e64 v88, 0, v88, s16
	v_cndmask_b32_e32 v9, v89, v9, vcc_lo
	v_cndmask_b32_e64 v88, v88, 0x6f, vcc_lo
	v_lshl_add_u32 v89, 0x200000, v88, -1
	v_lshlrev_b32_e64 v90, v88, 0x100000
	v_and_b32_e32 v89, v89, v9
	v_cmp_eq_u32_e64 s16, v89, v90
	v_lshrrev_b32_e32 v89, v88, v9
	v_add_nc_u32_e32 v9, 0xffffff91, v45
	v_lshrrev_b32_e32 v45, 23, v89
	v_cndmask_b32_e64 v9, v9, 0xffffff92, vcc_lo
	v_xor_b32_e32 v45, 1, v45
	v_add_nc_u32_e32 v9, v88, v9
	v_bfe_u32 v88, v89, 21, 1
	v_add_nc_u32_e32 v88, -1, v88
	v_cndmask_b32_e64 v88, 0, v88, s16
	s_mov_b32 s16, exec_lo
	v_add_nc_u32_e32 v88, v88, v89
	v_and_b32_e32 v88, 0x1fffff, v88
	v_add_nc_u32_e32 v88, v88, v89
                                        ; implicit-def: $vgpr89
	v_cmpx_ne_u32_e64 v9, v45
	s_xor_b32 s16, exec_lo, s16
; %bb.1611:                             ;   in Loop: Header=BB6_138 Depth=3
	v_cmp_lt_u32_e32 vcc_lo, 0xffffff, v88
	v_sub_nc_u32_e32 v9, v9, v45
	v_cndmask_b32_e64 v45, 0, 1, vcc_lo
	v_add_co_ci_u32_e64 v89, null, 0, v9, vcc_lo
	v_lshrrev_b32_e32 v88, v45, v88
; %bb.1612:                             ;   in Loop: Header=BB6_138 Depth=3
	s_andn2_saveexec_b32 s16, s16
; %bb.1613:                             ;   in Loop: Header=BB6_138 Depth=3
	v_bfe_u32 v89, v88, 23, 1
; %bb.1614:                             ;   in Loop: Header=BB6_138 Depth=3
	s_or_b32 exec_lo, exec_lo, s16
	v_lshrrev_b32_e32 v9, 21, v88
	v_min_i32_e32 v45, 31, v89
	v_cmp_gt_i32_e32 vcc_lo, 32, v89
	v_and_b32_sdwa v8, v8, v117 dst_sel:DWORD dst_unused:UNUSED_PAD src0_sel:BYTE_3 src1_sel:DWORD
	v_lshlrev_b32_e32 v45, 2, v45
	v_cndmask_b32_e32 v9, 3, v9, vcc_lo
	v_and_b32_e32 v45, 0xfc, v45
	v_or_b32_e32 v88, v89, v9
	v_and_b32_e32 v9, 3, v9
	v_cmp_ne_u32_e32 vcc_lo, 0, v88
	v_or3_b32 v8, v45, v8, v9
	v_cndmask_b32_e32 v88, 0, v8, vcc_lo
.LBB6_1615:                             ;   in Loop: Header=BB6_138 Depth=3
	s_or_b32 exec_lo, exec_lo, s73
.LBB6_1616:                             ;   in Loop: Header=BB6_138 Depth=3
	s_or_b32 exec_lo, exec_lo, s72
	v_cmp_gt_i16_sdwa s72, v10, v116 src0_sel:BYTE_1 src1_sel:DWORD
	s_mov_b32 s16, 0
	s_and_saveexec_b32 s73, s72
	s_xor_b32 s72, exec_lo, s73
	s_cbranch_execz .LBB6_2146
; %bb.1617:                             ;   in Loop: Header=BB6_138 Depth=3
	v_cmp_eq_u16_sdwa s74, v10, v117 src0_sel:BYTE_1 src1_sel:DWORD
	s_mov_b32 s16, -1
	s_and_saveexec_b32 s73, s74
; %bb.1618:                             ;   in Loop: Header=BB6_138 Depth=3
	s_xor_b32 s16, exec_lo, -1
; %bb.1619:                             ;   in Loop: Header=BB6_138 Depth=3
	s_or_b32 exec_lo, exec_lo, s73
	s_and_b32 s16, s16, exec_lo
	s_or_saveexec_b32 s72, s72
	v_mov_b32_e32 v8, 0x7f800001
	s_xor_b32 exec_lo, exec_lo, s72
	s_cbranch_execnz .LBB6_2147
.LBB6_1620:                             ;   in Loop: Header=BB6_138 Depth=3
	s_or_b32 exec_lo, exec_lo, s72
	s_and_saveexec_b32 s72, s16
	s_cbranch_execz .LBB6_1622
.LBB6_1621:                             ;   in Loop: Header=BB6_138 Depth=3
	v_and_b32_sdwa v8, v118, v10 dst_sel:DWORD dst_unused:UNUSED_PAD src0_sel:DWORD src1_sel:BYTE_1
	v_and_b32_e32 v9, 3, v8
	v_bfe_u32 v90, v8, 2, 5
	v_ffbh_u32_e32 v45, v9
	v_cmp_eq_u32_e32 vcc_lo, 0, v90
	v_min_u32_e32 v45, 32, v45
	v_subrev_nc_u32_e32 v89, 29, v45
	v_sub_nc_u32_e32 v45, 30, v45
	v_lshlrev_b32_e32 v8, v89, v8
	v_lshlrev_b32_sdwa v89, v119, v10 dst_sel:DWORD dst_unused:UNUSED_PAD src0_sel:DWORD src1_sel:BYTE_1
	v_cndmask_b32_e32 v45, v90, v45, vcc_lo
	v_and_b32_e32 v8, 3, v8
	v_lshl_add_u32 v45, v45, 23, 0x37800000
	v_cndmask_b32_e32 v8, v9, v8, vcc_lo
	v_and_b32_e32 v9, 0x80000000, v89
	v_lshlrev_b32_e32 v8, 21, v8
	v_or3_b32 v8, v9, v45, v8
.LBB6_1622:                             ;   in Loop: Header=BB6_138 Depth=3
	s_or_b32 exec_lo, exec_lo, s72
	v_mul_f32_e32 v8, s63, v8
	v_mov_b32_e32 v89, 0x8000
	s_mov_b32 s72, exec_lo
	v_and_b32_e32 v9, 0x7f800000, v8
	v_cmpx_ne_u32_e32 0x7f800000, v9
	s_cbranch_execz .LBB6_1630
; %bb.1623:                             ;   in Loop: Header=BB6_138 Depth=3
	v_mov_b32_e32 v89, 0
	s_mov_b32 s73, exec_lo
	v_cmpx_ne_u32_e32 0, v8
	s_cbranch_execz .LBB6_1629
; %bb.1624:                             ;   in Loop: Header=BB6_138 Depth=3
	v_bfe_u32 v45, v8, 23, 8
	v_and_b32_e32 v9, 0x7fffff, v8
	v_cmp_gt_u32_e64 s16, 0x71, v45
	v_sub_nc_u32_e32 v89, 0x70, v45
	v_cmp_eq_u32_e32 vcc_lo, 0, v45
	v_or_b32_e32 v90, 0x800000, v9
	v_cndmask_b32_e64 v89, 0, v89, s16
	v_cndmask_b32_e32 v9, v90, v9, vcc_lo
	v_cndmask_b32_e64 v89, v89, 0x6f, vcc_lo
	v_lshl_add_u32 v90, 0x200000, v89, -1
	v_lshlrev_b32_e64 v91, v89, 0x100000
	v_and_b32_e32 v90, v90, v9
	v_cmp_eq_u32_e64 s16, v90, v91
	v_lshrrev_b32_e32 v90, v89, v9
	v_add_nc_u32_e32 v9, 0xffffff91, v45
	v_lshrrev_b32_e32 v45, 23, v90
	v_cndmask_b32_e64 v9, v9, 0xffffff92, vcc_lo
	v_xor_b32_e32 v45, 1, v45
	v_add_nc_u32_e32 v9, v89, v9
	v_bfe_u32 v89, v90, 21, 1
	v_add_nc_u32_e32 v89, -1, v89
	v_cndmask_b32_e64 v89, 0, v89, s16
	s_mov_b32 s16, exec_lo
	v_add_nc_u32_e32 v89, v89, v90
	v_and_b32_e32 v89, 0x1fffff, v89
	v_add_nc_u32_e32 v89, v89, v90
                                        ; implicit-def: $vgpr90
	v_cmpx_ne_u32_e64 v9, v45
	s_xor_b32 s16, exec_lo, s16
; %bb.1625:                             ;   in Loop: Header=BB6_138 Depth=3
	v_cmp_lt_u32_e32 vcc_lo, 0xffffff, v89
	v_sub_nc_u32_e32 v9, v9, v45
	v_cndmask_b32_e64 v45, 0, 1, vcc_lo
	v_add_co_ci_u32_e64 v90, null, 0, v9, vcc_lo
	v_lshrrev_b32_e32 v89, v45, v89
; %bb.1626:                             ;   in Loop: Header=BB6_138 Depth=3
	s_andn2_saveexec_b32 s16, s16
; %bb.1627:                             ;   in Loop: Header=BB6_138 Depth=3
	v_bfe_u32 v90, v89, 23, 1
; %bb.1628:                             ;   in Loop: Header=BB6_138 Depth=3
	s_or_b32 exec_lo, exec_lo, s16
	v_lshrrev_b32_e32 v9, 21, v89
	v_min_i32_e32 v45, 31, v90
	v_cmp_gt_i32_e32 vcc_lo, 32, v90
	v_and_b32_sdwa v8, v8, v117 dst_sel:DWORD dst_unused:UNUSED_PAD src0_sel:BYTE_3 src1_sel:DWORD
	v_lshlrev_b32_e32 v45, 2, v45
	v_cndmask_b32_e32 v9, 3, v9, vcc_lo
	v_and_b32_e32 v45, 0xfc, v45
	v_or_b32_e32 v89, v90, v9
	v_and_b32_e32 v9, 3, v9
	v_cmp_ne_u32_e32 vcc_lo, 0, v89
	v_or3_b32 v8, v8, v45, v9
	v_lshlrev_b32_e32 v8, 8, v8
	v_cndmask_b32_e32 v89, 0, v8, vcc_lo
.LBB6_1629:                             ;   in Loop: Header=BB6_138 Depth=3
	s_or_b32 exec_lo, exec_lo, s73
.LBB6_1630:                             ;   in Loop: Header=BB6_138 Depth=3
	s_or_b32 exec_lo, exec_lo, s72
	v_and_b32_sdwa v9, v10, v40 dst_sel:DWORD dst_unused:UNUSED_PAD src0_sel:WORD_1 src1_sel:DWORD
	s_mov_b32 s72, 0
	s_mov_b32 s16, exec_lo
	v_cmpx_lt_i16_e32 0x7f, v9
	s_xor_b32 s16, exec_lo, s16
	s_cbranch_execz .LBB6_2148
; %bb.1631:                             ;   in Loop: Header=BB6_138 Depth=3
	s_mov_b32 s72, -1
	s_mov_b32 s73, exec_lo
	v_cmpx_eq_u16_e32 0x80, v9
; %bb.1632:                             ;   in Loop: Header=BB6_138 Depth=3
	s_xor_b32 s72, exec_lo, -1
; %bb.1633:                             ;   in Loop: Header=BB6_138 Depth=3
	s_or_b32 exec_lo, exec_lo, s73
	s_and_b32 s72, s72, exec_lo
                                        ; implicit-def: $vgpr9
	s_or_saveexec_b32 s16, s16
	v_mov_b32_e32 v8, 0x7f800001
	s_xor_b32 exec_lo, exec_lo, s16
	s_cbranch_execnz .LBB6_2149
.LBB6_1634:                             ;   in Loop: Header=BB6_138 Depth=3
	s_or_b32 exec_lo, exec_lo, s16
	s_and_saveexec_b32 s16, s72
	s_cbranch_execz .LBB6_1636
.LBB6_1635:                             ;   in Loop: Header=BB6_138 Depth=3
	v_bfe_u32 v8, v10, 16, 2
	v_bfe_u32 v9, v10, 18, 5
	v_ffbh_u32_e32 v45, v8
	v_cmp_eq_u32_e32 vcc_lo, 0, v9
	v_min_u32_e32 v45, 32, v45
	v_subrev_nc_u32_e32 v90, 29, v45
	v_sub_nc_u32_e32 v45, 30, v45
	v_lshlrev_b32_sdwa v90, v90, v10 dst_sel:DWORD dst_unused:UNUSED_PAD src0_sel:DWORD src1_sel:WORD_1
	v_cndmask_b32_e32 v9, v9, v45, vcc_lo
	v_lshlrev_b32_e32 v45, 8, v10
	v_and_b32_e32 v90, 3, v90
	v_lshl_add_u32 v9, v9, 23, 0x37800000
	v_and_b32_e32 v45, 0x80000000, v45
	v_cndmask_b32_e32 v8, v8, v90, vcc_lo
	v_lshlrev_b32_e32 v8, 21, v8
	v_or3_b32 v8, v45, v9, v8
.LBB6_1636:                             ;   in Loop: Header=BB6_138 Depth=3
	s_or_b32 exec_lo, exec_lo, s16
	v_mul_f32_e32 v8, s63, v8
	v_mov_b32_e32 v90, 0x80
	s_mov_b32 s72, exec_lo
	v_and_b32_e32 v9, 0x7f800000, v8
	v_cmpx_ne_u32_e32 0x7f800000, v9
	s_cbranch_execz .LBB6_1644
; %bb.1637:                             ;   in Loop: Header=BB6_138 Depth=3
	v_mov_b32_e32 v90, 0
	s_mov_b32 s73, exec_lo
	v_cmpx_ne_u32_e32 0, v8
	s_cbranch_execz .LBB6_1643
; %bb.1638:                             ;   in Loop: Header=BB6_138 Depth=3
	v_bfe_u32 v45, v8, 23, 8
	v_and_b32_e32 v9, 0x7fffff, v8
	v_cmp_gt_u32_e64 s16, 0x71, v45
	v_sub_nc_u32_e32 v90, 0x70, v45
	v_cmp_eq_u32_e32 vcc_lo, 0, v45
	v_or_b32_e32 v91, 0x800000, v9
	v_cndmask_b32_e64 v90, 0, v90, s16
	v_cndmask_b32_e32 v9, v91, v9, vcc_lo
	v_cndmask_b32_e64 v90, v90, 0x6f, vcc_lo
	v_lshl_add_u32 v91, 0x200000, v90, -1
	v_lshlrev_b32_e64 v92, v90, 0x100000
	v_and_b32_e32 v91, v91, v9
	v_cmp_eq_u32_e64 s16, v91, v92
	v_lshrrev_b32_e32 v91, v90, v9
	v_add_nc_u32_e32 v9, 0xffffff91, v45
	v_lshrrev_b32_e32 v45, 23, v91
	v_cndmask_b32_e64 v9, v9, 0xffffff92, vcc_lo
	v_xor_b32_e32 v45, 1, v45
	v_add_nc_u32_e32 v9, v90, v9
	v_bfe_u32 v90, v91, 21, 1
	v_add_nc_u32_e32 v90, -1, v90
	v_cndmask_b32_e64 v90, 0, v90, s16
	s_mov_b32 s16, exec_lo
	v_add_nc_u32_e32 v90, v90, v91
	v_and_b32_e32 v90, 0x1fffff, v90
	v_add_nc_u32_e32 v90, v90, v91
                                        ; implicit-def: $vgpr91
	v_cmpx_ne_u32_e64 v9, v45
	s_xor_b32 s16, exec_lo, s16
; %bb.1639:                             ;   in Loop: Header=BB6_138 Depth=3
	v_cmp_lt_u32_e32 vcc_lo, 0xffffff, v90
	v_sub_nc_u32_e32 v9, v9, v45
	v_cndmask_b32_e64 v45, 0, 1, vcc_lo
	v_add_co_ci_u32_e64 v91, null, 0, v9, vcc_lo
	v_lshrrev_b32_e32 v90, v45, v90
; %bb.1640:                             ;   in Loop: Header=BB6_138 Depth=3
	s_andn2_saveexec_b32 s16, s16
; %bb.1641:                             ;   in Loop: Header=BB6_138 Depth=3
	v_bfe_u32 v91, v90, 23, 1
; %bb.1642:                             ;   in Loop: Header=BB6_138 Depth=3
	s_or_b32 exec_lo, exec_lo, s16
	v_lshrrev_b32_e32 v9, 21, v90
	v_min_i32_e32 v45, 31, v91
	v_cmp_gt_i32_e32 vcc_lo, 32, v91
	v_and_b32_sdwa v8, v8, v117 dst_sel:DWORD dst_unused:UNUSED_PAD src0_sel:BYTE_3 src1_sel:DWORD
	v_lshlrev_b32_e32 v45, 2, v45
	v_cndmask_b32_e32 v9, 3, v9, vcc_lo
	v_and_b32_e32 v45, 0xfc, v45
	v_or_b32_e32 v90, v91, v9
	v_and_b32_e32 v9, 3, v9
	v_cmp_ne_u32_e32 vcc_lo, 0, v90
	v_or3_b32 v8, v45, v8, v9
	v_cndmask_b32_e32 v90, 0, v8, vcc_lo
.LBB6_1643:                             ;   in Loop: Header=BB6_138 Depth=3
	s_or_b32 exec_lo, exec_lo, s73
.LBB6_1644:                             ;   in Loop: Header=BB6_138 Depth=3
	s_or_b32 exec_lo, exec_lo, s72
	v_cmp_gt_i16_sdwa s72, v10, v116 src0_sel:BYTE_3 src1_sel:DWORD
	s_mov_b32 s16, 0
	s_and_saveexec_b32 s73, s72
	s_xor_b32 s72, exec_lo, s73
	s_cbranch_execz .LBB6_2150
; %bb.1645:                             ;   in Loop: Header=BB6_138 Depth=3
	v_cmp_eq_u16_sdwa s74, v10, v117 src0_sel:BYTE_3 src1_sel:DWORD
	s_mov_b32 s16, -1
	s_and_saveexec_b32 s73, s74
; %bb.1646:                             ;   in Loop: Header=BB6_138 Depth=3
	s_xor_b32 s16, exec_lo, -1
; %bb.1647:                             ;   in Loop: Header=BB6_138 Depth=3
	s_or_b32 exec_lo, exec_lo, s73
	s_and_b32 s16, s16, exec_lo
	s_or_saveexec_b32 s72, s72
	v_mov_b32_e32 v8, 0x7f800001
	s_xor_b32 exec_lo, exec_lo, s72
	s_cbranch_execnz .LBB6_2151
.LBB6_1648:                             ;   in Loop: Header=BB6_138 Depth=3
	s_or_b32 exec_lo, exec_lo, s72
	s_and_saveexec_b32 s72, s16
	s_cbranch_execz .LBB6_1650
.LBB6_1649:                             ;   in Loop: Header=BB6_138 Depth=3
	v_bfe_u32 v8, v10, 24, 2
	v_bfe_u32 v91, v10, 26, 5
	v_ffbh_u32_e32 v9, v8
	v_cmp_eq_u32_e32 vcc_lo, 0, v91
	v_min_u32_e32 v9, 32, v9
	v_subrev_nc_u32_e32 v45, 29, v9
	v_sub_nc_u32_e32 v9, 30, v9
	v_lshlrev_b32_sdwa v45, v45, v10 dst_sel:DWORD dst_unused:UNUSED_PAD src0_sel:DWORD src1_sel:BYTE_3
	v_cndmask_b32_e32 v9, v91, v9, vcc_lo
	v_and_b32_e32 v10, 0x80000000, v10
	v_and_b32_e32 v45, 3, v45
	v_lshl_add_u32 v9, v9, 23, 0x37800000
	v_cndmask_b32_e32 v8, v8, v45, vcc_lo
	v_lshlrev_b32_e32 v8, 21, v8
	v_or3_b32 v8, v10, v9, v8
.LBB6_1650:                             ;   in Loop: Header=BB6_138 Depth=3
	s_or_b32 exec_lo, exec_lo, s72
	v_mul_f32_e32 v8, s63, v8
	v_mov_b32_e32 v91, 0x8000
	s_mov_b32 s72, exec_lo
	v_and_b32_e32 v9, 0x7f800000, v8
	v_cmpx_ne_u32_e32 0x7f800000, v9
	s_cbranch_execz .LBB6_1658
; %bb.1651:                             ;   in Loop: Header=BB6_138 Depth=3
	v_mov_b32_e32 v91, 0
	s_mov_b32 s73, exec_lo
	v_cmpx_ne_u32_e32 0, v8
	s_cbranch_execz .LBB6_1657
; %bb.1652:                             ;   in Loop: Header=BB6_138 Depth=3
	v_bfe_u32 v10, v8, 23, 8
	v_and_b32_e32 v9, 0x7fffff, v8
	v_cmp_gt_u32_e64 s16, 0x71, v10
	v_sub_nc_u32_e32 v45, 0x70, v10
	v_cmp_eq_u32_e32 vcc_lo, 0, v10
	v_or_b32_e32 v91, 0x800000, v9
	v_cndmask_b32_e64 v45, 0, v45, s16
	v_cndmask_b32_e32 v9, v91, v9, vcc_lo
	v_cndmask_b32_e64 v45, v45, 0x6f, vcc_lo
	v_lshl_add_u32 v91, 0x200000, v45, -1
	v_lshlrev_b32_e64 v92, v45, 0x100000
	v_and_b32_e32 v91, v91, v9
	v_cmp_eq_u32_e64 s16, v91, v92
	v_lshrrev_b32_e32 v91, v45, v9
	v_add_nc_u32_e32 v9, 0xffffff91, v10
	v_lshrrev_b32_e32 v10, 23, v91
	v_cndmask_b32_e64 v9, v9, 0xffffff92, vcc_lo
	v_xor_b32_e32 v10, 1, v10
	v_add_nc_u32_e32 v9, v45, v9
	v_bfe_u32 v45, v91, 21, 1
	v_add_nc_u32_e32 v45, -1, v45
	v_cndmask_b32_e64 v45, 0, v45, s16
	s_mov_b32 s16, exec_lo
	v_add_nc_u32_e32 v45, v45, v91
	v_and_b32_e32 v45, 0x1fffff, v45
	v_add_nc_u32_e32 v45, v45, v91
                                        ; implicit-def: $vgpr91
	v_cmpx_ne_u32_e64 v9, v10
	s_xor_b32 s16, exec_lo, s16
; %bb.1653:                             ;   in Loop: Header=BB6_138 Depth=3
	v_cmp_lt_u32_e32 vcc_lo, 0xffffff, v45
	v_sub_nc_u32_e32 v9, v9, v10
	v_cndmask_b32_e64 v10, 0, 1, vcc_lo
	v_add_co_ci_u32_e64 v91, null, 0, v9, vcc_lo
	v_lshrrev_b32_e32 v45, v10, v45
; %bb.1654:                             ;   in Loop: Header=BB6_138 Depth=3
	s_andn2_saveexec_b32 s16, s16
; %bb.1655:                             ;   in Loop: Header=BB6_138 Depth=3
	v_bfe_u32 v91, v45, 23, 1
; %bb.1656:                             ;   in Loop: Header=BB6_138 Depth=3
	s_or_b32 exec_lo, exec_lo, s16
	v_lshrrev_b32_e32 v9, 21, v45
	v_min_i32_e32 v10, 31, v91
	v_cmp_gt_i32_e32 vcc_lo, 32, v91
	v_and_b32_sdwa v8, v8, v117 dst_sel:DWORD dst_unused:UNUSED_PAD src0_sel:BYTE_3 src1_sel:DWORD
	v_lshlrev_b32_e32 v10, 2, v10
	v_cndmask_b32_e32 v9, 3, v9, vcc_lo
	v_and_b32_e32 v10, 0xfc, v10
	v_or_b32_e32 v45, v91, v9
	v_and_b32_e32 v9, 3, v9
	v_cmp_ne_u32_e32 vcc_lo, 0, v45
	v_or3_b32 v8, v8, v10, v9
	v_lshlrev_b32_e32 v8, 8, v8
	v_cndmask_b32_e32 v91, 0, v8, vcc_lo
.LBB6_1657:                             ;   in Loop: Header=BB6_138 Depth=3
	s_or_b32 exec_lo, exec_lo, s73
.LBB6_1658:                             ;   in Loop: Header=BB6_138 Depth=3
	s_or_b32 exec_lo, exec_lo, s72
	v_cmp_gt_i16_sdwa s16, v11, v116 src0_sel:BYTE_0 src1_sel:DWORD
	s_mov_b32 s72, 0
	s_and_saveexec_b32 s73, s16
	s_xor_b32 s16, exec_lo, s73
	s_cbranch_execz .LBB6_2152
; %bb.1659:                             ;   in Loop: Header=BB6_138 Depth=3
	v_cmp_eq_u16_sdwa s74, v11, v117 src0_sel:BYTE_0 src1_sel:DWORD
	s_mov_b32 s72, -1
	s_and_saveexec_b32 s73, s74
; %bb.1660:                             ;   in Loop: Header=BB6_138 Depth=3
	s_xor_b32 s72, exec_lo, -1
; %bb.1661:                             ;   in Loop: Header=BB6_138 Depth=3
	s_or_b32 exec_lo, exec_lo, s73
	s_and_b32 s72, s72, exec_lo
	s_or_saveexec_b32 s16, s16
	v_mov_b32_e32 v8, 0x7f800001
	s_xor_b32 exec_lo, exec_lo, s16
	s_cbranch_execnz .LBB6_2153
.LBB6_1662:                             ;   in Loop: Header=BB6_138 Depth=3
	s_or_b32 exec_lo, exec_lo, s16
	s_and_saveexec_b32 s16, s72
	s_cbranch_execz .LBB6_1664
.LBB6_1663:                             ;   in Loop: Header=BB6_138 Depth=3
	v_and_b32_e32 v8, 3, v11
	v_bfe_u32 v9, v11, 2, 5
	v_ffbh_u32_e32 v10, v8
	v_cmp_eq_u32_e32 vcc_lo, 0, v9
	v_min_u32_e32 v10, 32, v10
	v_subrev_nc_u32_e32 v45, 29, v10
	v_sub_nc_u32_e32 v10, 30, v10
	v_lshlrev_b32_e32 v45, v45, v11
	v_cndmask_b32_e32 v9, v9, v10, vcc_lo
	v_lshlrev_b32_e32 v10, 24, v11
	v_and_b32_e32 v45, 3, v45
	v_lshl_add_u32 v9, v9, 23, 0x37800000
	v_and_b32_e32 v10, 0x80000000, v10
	v_cndmask_b32_e32 v8, v8, v45, vcc_lo
	v_lshlrev_b32_e32 v8, 21, v8
	v_or3_b32 v8, v10, v9, v8
.LBB6_1664:                             ;   in Loop: Header=BB6_138 Depth=3
	s_or_b32 exec_lo, exec_lo, s16
	v_mul_f32_e32 v8, s63, v8
	v_mov_b32_e32 v92, 0x80
	s_mov_b32 s72, exec_lo
	v_and_b32_e32 v9, 0x7f800000, v8
	v_cmpx_ne_u32_e32 0x7f800000, v9
	s_cbranch_execz .LBB6_1672
; %bb.1665:                             ;   in Loop: Header=BB6_138 Depth=3
	v_mov_b32_e32 v92, 0
	s_mov_b32 s73, exec_lo
	v_cmpx_ne_u32_e32 0, v8
	s_cbranch_execz .LBB6_1671
; %bb.1666:                             ;   in Loop: Header=BB6_138 Depth=3
	v_bfe_u32 v10, v8, 23, 8
	v_and_b32_e32 v9, 0x7fffff, v8
	v_cmp_gt_u32_e64 s16, 0x71, v10
	v_sub_nc_u32_e32 v45, 0x70, v10
	v_cmp_eq_u32_e32 vcc_lo, 0, v10
	v_or_b32_e32 v92, 0x800000, v9
	v_cndmask_b32_e64 v45, 0, v45, s16
	v_cndmask_b32_e32 v9, v92, v9, vcc_lo
	v_cndmask_b32_e64 v45, v45, 0x6f, vcc_lo
	v_lshl_add_u32 v92, 0x200000, v45, -1
	v_lshlrev_b32_e64 v93, v45, 0x100000
	v_and_b32_e32 v92, v92, v9
	v_cmp_eq_u32_e64 s16, v92, v93
	v_lshrrev_b32_e32 v92, v45, v9
	v_add_nc_u32_e32 v9, 0xffffff91, v10
	v_lshrrev_b32_e32 v10, 23, v92
	v_cndmask_b32_e64 v9, v9, 0xffffff92, vcc_lo
	v_xor_b32_e32 v10, 1, v10
	v_add_nc_u32_e32 v9, v45, v9
	v_bfe_u32 v45, v92, 21, 1
	v_add_nc_u32_e32 v45, -1, v45
	v_cndmask_b32_e64 v45, 0, v45, s16
	s_mov_b32 s16, exec_lo
	v_add_nc_u32_e32 v45, v45, v92
	v_and_b32_e32 v45, 0x1fffff, v45
	v_add_nc_u32_e32 v45, v45, v92
                                        ; implicit-def: $vgpr92
	v_cmpx_ne_u32_e64 v9, v10
	s_xor_b32 s16, exec_lo, s16
; %bb.1667:                             ;   in Loop: Header=BB6_138 Depth=3
	v_cmp_lt_u32_e32 vcc_lo, 0xffffff, v45
	v_sub_nc_u32_e32 v9, v9, v10
	v_cndmask_b32_e64 v10, 0, 1, vcc_lo
	v_add_co_ci_u32_e64 v92, null, 0, v9, vcc_lo
	v_lshrrev_b32_e32 v45, v10, v45
; %bb.1668:                             ;   in Loop: Header=BB6_138 Depth=3
	s_andn2_saveexec_b32 s16, s16
; %bb.1669:                             ;   in Loop: Header=BB6_138 Depth=3
	v_bfe_u32 v92, v45, 23, 1
; %bb.1670:                             ;   in Loop: Header=BB6_138 Depth=3
	s_or_b32 exec_lo, exec_lo, s16
	v_lshrrev_b32_e32 v9, 21, v45
	v_min_i32_e32 v10, 31, v92
	v_cmp_gt_i32_e32 vcc_lo, 32, v92
	v_and_b32_sdwa v8, v8, v117 dst_sel:DWORD dst_unused:UNUSED_PAD src0_sel:BYTE_3 src1_sel:DWORD
	v_lshlrev_b32_e32 v10, 2, v10
	v_cndmask_b32_e32 v9, 3, v9, vcc_lo
	v_and_b32_e32 v10, 0xfc, v10
	v_or_b32_e32 v45, v92, v9
	v_and_b32_e32 v9, 3, v9
	v_cmp_ne_u32_e32 vcc_lo, 0, v45
	v_or3_b32 v8, v10, v8, v9
	v_cndmask_b32_e32 v92, 0, v8, vcc_lo
.LBB6_1671:                             ;   in Loop: Header=BB6_138 Depth=3
	s_or_b32 exec_lo, exec_lo, s73
.LBB6_1672:                             ;   in Loop: Header=BB6_138 Depth=3
	s_or_b32 exec_lo, exec_lo, s72
	v_cmp_gt_i16_sdwa s72, v11, v116 src0_sel:BYTE_1 src1_sel:DWORD
	s_mov_b32 s16, 0
	s_and_saveexec_b32 s73, s72
	s_xor_b32 s72, exec_lo, s73
	s_cbranch_execz .LBB6_2154
; %bb.1673:                             ;   in Loop: Header=BB6_138 Depth=3
	v_cmp_eq_u16_sdwa s74, v11, v117 src0_sel:BYTE_1 src1_sel:DWORD
	s_mov_b32 s16, -1
	s_and_saveexec_b32 s73, s74
; %bb.1674:                             ;   in Loop: Header=BB6_138 Depth=3
	s_xor_b32 s16, exec_lo, -1
; %bb.1675:                             ;   in Loop: Header=BB6_138 Depth=3
	s_or_b32 exec_lo, exec_lo, s73
	s_and_b32 s16, s16, exec_lo
	s_or_saveexec_b32 s72, s72
	v_mov_b32_e32 v8, 0x7f800001
	s_xor_b32 exec_lo, exec_lo, s72
	s_cbranch_execnz .LBB6_2155
.LBB6_1676:                             ;   in Loop: Header=BB6_138 Depth=3
	s_or_b32 exec_lo, exec_lo, s72
	s_and_saveexec_b32 s72, s16
	s_cbranch_execz .LBB6_1678
.LBB6_1677:                             ;   in Loop: Header=BB6_138 Depth=3
	v_and_b32_sdwa v8, v118, v11 dst_sel:DWORD dst_unused:UNUSED_PAD src0_sel:DWORD src1_sel:BYTE_1
	v_and_b32_e32 v9, 3, v8
	v_bfe_u32 v93, v8, 2, 5
	v_ffbh_u32_e32 v10, v9
	v_cmp_eq_u32_e32 vcc_lo, 0, v93
	v_min_u32_e32 v10, 32, v10
	v_subrev_nc_u32_e32 v45, 29, v10
	v_sub_nc_u32_e32 v10, 30, v10
	v_lshlrev_b32_e32 v8, v45, v8
	v_lshlrev_b32_sdwa v45, v119, v11 dst_sel:DWORD dst_unused:UNUSED_PAD src0_sel:DWORD src1_sel:BYTE_1
	v_cndmask_b32_e32 v10, v93, v10, vcc_lo
	v_and_b32_e32 v8, 3, v8
	v_lshl_add_u32 v10, v10, 23, 0x37800000
	v_cndmask_b32_e32 v8, v9, v8, vcc_lo
	v_and_b32_e32 v9, 0x80000000, v45
	v_lshlrev_b32_e32 v8, 21, v8
	v_or3_b32 v8, v9, v10, v8
.LBB6_1678:                             ;   in Loop: Header=BB6_138 Depth=3
	s_or_b32 exec_lo, exec_lo, s72
	v_mul_f32_e32 v8, s63, v8
	v_mov_b32_e32 v93, 0x8000
	s_mov_b32 s72, exec_lo
	v_and_b32_e32 v9, 0x7f800000, v8
	v_cmpx_ne_u32_e32 0x7f800000, v9
	s_cbranch_execz .LBB6_1686
; %bb.1679:                             ;   in Loop: Header=BB6_138 Depth=3
	v_mov_b32_e32 v93, 0
	s_mov_b32 s73, exec_lo
	v_cmpx_ne_u32_e32 0, v8
	s_cbranch_execz .LBB6_1685
; %bb.1680:                             ;   in Loop: Header=BB6_138 Depth=3
	v_bfe_u32 v10, v8, 23, 8
	v_and_b32_e32 v9, 0x7fffff, v8
	v_cmp_gt_u32_e64 s16, 0x71, v10
	v_sub_nc_u32_e32 v45, 0x70, v10
	v_cmp_eq_u32_e32 vcc_lo, 0, v10
	v_or_b32_e32 v93, 0x800000, v9
	v_cndmask_b32_e64 v45, 0, v45, s16
	v_cndmask_b32_e32 v9, v93, v9, vcc_lo
	v_cndmask_b32_e64 v45, v45, 0x6f, vcc_lo
	v_lshl_add_u32 v93, 0x200000, v45, -1
	v_lshlrev_b32_e64 v94, v45, 0x100000
	v_and_b32_e32 v93, v93, v9
	v_cmp_eq_u32_e64 s16, v93, v94
	v_lshrrev_b32_e32 v93, v45, v9
	v_add_nc_u32_e32 v9, 0xffffff91, v10
	v_lshrrev_b32_e32 v10, 23, v93
	v_cndmask_b32_e64 v9, v9, 0xffffff92, vcc_lo
	v_xor_b32_e32 v10, 1, v10
	v_add_nc_u32_e32 v9, v45, v9
	v_bfe_u32 v45, v93, 21, 1
	v_add_nc_u32_e32 v45, -1, v45
	v_cndmask_b32_e64 v45, 0, v45, s16
	s_mov_b32 s16, exec_lo
	v_add_nc_u32_e32 v45, v45, v93
	v_and_b32_e32 v45, 0x1fffff, v45
	v_add_nc_u32_e32 v45, v45, v93
                                        ; implicit-def: $vgpr93
	v_cmpx_ne_u32_e64 v9, v10
	s_xor_b32 s16, exec_lo, s16
; %bb.1681:                             ;   in Loop: Header=BB6_138 Depth=3
	v_cmp_lt_u32_e32 vcc_lo, 0xffffff, v45
	v_sub_nc_u32_e32 v9, v9, v10
	v_cndmask_b32_e64 v10, 0, 1, vcc_lo
	v_add_co_ci_u32_e64 v93, null, 0, v9, vcc_lo
	v_lshrrev_b32_e32 v45, v10, v45
; %bb.1682:                             ;   in Loop: Header=BB6_138 Depth=3
	s_andn2_saveexec_b32 s16, s16
; %bb.1683:                             ;   in Loop: Header=BB6_138 Depth=3
	v_bfe_u32 v93, v45, 23, 1
; %bb.1684:                             ;   in Loop: Header=BB6_138 Depth=3
	s_or_b32 exec_lo, exec_lo, s16
	v_lshrrev_b32_e32 v9, 21, v45
	v_min_i32_e32 v10, 31, v93
	v_cmp_gt_i32_e32 vcc_lo, 32, v93
	v_and_b32_sdwa v8, v8, v117 dst_sel:DWORD dst_unused:UNUSED_PAD src0_sel:BYTE_3 src1_sel:DWORD
	v_lshlrev_b32_e32 v10, 2, v10
	v_cndmask_b32_e32 v9, 3, v9, vcc_lo
	v_and_b32_e32 v10, 0xfc, v10
	v_or_b32_e32 v45, v93, v9
	v_and_b32_e32 v9, 3, v9
	v_cmp_ne_u32_e32 vcc_lo, 0, v45
	v_or3_b32 v8, v8, v10, v9
	v_lshlrev_b32_e32 v8, 8, v8
	v_cndmask_b32_e32 v93, 0, v8, vcc_lo
.LBB6_1685:                             ;   in Loop: Header=BB6_138 Depth=3
	s_or_b32 exec_lo, exec_lo, s73
.LBB6_1686:                             ;   in Loop: Header=BB6_138 Depth=3
	s_or_b32 exec_lo, exec_lo, s72
	v_and_b32_sdwa v9, v11, v40 dst_sel:DWORD dst_unused:UNUSED_PAD src0_sel:WORD_1 src1_sel:DWORD
	s_mov_b32 s72, 0
	s_mov_b32 s16, exec_lo
	v_cmpx_lt_i16_e32 0x7f, v9
	s_xor_b32 s16, exec_lo, s16
	s_cbranch_execz .LBB6_2156
; %bb.1687:                             ;   in Loop: Header=BB6_138 Depth=3
	s_mov_b32 s72, -1
	s_mov_b32 s73, exec_lo
	v_cmpx_eq_u16_e32 0x80, v9
; %bb.1688:                             ;   in Loop: Header=BB6_138 Depth=3
	s_xor_b32 s72, exec_lo, -1
; %bb.1689:                             ;   in Loop: Header=BB6_138 Depth=3
	s_or_b32 exec_lo, exec_lo, s73
	s_and_b32 s72, s72, exec_lo
                                        ; implicit-def: $vgpr9
	s_or_saveexec_b32 s16, s16
	v_mov_b32_e32 v8, 0x7f800001
	s_xor_b32 exec_lo, exec_lo, s16
	s_cbranch_execnz .LBB6_2157
.LBB6_1690:                             ;   in Loop: Header=BB6_138 Depth=3
	s_or_b32 exec_lo, exec_lo, s16
	s_and_saveexec_b32 s16, s72
	s_cbranch_execz .LBB6_1692
.LBB6_1691:                             ;   in Loop: Header=BB6_138 Depth=3
	v_bfe_u32 v8, v11, 16, 2
	v_bfe_u32 v9, v11, 18, 5
	v_ffbh_u32_e32 v10, v8
	v_cmp_eq_u32_e32 vcc_lo, 0, v9
	v_min_u32_e32 v10, 32, v10
	v_subrev_nc_u32_e32 v45, 29, v10
	v_sub_nc_u32_e32 v10, 30, v10
	v_lshlrev_b32_sdwa v45, v45, v11 dst_sel:DWORD dst_unused:UNUSED_PAD src0_sel:DWORD src1_sel:WORD_1
	v_cndmask_b32_e32 v9, v9, v10, vcc_lo
	v_lshlrev_b32_e32 v10, 8, v11
	v_and_b32_e32 v45, 3, v45
	v_lshl_add_u32 v9, v9, 23, 0x37800000
	v_and_b32_e32 v10, 0x80000000, v10
	v_cndmask_b32_e32 v8, v8, v45, vcc_lo
	v_lshlrev_b32_e32 v8, 21, v8
	v_or3_b32 v8, v10, v9, v8
.LBB6_1692:                             ;   in Loop: Header=BB6_138 Depth=3
	s_or_b32 exec_lo, exec_lo, s16
	v_mul_f32_e32 v8, s63, v8
	v_mov_b32_e32 v94, 0x80
	s_mov_b32 s72, exec_lo
	v_and_b32_e32 v9, 0x7f800000, v8
	v_cmpx_ne_u32_e32 0x7f800000, v9
	s_cbranch_execz .LBB6_1700
; %bb.1693:                             ;   in Loop: Header=BB6_138 Depth=3
	v_mov_b32_e32 v94, 0
	s_mov_b32 s73, exec_lo
	v_cmpx_ne_u32_e32 0, v8
	s_cbranch_execz .LBB6_1699
; %bb.1694:                             ;   in Loop: Header=BB6_138 Depth=3
	v_bfe_u32 v10, v8, 23, 8
	v_and_b32_e32 v9, 0x7fffff, v8
	v_cmp_gt_u32_e64 s16, 0x71, v10
	v_sub_nc_u32_e32 v45, 0x70, v10
	v_cmp_eq_u32_e32 vcc_lo, 0, v10
	v_or_b32_e32 v94, 0x800000, v9
	v_cndmask_b32_e64 v45, 0, v45, s16
	v_cndmask_b32_e32 v9, v94, v9, vcc_lo
	v_cndmask_b32_e64 v45, v45, 0x6f, vcc_lo
	v_lshl_add_u32 v94, 0x200000, v45, -1
	v_lshlrev_b32_e64 v95, v45, 0x100000
	v_and_b32_e32 v94, v94, v9
	v_cmp_eq_u32_e64 s16, v94, v95
	v_lshrrev_b32_e32 v94, v45, v9
	v_add_nc_u32_e32 v9, 0xffffff91, v10
	v_lshrrev_b32_e32 v10, 23, v94
	v_cndmask_b32_e64 v9, v9, 0xffffff92, vcc_lo
	v_xor_b32_e32 v10, 1, v10
	v_add_nc_u32_e32 v9, v45, v9
	v_bfe_u32 v45, v94, 21, 1
	v_add_nc_u32_e32 v45, -1, v45
	v_cndmask_b32_e64 v45, 0, v45, s16
	s_mov_b32 s16, exec_lo
	v_add_nc_u32_e32 v45, v45, v94
	v_and_b32_e32 v45, 0x1fffff, v45
	v_add_nc_u32_e32 v45, v45, v94
                                        ; implicit-def: $vgpr94
	v_cmpx_ne_u32_e64 v9, v10
	s_xor_b32 s16, exec_lo, s16
; %bb.1695:                             ;   in Loop: Header=BB6_138 Depth=3
	v_cmp_lt_u32_e32 vcc_lo, 0xffffff, v45
	v_sub_nc_u32_e32 v9, v9, v10
	v_cndmask_b32_e64 v10, 0, 1, vcc_lo
	v_add_co_ci_u32_e64 v94, null, 0, v9, vcc_lo
	v_lshrrev_b32_e32 v45, v10, v45
; %bb.1696:                             ;   in Loop: Header=BB6_138 Depth=3
	s_andn2_saveexec_b32 s16, s16
; %bb.1697:                             ;   in Loop: Header=BB6_138 Depth=3
	v_bfe_u32 v94, v45, 23, 1
; %bb.1698:                             ;   in Loop: Header=BB6_138 Depth=3
	s_or_b32 exec_lo, exec_lo, s16
	v_lshrrev_b32_e32 v9, 21, v45
	v_min_i32_e32 v10, 31, v94
	v_cmp_gt_i32_e32 vcc_lo, 32, v94
	v_and_b32_sdwa v8, v8, v117 dst_sel:DWORD dst_unused:UNUSED_PAD src0_sel:BYTE_3 src1_sel:DWORD
	v_lshlrev_b32_e32 v10, 2, v10
	v_cndmask_b32_e32 v9, 3, v9, vcc_lo
	v_and_b32_e32 v10, 0xfc, v10
	v_or_b32_e32 v45, v94, v9
	v_and_b32_e32 v9, 3, v9
	v_cmp_ne_u32_e32 vcc_lo, 0, v45
	v_or3_b32 v8, v10, v8, v9
	v_cndmask_b32_e32 v94, 0, v8, vcc_lo
.LBB6_1699:                             ;   in Loop: Header=BB6_138 Depth=3
	s_or_b32 exec_lo, exec_lo, s73
.LBB6_1700:                             ;   in Loop: Header=BB6_138 Depth=3
	s_or_b32 exec_lo, exec_lo, s72
	v_cmp_gt_i16_sdwa s72, v11, v116 src0_sel:BYTE_3 src1_sel:DWORD
	s_mov_b32 s16, 0
	s_and_saveexec_b32 s73, s72
	s_xor_b32 s72, exec_lo, s73
	s_cbranch_execz .LBB6_2158
; %bb.1701:                             ;   in Loop: Header=BB6_138 Depth=3
	v_cmp_eq_u16_sdwa s74, v11, v117 src0_sel:BYTE_3 src1_sel:DWORD
	s_mov_b32 s16, -1
	s_and_saveexec_b32 s73, s74
; %bb.1702:                             ;   in Loop: Header=BB6_138 Depth=3
	s_xor_b32 s16, exec_lo, -1
; %bb.1703:                             ;   in Loop: Header=BB6_138 Depth=3
	s_or_b32 exec_lo, exec_lo, s73
	s_and_b32 s16, s16, exec_lo
	s_or_saveexec_b32 s72, s72
	v_mov_b32_e32 v8, 0x7f800001
	s_xor_b32 exec_lo, exec_lo, s72
	s_cbranch_execnz .LBB6_2159
.LBB6_1704:                             ;   in Loop: Header=BB6_138 Depth=3
	s_or_b32 exec_lo, exec_lo, s72
	s_and_saveexec_b32 s72, s16
	s_cbranch_execz .LBB6_1706
.LBB6_1705:                             ;   in Loop: Header=BB6_138 Depth=3
	v_bfe_u32 v8, v11, 24, 2
	v_bfe_u32 v45, v11, 26, 5
	v_ffbh_u32_e32 v9, v8
	v_cmp_eq_u32_e32 vcc_lo, 0, v45
	v_min_u32_e32 v9, 32, v9
	v_subrev_nc_u32_e32 v10, 29, v9
	v_sub_nc_u32_e32 v9, 30, v9
	v_lshlrev_b32_sdwa v10, v10, v11 dst_sel:DWORD dst_unused:UNUSED_PAD src0_sel:DWORD src1_sel:BYTE_3
	v_cndmask_b32_e32 v9, v45, v9, vcc_lo
	v_and_b32_e32 v10, 3, v10
	v_lshl_add_u32 v9, v9, 23, 0x37800000
	v_cndmask_b32_e32 v8, v8, v10, vcc_lo
	v_and_b32_e32 v10, 0x80000000, v11
	v_lshlrev_b32_e32 v8, 21, v8
	v_or3_b32 v8, v10, v9, v8
.LBB6_1706:                             ;   in Loop: Header=BB6_138 Depth=3
	s_or_b32 exec_lo, exec_lo, s72
	v_mul_f32_e32 v8, s63, v8
	v_mov_b32_e32 v45, 0x8000
	s_mov_b32 s72, exec_lo
	v_and_b32_e32 v9, 0x7f800000, v8
	v_cmpx_ne_u32_e32 0x7f800000, v9
	s_cbranch_execz .LBB6_1714
; %bb.1707:                             ;   in Loop: Header=BB6_138 Depth=3
	v_mov_b32_e32 v45, 0
	s_mov_b32 s73, exec_lo
	v_cmpx_ne_u32_e32 0, v8
	s_cbranch_execz .LBB6_1713
; %bb.1708:                             ;   in Loop: Header=BB6_138 Depth=3
	v_bfe_u32 v10, v8, 23, 8
	v_and_b32_e32 v9, 0x7fffff, v8
	v_cmp_gt_u32_e64 s16, 0x71, v10
	v_sub_nc_u32_e32 v11, 0x70, v10
	v_cmp_eq_u32_e32 vcc_lo, 0, v10
	v_or_b32_e32 v45, 0x800000, v9
	v_cndmask_b32_e64 v11, 0, v11, s16
	v_cndmask_b32_e32 v9, v45, v9, vcc_lo
	v_cndmask_b32_e64 v11, v11, 0x6f, vcc_lo
	v_lshl_add_u32 v45, 0x200000, v11, -1
	v_lshlrev_b32_e64 v95, v11, 0x100000
	v_and_b32_e32 v45, v45, v9
	v_cmp_eq_u32_e64 s16, v45, v95
	v_lshrrev_b32_e32 v45, v11, v9
	v_add_nc_u32_e32 v9, 0xffffff91, v10
	v_lshrrev_b32_e32 v10, 23, v45
	v_cndmask_b32_e64 v9, v9, 0xffffff92, vcc_lo
	v_xor_b32_e32 v10, 1, v10
	v_add_nc_u32_e32 v9, v11, v9
	v_bfe_u32 v11, v45, 21, 1
	v_add_nc_u32_e32 v11, -1, v11
	v_cndmask_b32_e64 v11, 0, v11, s16
	s_mov_b32 s16, exec_lo
	v_add_nc_u32_e32 v11, v11, v45
	v_and_b32_e32 v11, 0x1fffff, v11
	v_add_nc_u32_e32 v11, v11, v45
                                        ; implicit-def: $vgpr45
	v_cmpx_ne_u32_e64 v9, v10
	s_xor_b32 s16, exec_lo, s16
; %bb.1709:                             ;   in Loop: Header=BB6_138 Depth=3
	v_cmp_lt_u32_e32 vcc_lo, 0xffffff, v11
	v_sub_nc_u32_e32 v9, v9, v10
	v_cndmask_b32_e64 v10, 0, 1, vcc_lo
	v_add_co_ci_u32_e64 v45, null, 0, v9, vcc_lo
	v_lshrrev_b32_e32 v11, v10, v11
; %bb.1710:                             ;   in Loop: Header=BB6_138 Depth=3
	s_andn2_saveexec_b32 s16, s16
; %bb.1711:                             ;   in Loop: Header=BB6_138 Depth=3
	v_bfe_u32 v45, v11, 23, 1
; %bb.1712:                             ;   in Loop: Header=BB6_138 Depth=3
	s_or_b32 exec_lo, exec_lo, s16
	v_lshrrev_b32_e32 v9, 21, v11
	v_min_i32_e32 v10, 31, v45
	v_cmp_gt_i32_e32 vcc_lo, 32, v45
	v_and_b32_sdwa v8, v8, v117 dst_sel:DWORD dst_unused:UNUSED_PAD src0_sel:BYTE_3 src1_sel:DWORD
	v_lshlrev_b32_e32 v10, 2, v10
	v_cndmask_b32_e32 v9, 3, v9, vcc_lo
	v_and_b32_e32 v10, 0xfc, v10
	v_or_b32_e32 v11, v45, v9
	v_and_b32_e32 v9, 3, v9
	v_cmp_ne_u32_e32 vcc_lo, 0, v11
	v_or3_b32 v8, v8, v10, v9
	v_lshlrev_b32_e32 v8, 8, v8
	v_cndmask_b32_e32 v45, 0, v8, vcc_lo
.LBB6_1713:                             ;   in Loop: Header=BB6_138 Depth=3
	s_or_b32 exec_lo, exec_lo, s73
.LBB6_1714:                             ;   in Loop: Header=BB6_138 Depth=3
	s_or_b32 exec_lo, exec_lo, s72
	global_load_dwordx4 v[8:11], v[68:69], off offset:1536 slc
	s_mov_b32 s72, 0
	s_waitcnt vmcnt(0)
	v_cmp_gt_i16_sdwa s16, v8, v116 src0_sel:BYTE_0 src1_sel:DWORD
	s_and_saveexec_b32 s73, s16
	s_xor_b32 s16, exec_lo, s73
	s_cbranch_execz .LBB6_2160
; %bb.1715:                             ;   in Loop: Header=BB6_138 Depth=3
	v_cmp_eq_u16_sdwa s74, v8, v117 src0_sel:BYTE_0 src1_sel:DWORD
	s_mov_b32 s72, -1
	s_and_saveexec_b32 s73, s74
; %bb.1716:                             ;   in Loop: Header=BB6_138 Depth=3
	s_xor_b32 s72, exec_lo, -1
; %bb.1717:                             ;   in Loop: Header=BB6_138 Depth=3
	s_or_b32 exec_lo, exec_lo, s73
	s_and_b32 s72, s72, exec_lo
	s_or_saveexec_b32 s16, s16
	v_mov_b32_e32 v68, 0x7f800001
	s_xor_b32 exec_lo, exec_lo, s16
	s_cbranch_execnz .LBB6_2161
.LBB6_1718:                             ;   in Loop: Header=BB6_138 Depth=3
	s_or_b32 exec_lo, exec_lo, s16
	s_and_saveexec_b32 s16, s72
	s_cbranch_execz .LBB6_1720
.LBB6_1719:                             ;   in Loop: Header=BB6_138 Depth=3
	v_and_b32_e32 v68, 3, v8
	v_bfe_u32 v69, v8, 2, 5
	v_ffbh_u32_e32 v95, v68
	v_cmp_eq_u32_e32 vcc_lo, 0, v69
	v_min_u32_e32 v95, 32, v95
	v_subrev_nc_u32_e32 v104, 29, v95
	v_sub_nc_u32_e32 v95, 30, v95
	v_lshlrev_b32_e32 v104, v104, v8
	v_cndmask_b32_e32 v69, v69, v95, vcc_lo
	v_lshlrev_b32_e32 v95, 24, v8
	v_and_b32_e32 v104, 3, v104
	v_lshl_add_u32 v69, v69, 23, 0x37800000
	v_and_b32_e32 v95, 0x80000000, v95
	v_cndmask_b32_e32 v68, v68, v104, vcc_lo
	v_lshlrev_b32_e32 v68, 21, v68
	v_or3_b32 v68, v95, v69, v68
.LBB6_1720:                             ;   in Loop: Header=BB6_138 Depth=3
	s_or_b32 exec_lo, exec_lo, s16
	v_mul_f32_e32 v69, s63, v68
	v_and_b32_e32 v68, 0x7f800000, v69
	v_cmp_ne_u32_e32 vcc_lo, 0x7f800000, v68
	v_mov_b32_e32 v68, 0x80
	s_and_saveexec_b32 s72, vcc_lo
	s_cbranch_execz .LBB6_1728
; %bb.1721:                             ;   in Loop: Header=BB6_138 Depth=3
	v_mov_b32_e32 v68, 0
	s_mov_b32 s73, exec_lo
	v_cmpx_ne_u32_e32 0, v69
	s_cbranch_execz .LBB6_1727
; %bb.1722:                             ;   in Loop: Header=BB6_138 Depth=3
	v_bfe_u32 v95, v69, 23, 8
	v_and_b32_e32 v68, 0x7fffff, v69
	v_cmp_gt_u32_e64 s16, 0x71, v95
	v_sub_nc_u32_e32 v104, 0x70, v95
	v_cmp_eq_u32_e32 vcc_lo, 0, v95
	v_or_b32_e32 v105, 0x800000, v68
	v_cndmask_b32_e64 v104, 0, v104, s16
	v_cndmask_b32_e32 v68, v105, v68, vcc_lo
	v_cndmask_b32_e64 v104, v104, 0x6f, vcc_lo
	v_lshl_add_u32 v105, 0x200000, v104, -1
	v_lshlrev_b32_e64 v106, v104, 0x100000
	v_and_b32_e32 v105, v105, v68
	v_cmp_eq_u32_e64 s16, v105, v106
	v_lshrrev_b32_e32 v105, v104, v68
	v_add_nc_u32_e32 v68, 0xffffff91, v95
	v_lshrrev_b32_e32 v95, 23, v105
	v_cndmask_b32_e64 v68, v68, 0xffffff92, vcc_lo
	v_xor_b32_e32 v95, 1, v95
	v_add_nc_u32_e32 v68, v104, v68
	v_bfe_u32 v104, v105, 21, 1
	v_add_nc_u32_e32 v104, -1, v104
	v_cndmask_b32_e64 v104, 0, v104, s16
	s_mov_b32 s16, exec_lo
	v_add_nc_u32_e32 v104, v104, v105
	v_and_b32_e32 v104, 0x1fffff, v104
	v_add_nc_u32_e32 v104, v104, v105
                                        ; implicit-def: $vgpr105
	v_cmpx_ne_u32_e64 v68, v95
	s_xor_b32 s16, exec_lo, s16
; %bb.1723:                             ;   in Loop: Header=BB6_138 Depth=3
	v_cmp_lt_u32_e32 vcc_lo, 0xffffff, v104
	v_sub_nc_u32_e32 v68, v68, v95
	v_cndmask_b32_e64 v95, 0, 1, vcc_lo
	v_add_co_ci_u32_e64 v105, null, 0, v68, vcc_lo
	v_lshrrev_b32_e32 v104, v95, v104
; %bb.1724:                             ;   in Loop: Header=BB6_138 Depth=3
	s_andn2_saveexec_b32 s16, s16
; %bb.1725:                             ;   in Loop: Header=BB6_138 Depth=3
	v_bfe_u32 v105, v104, 23, 1
; %bb.1726:                             ;   in Loop: Header=BB6_138 Depth=3
	s_or_b32 exec_lo, exec_lo, s16
	v_and_b32_sdwa v68, v69, v117 dst_sel:DWORD dst_unused:UNUSED_PAD src0_sel:BYTE_3 src1_sel:DWORD
	v_lshrrev_b32_e32 v69, 21, v104
	v_min_i32_e32 v95, 31, v105
	v_cmp_gt_i32_e32 vcc_lo, 32, v105
	v_lshlrev_b32_e32 v95, 2, v95
	v_cndmask_b32_e32 v69, 3, v69, vcc_lo
	v_and_b32_e32 v95, 0xfc, v95
	v_or_b32_e32 v104, v105, v69
	v_and_b32_e32 v69, 3, v69
	v_cmp_ne_u32_e32 vcc_lo, 0, v104
	v_or3_b32 v68, v95, v68, v69
	v_cndmask_b32_e32 v68, 0, v68, vcc_lo
.LBB6_1727:                             ;   in Loop: Header=BB6_138 Depth=3
	s_or_b32 exec_lo, exec_lo, s73
.LBB6_1728:                             ;   in Loop: Header=BB6_138 Depth=3
	s_or_b32 exec_lo, exec_lo, s72
	v_cmp_gt_i16_sdwa s72, v8, v116 src0_sel:BYTE_1 src1_sel:DWORD
	s_mov_b32 s16, 0
	s_and_saveexec_b32 s73, s72
	s_xor_b32 s72, exec_lo, s73
	s_cbranch_execz .LBB6_2162
; %bb.1729:                             ;   in Loop: Header=BB6_138 Depth=3
	v_cmp_eq_u16_sdwa s74, v8, v117 src0_sel:BYTE_1 src1_sel:DWORD
	s_mov_b32 s16, -1
	s_and_saveexec_b32 s73, s74
; %bb.1730:                             ;   in Loop: Header=BB6_138 Depth=3
	s_xor_b32 s16, exec_lo, -1
; %bb.1731:                             ;   in Loop: Header=BB6_138 Depth=3
	s_or_b32 exec_lo, exec_lo, s73
	s_and_b32 s16, s16, exec_lo
	s_or_saveexec_b32 s72, s72
	v_mov_b32_e32 v69, 0x7f800001
	s_xor_b32 exec_lo, exec_lo, s72
	s_cbranch_execnz .LBB6_2163
.LBB6_1732:                             ;   in Loop: Header=BB6_138 Depth=3
	s_or_b32 exec_lo, exec_lo, s72
	s_and_saveexec_b32 s72, s16
	s_cbranch_execz .LBB6_1734
.LBB6_1733:                             ;   in Loop: Header=BB6_138 Depth=3
	v_and_b32_sdwa v69, v118, v8 dst_sel:DWORD dst_unused:UNUSED_PAD src0_sel:DWORD src1_sel:BYTE_1
	v_and_b32_e32 v95, 3, v69
	v_bfe_u32 v106, v69, 2, 5
	v_ffbh_u32_e32 v104, v95
	v_cmp_eq_u32_e32 vcc_lo, 0, v106
	v_min_u32_e32 v104, 32, v104
	v_subrev_nc_u32_e32 v105, 29, v104
	v_sub_nc_u32_e32 v104, 30, v104
	v_lshlrev_b32_e32 v69, v105, v69
	v_lshlrev_b32_sdwa v105, v119, v8 dst_sel:DWORD dst_unused:UNUSED_PAD src0_sel:DWORD src1_sel:BYTE_1
	v_cndmask_b32_e32 v104, v106, v104, vcc_lo
	v_and_b32_e32 v69, 3, v69
	v_lshl_add_u32 v104, v104, 23, 0x37800000
	v_cndmask_b32_e32 v69, v95, v69, vcc_lo
	v_and_b32_e32 v95, 0x80000000, v105
	v_lshlrev_b32_e32 v69, 21, v69
	v_or3_b32 v69, v95, v104, v69
.LBB6_1734:                             ;   in Loop: Header=BB6_138 Depth=3
	s_or_b32 exec_lo, exec_lo, s72
	v_mul_f32_e32 v95, s63, v69
	v_and_b32_e32 v69, 0x7f800000, v95
	v_cmp_ne_u32_e32 vcc_lo, 0x7f800000, v69
	v_mov_b32_e32 v69, 0x8000
	s_and_saveexec_b32 s72, vcc_lo
	s_cbranch_execz .LBB6_1742
; %bb.1735:                             ;   in Loop: Header=BB6_138 Depth=3
	v_mov_b32_e32 v69, 0
	s_mov_b32 s73, exec_lo
	v_cmpx_ne_u32_e32 0, v95
	s_cbranch_execz .LBB6_1741
; %bb.1736:                             ;   in Loop: Header=BB6_138 Depth=3
	v_bfe_u32 v104, v95, 23, 8
	v_and_b32_e32 v69, 0x7fffff, v95
	v_cmp_gt_u32_e64 s16, 0x71, v104
	v_sub_nc_u32_e32 v105, 0x70, v104
	v_cmp_eq_u32_e32 vcc_lo, 0, v104
	v_or_b32_e32 v106, 0x800000, v69
	v_cndmask_b32_e64 v105, 0, v105, s16
	v_cndmask_b32_e32 v69, v106, v69, vcc_lo
	v_cndmask_b32_e64 v105, v105, 0x6f, vcc_lo
	v_lshl_add_u32 v106, 0x200000, v105, -1
	v_lshlrev_b32_e64 v107, v105, 0x100000
	v_and_b32_e32 v106, v106, v69
	v_cmp_eq_u32_e64 s16, v106, v107
	v_lshrrev_b32_e32 v106, v105, v69
	v_add_nc_u32_e32 v69, 0xffffff91, v104
	v_lshrrev_b32_e32 v104, 23, v106
	v_cndmask_b32_e64 v69, v69, 0xffffff92, vcc_lo
	v_xor_b32_e32 v104, 1, v104
	v_add_nc_u32_e32 v69, v105, v69
	v_bfe_u32 v105, v106, 21, 1
	v_add_nc_u32_e32 v105, -1, v105
	v_cndmask_b32_e64 v105, 0, v105, s16
	s_mov_b32 s16, exec_lo
	v_add_nc_u32_e32 v105, v105, v106
	v_and_b32_e32 v105, 0x1fffff, v105
	v_add_nc_u32_e32 v105, v105, v106
                                        ; implicit-def: $vgpr106
	v_cmpx_ne_u32_e64 v69, v104
	s_xor_b32 s16, exec_lo, s16
; %bb.1737:                             ;   in Loop: Header=BB6_138 Depth=3
	v_cmp_lt_u32_e32 vcc_lo, 0xffffff, v105
	v_sub_nc_u32_e32 v69, v69, v104
	v_cndmask_b32_e64 v104, 0, 1, vcc_lo
	v_add_co_ci_u32_e64 v106, null, 0, v69, vcc_lo
	v_lshrrev_b32_e32 v105, v104, v105
; %bb.1738:                             ;   in Loop: Header=BB6_138 Depth=3
	s_andn2_saveexec_b32 s16, s16
; %bb.1739:                             ;   in Loop: Header=BB6_138 Depth=3
	v_bfe_u32 v106, v105, 23, 1
; %bb.1740:                             ;   in Loop: Header=BB6_138 Depth=3
	s_or_b32 exec_lo, exec_lo, s16
	v_and_b32_sdwa v69, v95, v117 dst_sel:DWORD dst_unused:UNUSED_PAD src0_sel:BYTE_3 src1_sel:DWORD
	v_lshrrev_b32_e32 v95, 21, v105
	v_min_i32_e32 v104, 31, v106
	v_cmp_gt_i32_e32 vcc_lo, 32, v106
	v_lshlrev_b32_e32 v104, 2, v104
	v_cndmask_b32_e32 v95, 3, v95, vcc_lo
	v_and_b32_e32 v104, 0xfc, v104
	v_or_b32_e32 v105, v106, v95
	v_and_b32_e32 v95, 3, v95
	v_cmp_ne_u32_e32 vcc_lo, 0, v105
	v_or3_b32 v69, v69, v104, v95
	v_lshlrev_b32_e32 v69, 8, v69
	v_cndmask_b32_e32 v69, 0, v69, vcc_lo
.LBB6_1741:                             ;   in Loop: Header=BB6_138 Depth=3
	s_or_b32 exec_lo, exec_lo, s73
.LBB6_1742:                             ;   in Loop: Header=BB6_138 Depth=3
	s_or_b32 exec_lo, exec_lo, s72
	v_and_b32_sdwa v104, v8, v40 dst_sel:DWORD dst_unused:UNUSED_PAD src0_sel:WORD_1 src1_sel:DWORD
	s_mov_b32 s72, 0
	s_mov_b32 s16, exec_lo
	v_cmpx_lt_i16_e32 0x7f, v104
	s_xor_b32 s16, exec_lo, s16
	s_cbranch_execz .LBB6_2164
; %bb.1743:                             ;   in Loop: Header=BB6_138 Depth=3
	s_mov_b32 s72, -1
	s_mov_b32 s73, exec_lo
	v_cmpx_eq_u16_e32 0x80, v104
; %bb.1744:                             ;   in Loop: Header=BB6_138 Depth=3
	s_xor_b32 s72, exec_lo, -1
; %bb.1745:                             ;   in Loop: Header=BB6_138 Depth=3
	s_or_b32 exec_lo, exec_lo, s73
	s_and_b32 s72, s72, exec_lo
                                        ; implicit-def: $vgpr104
	s_or_saveexec_b32 s16, s16
	v_mov_b32_e32 v95, 0x7f800001
	s_xor_b32 exec_lo, exec_lo, s16
	s_cbranch_execnz .LBB6_2165
.LBB6_1746:                             ;   in Loop: Header=BB6_138 Depth=3
	s_or_b32 exec_lo, exec_lo, s16
	s_and_saveexec_b32 s16, s72
	s_cbranch_execz .LBB6_1748
.LBB6_1747:                             ;   in Loop: Header=BB6_138 Depth=3
	v_bfe_u32 v95, v8, 16, 2
	v_bfe_u32 v104, v8, 18, 5
	v_ffbh_u32_e32 v105, v95
	v_cmp_eq_u32_e32 vcc_lo, 0, v104
	v_min_u32_e32 v105, 32, v105
	v_subrev_nc_u32_e32 v106, 29, v105
	v_sub_nc_u32_e32 v105, 30, v105
	v_lshlrev_b32_sdwa v106, v106, v8 dst_sel:DWORD dst_unused:UNUSED_PAD src0_sel:DWORD src1_sel:WORD_1
	v_cndmask_b32_e32 v104, v104, v105, vcc_lo
	v_lshlrev_b32_e32 v105, 8, v8
	v_and_b32_e32 v106, 3, v106
	v_lshl_add_u32 v104, v104, 23, 0x37800000
	v_and_b32_e32 v105, 0x80000000, v105
	v_cndmask_b32_e32 v95, v95, v106, vcc_lo
	v_lshlrev_b32_e32 v95, 21, v95
	v_or3_b32 v95, v105, v104, v95
.LBB6_1748:                             ;   in Loop: Header=BB6_138 Depth=3
	s_or_b32 exec_lo, exec_lo, s16
	v_mul_f32_e32 v104, s63, v95
	v_and_b32_e32 v95, 0x7f800000, v104
	v_cmp_ne_u32_e32 vcc_lo, 0x7f800000, v95
	v_mov_b32_e32 v95, 0x80
	s_and_saveexec_b32 s72, vcc_lo
	s_cbranch_execz .LBB6_1756
; %bb.1749:                             ;   in Loop: Header=BB6_138 Depth=3
	v_mov_b32_e32 v95, 0
	s_mov_b32 s73, exec_lo
	v_cmpx_ne_u32_e32 0, v104
	s_cbranch_execz .LBB6_1755
; %bb.1750:                             ;   in Loop: Header=BB6_138 Depth=3
	v_bfe_u32 v105, v104, 23, 8
	v_and_b32_e32 v95, 0x7fffff, v104
	v_cmp_gt_u32_e64 s16, 0x71, v105
	v_sub_nc_u32_e32 v106, 0x70, v105
	v_cmp_eq_u32_e32 vcc_lo, 0, v105
	v_or_b32_e32 v107, 0x800000, v95
	v_cndmask_b32_e64 v106, 0, v106, s16
	v_cndmask_b32_e32 v95, v107, v95, vcc_lo
	v_cndmask_b32_e64 v106, v106, 0x6f, vcc_lo
	v_lshl_add_u32 v107, 0x200000, v106, -1
	v_lshlrev_b32_e64 v108, v106, 0x100000
	v_and_b32_e32 v107, v107, v95
	v_cmp_eq_u32_e64 s16, v107, v108
	v_lshrrev_b32_e32 v107, v106, v95
	v_add_nc_u32_e32 v95, 0xffffff91, v105
	v_lshrrev_b32_e32 v105, 23, v107
	v_cndmask_b32_e64 v95, v95, 0xffffff92, vcc_lo
	v_xor_b32_e32 v105, 1, v105
	v_add_nc_u32_e32 v95, v106, v95
	v_bfe_u32 v106, v107, 21, 1
	v_add_nc_u32_e32 v106, -1, v106
	v_cndmask_b32_e64 v106, 0, v106, s16
	s_mov_b32 s16, exec_lo
	v_add_nc_u32_e32 v106, v106, v107
	v_and_b32_e32 v106, 0x1fffff, v106
	v_add_nc_u32_e32 v106, v106, v107
                                        ; implicit-def: $vgpr107
	v_cmpx_ne_u32_e64 v95, v105
	s_xor_b32 s16, exec_lo, s16
; %bb.1751:                             ;   in Loop: Header=BB6_138 Depth=3
	v_cmp_lt_u32_e32 vcc_lo, 0xffffff, v106
	v_sub_nc_u32_e32 v95, v95, v105
	v_cndmask_b32_e64 v105, 0, 1, vcc_lo
	v_add_co_ci_u32_e64 v107, null, 0, v95, vcc_lo
	v_lshrrev_b32_e32 v106, v105, v106
; %bb.1752:                             ;   in Loop: Header=BB6_138 Depth=3
	s_andn2_saveexec_b32 s16, s16
; %bb.1753:                             ;   in Loop: Header=BB6_138 Depth=3
	v_bfe_u32 v107, v106, 23, 1
; %bb.1754:                             ;   in Loop: Header=BB6_138 Depth=3
	s_or_b32 exec_lo, exec_lo, s16
	v_and_b32_sdwa v95, v104, v117 dst_sel:DWORD dst_unused:UNUSED_PAD src0_sel:BYTE_3 src1_sel:DWORD
	v_lshrrev_b32_e32 v104, 21, v106
	v_min_i32_e32 v105, 31, v107
	v_cmp_gt_i32_e32 vcc_lo, 32, v107
	v_lshlrev_b32_e32 v105, 2, v105
	v_cndmask_b32_e32 v104, 3, v104, vcc_lo
	v_and_b32_e32 v105, 0xfc, v105
	v_or_b32_e32 v106, v107, v104
	v_and_b32_e32 v104, 3, v104
	v_cmp_ne_u32_e32 vcc_lo, 0, v106
	v_or3_b32 v95, v105, v95, v104
	v_cndmask_b32_e32 v95, 0, v95, vcc_lo
.LBB6_1755:                             ;   in Loop: Header=BB6_138 Depth=3
	s_or_b32 exec_lo, exec_lo, s73
.LBB6_1756:                             ;   in Loop: Header=BB6_138 Depth=3
	s_or_b32 exec_lo, exec_lo, s72
	v_cmp_gt_i16_sdwa s72, v8, v116 src0_sel:BYTE_3 src1_sel:DWORD
	s_mov_b32 s16, 0
	s_and_saveexec_b32 s73, s72
	s_xor_b32 s72, exec_lo, s73
	s_cbranch_execz .LBB6_2166
; %bb.1757:                             ;   in Loop: Header=BB6_138 Depth=3
	v_cmp_eq_u16_sdwa s74, v8, v117 src0_sel:BYTE_3 src1_sel:DWORD
	s_mov_b32 s16, -1
	s_and_saveexec_b32 s73, s74
; %bb.1758:                             ;   in Loop: Header=BB6_138 Depth=3
	s_xor_b32 s16, exec_lo, -1
; %bb.1759:                             ;   in Loop: Header=BB6_138 Depth=3
	s_or_b32 exec_lo, exec_lo, s73
	s_and_b32 s16, s16, exec_lo
	s_or_saveexec_b32 s72, s72
	v_mov_b32_e32 v104, 0x7f800001
	s_xor_b32 exec_lo, exec_lo, s72
	s_cbranch_execnz .LBB6_2167
.LBB6_1760:                             ;   in Loop: Header=BB6_138 Depth=3
	s_or_b32 exec_lo, exec_lo, s72
	s_and_saveexec_b32 s72, s16
	s_cbranch_execz .LBB6_1762
.LBB6_1761:                             ;   in Loop: Header=BB6_138 Depth=3
	v_bfe_u32 v104, v8, 24, 2
	v_bfe_u32 v107, v8, 26, 5
	v_ffbh_u32_e32 v105, v104
	v_cmp_eq_u32_e32 vcc_lo, 0, v107
	v_min_u32_e32 v105, 32, v105
	v_subrev_nc_u32_e32 v106, 29, v105
	v_sub_nc_u32_e32 v105, 30, v105
	v_lshlrev_b32_sdwa v106, v106, v8 dst_sel:DWORD dst_unused:UNUSED_PAD src0_sel:DWORD src1_sel:BYTE_3
	v_cndmask_b32_e32 v105, v107, v105, vcc_lo
	v_and_b32_e32 v8, 0x80000000, v8
	v_and_b32_e32 v106, 3, v106
	v_lshl_add_u32 v105, v105, 23, 0x37800000
	v_cndmask_b32_e32 v104, v104, v106, vcc_lo
	v_lshlrev_b32_e32 v104, 21, v104
	v_or3_b32 v104, v8, v105, v104
.LBB6_1762:                             ;   in Loop: Header=BB6_138 Depth=3
	s_or_b32 exec_lo, exec_lo, s72
	v_mul_f32_e32 v104, s63, v104
	v_and_b32_e32 v8, 0x7f800000, v104
	v_cmp_ne_u32_e32 vcc_lo, 0x7f800000, v8
	v_mov_b32_e32 v8, 0x8000
	s_and_saveexec_b32 s72, vcc_lo
	s_cbranch_execz .LBB6_1770
; %bb.1763:                             ;   in Loop: Header=BB6_138 Depth=3
	v_mov_b32_e32 v8, 0
	s_mov_b32 s73, exec_lo
	v_cmpx_ne_u32_e32 0, v104
	s_cbranch_execz .LBB6_1769
; %bb.1764:                             ;   in Loop: Header=BB6_138 Depth=3
	v_bfe_u32 v105, v104, 23, 8
	v_and_b32_e32 v8, 0x7fffff, v104
	v_cmp_gt_u32_e64 s16, 0x71, v105
	v_sub_nc_u32_e32 v106, 0x70, v105
	v_cmp_eq_u32_e32 vcc_lo, 0, v105
	v_or_b32_e32 v107, 0x800000, v8
	v_cndmask_b32_e64 v106, 0, v106, s16
	v_cndmask_b32_e32 v8, v107, v8, vcc_lo
	v_cndmask_b32_e64 v106, v106, 0x6f, vcc_lo
	v_lshl_add_u32 v107, 0x200000, v106, -1
	v_lshlrev_b32_e64 v108, v106, 0x100000
	v_and_b32_e32 v107, v107, v8
	v_cmp_eq_u32_e64 s16, v107, v108
	v_lshrrev_b32_e32 v107, v106, v8
	v_add_nc_u32_e32 v8, 0xffffff91, v105
	v_lshrrev_b32_e32 v105, 23, v107
	v_cndmask_b32_e64 v8, v8, 0xffffff92, vcc_lo
	v_xor_b32_e32 v105, 1, v105
	v_add_nc_u32_e32 v8, v106, v8
	v_bfe_u32 v106, v107, 21, 1
	v_add_nc_u32_e32 v106, -1, v106
	v_cndmask_b32_e64 v106, 0, v106, s16
	s_mov_b32 s16, exec_lo
	v_add_nc_u32_e32 v106, v106, v107
	v_and_b32_e32 v106, 0x1fffff, v106
	v_add_nc_u32_e32 v106, v106, v107
                                        ; implicit-def: $vgpr107
	v_cmpx_ne_u32_e64 v8, v105
	s_xor_b32 s16, exec_lo, s16
; %bb.1765:                             ;   in Loop: Header=BB6_138 Depth=3
	v_cmp_lt_u32_e32 vcc_lo, 0xffffff, v106
	v_sub_nc_u32_e32 v8, v8, v105
	v_cndmask_b32_e64 v105, 0, 1, vcc_lo
	v_add_co_ci_u32_e64 v107, null, 0, v8, vcc_lo
	v_lshrrev_b32_e32 v106, v105, v106
; %bb.1766:                             ;   in Loop: Header=BB6_138 Depth=3
	s_andn2_saveexec_b32 s16, s16
; %bb.1767:                             ;   in Loop: Header=BB6_138 Depth=3
	v_bfe_u32 v107, v106, 23, 1
; %bb.1768:                             ;   in Loop: Header=BB6_138 Depth=3
	s_or_b32 exec_lo, exec_lo, s16
	v_and_b32_sdwa v8, v104, v117 dst_sel:DWORD dst_unused:UNUSED_PAD src0_sel:BYTE_3 src1_sel:DWORD
	v_lshrrev_b32_e32 v104, 21, v106
	v_min_i32_e32 v105, 31, v107
	v_cmp_gt_i32_e32 vcc_lo, 32, v107
	v_lshlrev_b32_e32 v105, 2, v105
	v_cndmask_b32_e32 v104, 3, v104, vcc_lo
	v_and_b32_e32 v105, 0xfc, v105
	v_or_b32_e32 v106, v107, v104
	v_and_b32_e32 v104, 3, v104
	v_cmp_ne_u32_e32 vcc_lo, 0, v106
	v_or3_b32 v8, v8, v105, v104
	v_lshlrev_b32_e32 v8, 8, v8
	v_cndmask_b32_e32 v8, 0, v8, vcc_lo
.LBB6_1769:                             ;   in Loop: Header=BB6_138 Depth=3
	s_or_b32 exec_lo, exec_lo, s73
.LBB6_1770:                             ;   in Loop: Header=BB6_138 Depth=3
	s_or_b32 exec_lo, exec_lo, s72
	v_cmp_gt_i16_sdwa s16, v9, v116 src0_sel:BYTE_0 src1_sel:DWORD
	s_mov_b32 s72, 0
	s_and_saveexec_b32 s73, s16
	s_xor_b32 s16, exec_lo, s73
	s_cbranch_execz .LBB6_2168
; %bb.1771:                             ;   in Loop: Header=BB6_138 Depth=3
	v_cmp_eq_u16_sdwa s74, v9, v117 src0_sel:BYTE_0 src1_sel:DWORD
	s_mov_b32 s72, -1
	s_and_saveexec_b32 s73, s74
; %bb.1772:                             ;   in Loop: Header=BB6_138 Depth=3
	s_xor_b32 s72, exec_lo, -1
; %bb.1773:                             ;   in Loop: Header=BB6_138 Depth=3
	s_or_b32 exec_lo, exec_lo, s73
	s_and_b32 s72, s72, exec_lo
	s_or_saveexec_b32 s16, s16
	v_mov_b32_e32 v104, 0x7f800001
	s_xor_b32 exec_lo, exec_lo, s16
	s_cbranch_execnz .LBB6_2169
.LBB6_1774:                             ;   in Loop: Header=BB6_138 Depth=3
	s_or_b32 exec_lo, exec_lo, s16
	s_and_saveexec_b32 s16, s72
	s_cbranch_execz .LBB6_1776
.LBB6_1775:                             ;   in Loop: Header=BB6_138 Depth=3
	v_and_b32_e32 v104, 3, v9
	v_bfe_u32 v105, v9, 2, 5
	v_ffbh_u32_e32 v106, v104
	v_cmp_eq_u32_e32 vcc_lo, 0, v105
	v_min_u32_e32 v106, 32, v106
	v_subrev_nc_u32_e32 v107, 29, v106
	v_sub_nc_u32_e32 v106, 30, v106
	v_lshlrev_b32_e32 v107, v107, v9
	v_cndmask_b32_e32 v105, v105, v106, vcc_lo
	v_lshlrev_b32_e32 v106, 24, v9
	v_and_b32_e32 v107, 3, v107
	v_lshl_add_u32 v105, v105, 23, 0x37800000
	v_and_b32_e32 v106, 0x80000000, v106
	v_cndmask_b32_e32 v104, v104, v107, vcc_lo
	v_lshlrev_b32_e32 v104, 21, v104
	v_or3_b32 v104, v106, v105, v104
.LBB6_1776:                             ;   in Loop: Header=BB6_138 Depth=3
	s_or_b32 exec_lo, exec_lo, s16
	v_mul_f32_e32 v105, s63, v104
	v_and_b32_e32 v104, 0x7f800000, v105
	v_cmp_ne_u32_e32 vcc_lo, 0x7f800000, v104
	v_mov_b32_e32 v104, 0x80
	s_and_saveexec_b32 s72, vcc_lo
	s_cbranch_execz .LBB6_1784
; %bb.1777:                             ;   in Loop: Header=BB6_138 Depth=3
	v_mov_b32_e32 v104, 0
	s_mov_b32 s73, exec_lo
	v_cmpx_ne_u32_e32 0, v105
	s_cbranch_execz .LBB6_1783
; %bb.1778:                             ;   in Loop: Header=BB6_138 Depth=3
	v_bfe_u32 v106, v105, 23, 8
	v_and_b32_e32 v104, 0x7fffff, v105
	v_cmp_gt_u32_e64 s16, 0x71, v106
	v_sub_nc_u32_e32 v107, 0x70, v106
	v_cmp_eq_u32_e32 vcc_lo, 0, v106
	v_or_b32_e32 v108, 0x800000, v104
	v_cndmask_b32_e64 v107, 0, v107, s16
	v_cndmask_b32_e32 v104, v108, v104, vcc_lo
	v_cndmask_b32_e64 v107, v107, 0x6f, vcc_lo
	v_lshl_add_u32 v108, 0x200000, v107, -1
	v_lshlrev_b32_e64 v109, v107, 0x100000
	v_and_b32_e32 v108, v108, v104
	v_cmp_eq_u32_e64 s16, v108, v109
	v_lshrrev_b32_e32 v108, v107, v104
	v_add_nc_u32_e32 v104, 0xffffff91, v106
	v_lshrrev_b32_e32 v106, 23, v108
	v_cndmask_b32_e64 v104, v104, 0xffffff92, vcc_lo
	v_xor_b32_e32 v106, 1, v106
	v_add_nc_u32_e32 v104, v107, v104
	v_bfe_u32 v107, v108, 21, 1
	v_add_nc_u32_e32 v107, -1, v107
	v_cndmask_b32_e64 v107, 0, v107, s16
	s_mov_b32 s16, exec_lo
	v_add_nc_u32_e32 v107, v107, v108
	v_and_b32_e32 v107, 0x1fffff, v107
	v_add_nc_u32_e32 v107, v107, v108
                                        ; implicit-def: $vgpr108
	v_cmpx_ne_u32_e64 v104, v106
	s_xor_b32 s16, exec_lo, s16
; %bb.1779:                             ;   in Loop: Header=BB6_138 Depth=3
	v_cmp_lt_u32_e32 vcc_lo, 0xffffff, v107
	v_sub_nc_u32_e32 v104, v104, v106
	v_cndmask_b32_e64 v106, 0, 1, vcc_lo
	v_add_co_ci_u32_e64 v108, null, 0, v104, vcc_lo
	v_lshrrev_b32_e32 v107, v106, v107
; %bb.1780:                             ;   in Loop: Header=BB6_138 Depth=3
	s_andn2_saveexec_b32 s16, s16
; %bb.1781:                             ;   in Loop: Header=BB6_138 Depth=3
	v_bfe_u32 v108, v107, 23, 1
; %bb.1782:                             ;   in Loop: Header=BB6_138 Depth=3
	s_or_b32 exec_lo, exec_lo, s16
	v_and_b32_sdwa v104, v105, v117 dst_sel:DWORD dst_unused:UNUSED_PAD src0_sel:BYTE_3 src1_sel:DWORD
	v_lshrrev_b32_e32 v105, 21, v107
	v_min_i32_e32 v106, 31, v108
	v_cmp_gt_i32_e32 vcc_lo, 32, v108
	v_lshlrev_b32_e32 v106, 2, v106
	v_cndmask_b32_e32 v105, 3, v105, vcc_lo
	v_and_b32_e32 v106, 0xfc, v106
	v_or_b32_e32 v107, v108, v105
	v_and_b32_e32 v105, 3, v105
	v_cmp_ne_u32_e32 vcc_lo, 0, v107
	v_or3_b32 v104, v106, v104, v105
	v_cndmask_b32_e32 v104, 0, v104, vcc_lo
.LBB6_1783:                             ;   in Loop: Header=BB6_138 Depth=3
	s_or_b32 exec_lo, exec_lo, s73
.LBB6_1784:                             ;   in Loop: Header=BB6_138 Depth=3
	s_or_b32 exec_lo, exec_lo, s72
	v_cmp_gt_i16_sdwa s72, v9, v116 src0_sel:BYTE_1 src1_sel:DWORD
	s_mov_b32 s16, 0
	s_and_saveexec_b32 s73, s72
	s_xor_b32 s72, exec_lo, s73
	s_cbranch_execz .LBB6_2170
; %bb.1785:                             ;   in Loop: Header=BB6_138 Depth=3
	v_cmp_eq_u16_sdwa s74, v9, v117 src0_sel:BYTE_1 src1_sel:DWORD
	s_mov_b32 s16, -1
	s_and_saveexec_b32 s73, s74
; %bb.1786:                             ;   in Loop: Header=BB6_138 Depth=3
	s_xor_b32 s16, exec_lo, -1
; %bb.1787:                             ;   in Loop: Header=BB6_138 Depth=3
	s_or_b32 exec_lo, exec_lo, s73
	s_and_b32 s16, s16, exec_lo
	s_or_saveexec_b32 s72, s72
	v_mov_b32_e32 v105, 0x7f800001
	s_xor_b32 exec_lo, exec_lo, s72
	s_cbranch_execnz .LBB6_2171
.LBB6_1788:                             ;   in Loop: Header=BB6_138 Depth=3
	s_or_b32 exec_lo, exec_lo, s72
	s_and_saveexec_b32 s72, s16
	s_cbranch_execz .LBB6_1790
.LBB6_1789:                             ;   in Loop: Header=BB6_138 Depth=3
	v_and_b32_sdwa v105, v118, v9 dst_sel:DWORD dst_unused:UNUSED_PAD src0_sel:DWORD src1_sel:BYTE_1
	v_and_b32_e32 v106, 3, v105
	v_bfe_u32 v109, v105, 2, 5
	v_ffbh_u32_e32 v107, v106
	v_cmp_eq_u32_e32 vcc_lo, 0, v109
	v_min_u32_e32 v107, 32, v107
	v_subrev_nc_u32_e32 v108, 29, v107
	v_sub_nc_u32_e32 v107, 30, v107
	v_lshlrev_b32_e32 v105, v108, v105
	v_lshlrev_b32_sdwa v108, v119, v9 dst_sel:DWORD dst_unused:UNUSED_PAD src0_sel:DWORD src1_sel:BYTE_1
	v_cndmask_b32_e32 v107, v109, v107, vcc_lo
	v_and_b32_e32 v105, 3, v105
	v_lshl_add_u32 v107, v107, 23, 0x37800000
	v_cndmask_b32_e32 v105, v106, v105, vcc_lo
	v_and_b32_e32 v106, 0x80000000, v108
	v_lshlrev_b32_e32 v105, 21, v105
	v_or3_b32 v105, v106, v107, v105
.LBB6_1790:                             ;   in Loop: Header=BB6_138 Depth=3
	s_or_b32 exec_lo, exec_lo, s72
	v_mul_f32_e32 v106, s63, v105
	v_and_b32_e32 v105, 0x7f800000, v106
	v_cmp_ne_u32_e32 vcc_lo, 0x7f800000, v105
	v_mov_b32_e32 v105, 0x8000
	s_and_saveexec_b32 s72, vcc_lo
	s_cbranch_execz .LBB6_1798
; %bb.1791:                             ;   in Loop: Header=BB6_138 Depth=3
	v_mov_b32_e32 v105, 0
	s_mov_b32 s73, exec_lo
	v_cmpx_ne_u32_e32 0, v106
	s_cbranch_execz .LBB6_1797
; %bb.1792:                             ;   in Loop: Header=BB6_138 Depth=3
	v_bfe_u32 v107, v106, 23, 8
	v_and_b32_e32 v105, 0x7fffff, v106
	v_cmp_gt_u32_e64 s16, 0x71, v107
	v_sub_nc_u32_e32 v108, 0x70, v107
	v_cmp_eq_u32_e32 vcc_lo, 0, v107
	v_or_b32_e32 v109, 0x800000, v105
	v_cndmask_b32_e64 v108, 0, v108, s16
	v_cndmask_b32_e32 v105, v109, v105, vcc_lo
	v_cndmask_b32_e64 v108, v108, 0x6f, vcc_lo
	v_lshl_add_u32 v109, 0x200000, v108, -1
	v_lshlrev_b32_e64 v110, v108, 0x100000
	v_and_b32_e32 v109, v109, v105
	v_cmp_eq_u32_e64 s16, v109, v110
	v_lshrrev_b32_e32 v109, v108, v105
	v_add_nc_u32_e32 v105, 0xffffff91, v107
	v_lshrrev_b32_e32 v107, 23, v109
	v_cndmask_b32_e64 v105, v105, 0xffffff92, vcc_lo
	v_xor_b32_e32 v107, 1, v107
	v_add_nc_u32_e32 v105, v108, v105
	v_bfe_u32 v108, v109, 21, 1
	v_add_nc_u32_e32 v108, -1, v108
	v_cndmask_b32_e64 v108, 0, v108, s16
	s_mov_b32 s16, exec_lo
	v_add_nc_u32_e32 v108, v108, v109
	v_and_b32_e32 v108, 0x1fffff, v108
	v_add_nc_u32_e32 v108, v108, v109
                                        ; implicit-def: $vgpr109
	v_cmpx_ne_u32_e64 v105, v107
	s_xor_b32 s16, exec_lo, s16
; %bb.1793:                             ;   in Loop: Header=BB6_138 Depth=3
	v_cmp_lt_u32_e32 vcc_lo, 0xffffff, v108
	v_sub_nc_u32_e32 v105, v105, v107
	v_cndmask_b32_e64 v107, 0, 1, vcc_lo
	v_add_co_ci_u32_e64 v109, null, 0, v105, vcc_lo
	v_lshrrev_b32_e32 v108, v107, v108
; %bb.1794:                             ;   in Loop: Header=BB6_138 Depth=3
	s_andn2_saveexec_b32 s16, s16
; %bb.1795:                             ;   in Loop: Header=BB6_138 Depth=3
	v_bfe_u32 v109, v108, 23, 1
; %bb.1796:                             ;   in Loop: Header=BB6_138 Depth=3
	s_or_b32 exec_lo, exec_lo, s16
	v_and_b32_sdwa v105, v106, v117 dst_sel:DWORD dst_unused:UNUSED_PAD src0_sel:BYTE_3 src1_sel:DWORD
	v_lshrrev_b32_e32 v106, 21, v108
	v_min_i32_e32 v107, 31, v109
	v_cmp_gt_i32_e32 vcc_lo, 32, v109
	v_lshlrev_b32_e32 v107, 2, v107
	v_cndmask_b32_e32 v106, 3, v106, vcc_lo
	v_and_b32_e32 v107, 0xfc, v107
	v_or_b32_e32 v108, v109, v106
	v_and_b32_e32 v106, 3, v106
	v_cmp_ne_u32_e32 vcc_lo, 0, v108
	v_or3_b32 v105, v105, v107, v106
	v_lshlrev_b32_e32 v105, 8, v105
	v_cndmask_b32_e32 v105, 0, v105, vcc_lo
.LBB6_1797:                             ;   in Loop: Header=BB6_138 Depth=3
	s_or_b32 exec_lo, exec_lo, s73
.LBB6_1798:                             ;   in Loop: Header=BB6_138 Depth=3
	s_or_b32 exec_lo, exec_lo, s72
	v_and_b32_sdwa v107, v9, v40 dst_sel:DWORD dst_unused:UNUSED_PAD src0_sel:WORD_1 src1_sel:DWORD
	s_mov_b32 s72, 0
	s_mov_b32 s16, exec_lo
	v_cmpx_lt_i16_e32 0x7f, v107
	s_xor_b32 s16, exec_lo, s16
	s_cbranch_execz .LBB6_2172
; %bb.1799:                             ;   in Loop: Header=BB6_138 Depth=3
	s_mov_b32 s72, -1
	s_mov_b32 s73, exec_lo
	v_cmpx_eq_u16_e32 0x80, v107
; %bb.1800:                             ;   in Loop: Header=BB6_138 Depth=3
	s_xor_b32 s72, exec_lo, -1
; %bb.1801:                             ;   in Loop: Header=BB6_138 Depth=3
	s_or_b32 exec_lo, exec_lo, s73
	s_and_b32 s72, s72, exec_lo
                                        ; implicit-def: $vgpr107
	s_or_saveexec_b32 s16, s16
	v_mov_b32_e32 v106, 0x7f800001
	s_xor_b32 exec_lo, exec_lo, s16
	s_cbranch_execnz .LBB6_2173
.LBB6_1802:                             ;   in Loop: Header=BB6_138 Depth=3
	s_or_b32 exec_lo, exec_lo, s16
	s_and_saveexec_b32 s16, s72
	s_cbranch_execz .LBB6_1804
.LBB6_1803:                             ;   in Loop: Header=BB6_138 Depth=3
	v_bfe_u32 v106, v9, 16, 2
	v_bfe_u32 v107, v9, 18, 5
	v_ffbh_u32_e32 v108, v106
	v_cmp_eq_u32_e32 vcc_lo, 0, v107
	v_min_u32_e32 v108, 32, v108
	v_subrev_nc_u32_e32 v109, 29, v108
	v_sub_nc_u32_e32 v108, 30, v108
	v_lshlrev_b32_sdwa v109, v109, v9 dst_sel:DWORD dst_unused:UNUSED_PAD src0_sel:DWORD src1_sel:WORD_1
	v_cndmask_b32_e32 v107, v107, v108, vcc_lo
	v_lshlrev_b32_e32 v108, 8, v9
	v_and_b32_e32 v109, 3, v109
	v_lshl_add_u32 v107, v107, 23, 0x37800000
	v_and_b32_e32 v108, 0x80000000, v108
	v_cndmask_b32_e32 v106, v106, v109, vcc_lo
	v_lshlrev_b32_e32 v106, 21, v106
	v_or3_b32 v106, v108, v107, v106
.LBB6_1804:                             ;   in Loop: Header=BB6_138 Depth=3
	s_or_b32 exec_lo, exec_lo, s16
	v_mul_f32_e32 v107, s63, v106
	v_and_b32_e32 v106, 0x7f800000, v107
	v_cmp_ne_u32_e32 vcc_lo, 0x7f800000, v106
	v_mov_b32_e32 v106, 0x80
	s_and_saveexec_b32 s72, vcc_lo
	s_cbranch_execz .LBB6_1812
; %bb.1805:                             ;   in Loop: Header=BB6_138 Depth=3
	v_mov_b32_e32 v106, 0
	s_mov_b32 s73, exec_lo
	v_cmpx_ne_u32_e32 0, v107
	s_cbranch_execz .LBB6_1811
; %bb.1806:                             ;   in Loop: Header=BB6_138 Depth=3
	v_bfe_u32 v108, v107, 23, 8
	v_and_b32_e32 v106, 0x7fffff, v107
	v_cmp_gt_u32_e64 s16, 0x71, v108
	v_sub_nc_u32_e32 v109, 0x70, v108
	v_cmp_eq_u32_e32 vcc_lo, 0, v108
	v_or_b32_e32 v110, 0x800000, v106
	v_cndmask_b32_e64 v109, 0, v109, s16
	v_cndmask_b32_e32 v106, v110, v106, vcc_lo
	v_cndmask_b32_e64 v109, v109, 0x6f, vcc_lo
	v_lshl_add_u32 v110, 0x200000, v109, -1
	v_lshlrev_b32_e64 v111, v109, 0x100000
	v_and_b32_e32 v110, v110, v106
	v_cmp_eq_u32_e64 s16, v110, v111
	v_lshrrev_b32_e32 v110, v109, v106
	v_add_nc_u32_e32 v106, 0xffffff91, v108
	v_lshrrev_b32_e32 v108, 23, v110
	v_cndmask_b32_e64 v106, v106, 0xffffff92, vcc_lo
	v_xor_b32_e32 v108, 1, v108
	v_add_nc_u32_e32 v106, v109, v106
	v_bfe_u32 v109, v110, 21, 1
	v_add_nc_u32_e32 v109, -1, v109
	v_cndmask_b32_e64 v109, 0, v109, s16
	s_mov_b32 s16, exec_lo
	v_add_nc_u32_e32 v109, v109, v110
	v_and_b32_e32 v109, 0x1fffff, v109
	v_add_nc_u32_e32 v109, v109, v110
                                        ; implicit-def: $vgpr110
	v_cmpx_ne_u32_e64 v106, v108
	s_xor_b32 s16, exec_lo, s16
; %bb.1807:                             ;   in Loop: Header=BB6_138 Depth=3
	v_cmp_lt_u32_e32 vcc_lo, 0xffffff, v109
	v_sub_nc_u32_e32 v106, v106, v108
	v_cndmask_b32_e64 v108, 0, 1, vcc_lo
	v_add_co_ci_u32_e64 v110, null, 0, v106, vcc_lo
	v_lshrrev_b32_e32 v109, v108, v109
; %bb.1808:                             ;   in Loop: Header=BB6_138 Depth=3
	s_andn2_saveexec_b32 s16, s16
; %bb.1809:                             ;   in Loop: Header=BB6_138 Depth=3
	v_bfe_u32 v110, v109, 23, 1
; %bb.1810:                             ;   in Loop: Header=BB6_138 Depth=3
	s_or_b32 exec_lo, exec_lo, s16
	v_and_b32_sdwa v106, v107, v117 dst_sel:DWORD dst_unused:UNUSED_PAD src0_sel:BYTE_3 src1_sel:DWORD
	v_lshrrev_b32_e32 v107, 21, v109
	v_min_i32_e32 v108, 31, v110
	v_cmp_gt_i32_e32 vcc_lo, 32, v110
	v_lshlrev_b32_e32 v108, 2, v108
	v_cndmask_b32_e32 v107, 3, v107, vcc_lo
	v_and_b32_e32 v108, 0xfc, v108
	v_or_b32_e32 v109, v110, v107
	v_and_b32_e32 v107, 3, v107
	v_cmp_ne_u32_e32 vcc_lo, 0, v109
	v_or3_b32 v106, v108, v106, v107
	v_cndmask_b32_e32 v106, 0, v106, vcc_lo
.LBB6_1811:                             ;   in Loop: Header=BB6_138 Depth=3
	s_or_b32 exec_lo, exec_lo, s73
.LBB6_1812:                             ;   in Loop: Header=BB6_138 Depth=3
	s_or_b32 exec_lo, exec_lo, s72
	v_cmp_gt_i16_sdwa s72, v9, v116 src0_sel:BYTE_3 src1_sel:DWORD
	s_mov_b32 s16, 0
	s_and_saveexec_b32 s73, s72
	s_xor_b32 s72, exec_lo, s73
	s_cbranch_execz .LBB6_2174
; %bb.1813:                             ;   in Loop: Header=BB6_138 Depth=3
	v_cmp_eq_u16_sdwa s74, v9, v117 src0_sel:BYTE_3 src1_sel:DWORD
	s_mov_b32 s16, -1
	s_and_saveexec_b32 s73, s74
; %bb.1814:                             ;   in Loop: Header=BB6_138 Depth=3
	s_xor_b32 s16, exec_lo, -1
; %bb.1815:                             ;   in Loop: Header=BB6_138 Depth=3
	s_or_b32 exec_lo, exec_lo, s73
	s_and_b32 s16, s16, exec_lo
	s_or_saveexec_b32 s72, s72
	v_mov_b32_e32 v107, 0x7f800001
	s_xor_b32 exec_lo, exec_lo, s72
	s_cbranch_execnz .LBB6_2175
.LBB6_1816:                             ;   in Loop: Header=BB6_138 Depth=3
	s_or_b32 exec_lo, exec_lo, s72
	s_and_saveexec_b32 s72, s16
	s_cbranch_execz .LBB6_1818
.LBB6_1817:                             ;   in Loop: Header=BB6_138 Depth=3
	v_bfe_u32 v107, v9, 24, 2
	v_bfe_u32 v110, v9, 26, 5
	v_ffbh_u32_e32 v108, v107
	v_cmp_eq_u32_e32 vcc_lo, 0, v110
	v_min_u32_e32 v108, 32, v108
	v_subrev_nc_u32_e32 v109, 29, v108
	v_sub_nc_u32_e32 v108, 30, v108
	v_lshlrev_b32_sdwa v109, v109, v9 dst_sel:DWORD dst_unused:UNUSED_PAD src0_sel:DWORD src1_sel:BYTE_3
	v_cndmask_b32_e32 v108, v110, v108, vcc_lo
	v_and_b32_e32 v9, 0x80000000, v9
	v_and_b32_e32 v109, 3, v109
	v_lshl_add_u32 v108, v108, 23, 0x37800000
	v_cndmask_b32_e32 v107, v107, v109, vcc_lo
	v_lshlrev_b32_e32 v107, 21, v107
	v_or3_b32 v107, v9, v108, v107
.LBB6_1818:                             ;   in Loop: Header=BB6_138 Depth=3
	s_or_b32 exec_lo, exec_lo, s72
	v_mul_f32_e32 v107, s63, v107
	v_and_b32_e32 v9, 0x7f800000, v107
	v_cmp_ne_u32_e32 vcc_lo, 0x7f800000, v9
	v_mov_b32_e32 v9, 0x8000
	s_and_saveexec_b32 s72, vcc_lo
	s_cbranch_execz .LBB6_1826
; %bb.1819:                             ;   in Loop: Header=BB6_138 Depth=3
	v_mov_b32_e32 v9, 0
	s_mov_b32 s73, exec_lo
	v_cmpx_ne_u32_e32 0, v107
	s_cbranch_execz .LBB6_1825
; %bb.1820:                             ;   in Loop: Header=BB6_138 Depth=3
	v_bfe_u32 v108, v107, 23, 8
	v_and_b32_e32 v9, 0x7fffff, v107
	v_cmp_gt_u32_e64 s16, 0x71, v108
	v_sub_nc_u32_e32 v109, 0x70, v108
	v_cmp_eq_u32_e32 vcc_lo, 0, v108
	v_or_b32_e32 v110, 0x800000, v9
	v_cndmask_b32_e64 v109, 0, v109, s16
	v_cndmask_b32_e32 v9, v110, v9, vcc_lo
	v_cndmask_b32_e64 v109, v109, 0x6f, vcc_lo
	v_lshl_add_u32 v110, 0x200000, v109, -1
	v_lshlrev_b32_e64 v111, v109, 0x100000
	v_and_b32_e32 v110, v110, v9
	v_cmp_eq_u32_e64 s16, v110, v111
	v_lshrrev_b32_e32 v110, v109, v9
	v_add_nc_u32_e32 v9, 0xffffff91, v108
	v_lshrrev_b32_e32 v108, 23, v110
	v_cndmask_b32_e64 v9, v9, 0xffffff92, vcc_lo
	v_xor_b32_e32 v108, 1, v108
	v_add_nc_u32_e32 v9, v109, v9
	v_bfe_u32 v109, v110, 21, 1
	v_add_nc_u32_e32 v109, -1, v109
	v_cndmask_b32_e64 v109, 0, v109, s16
	s_mov_b32 s16, exec_lo
	v_add_nc_u32_e32 v109, v109, v110
	v_and_b32_e32 v109, 0x1fffff, v109
	v_add_nc_u32_e32 v109, v109, v110
                                        ; implicit-def: $vgpr110
	v_cmpx_ne_u32_e64 v9, v108
	s_xor_b32 s16, exec_lo, s16
; %bb.1821:                             ;   in Loop: Header=BB6_138 Depth=3
	v_cmp_lt_u32_e32 vcc_lo, 0xffffff, v109
	v_sub_nc_u32_e32 v9, v9, v108
	v_cndmask_b32_e64 v108, 0, 1, vcc_lo
	v_add_co_ci_u32_e64 v110, null, 0, v9, vcc_lo
	v_lshrrev_b32_e32 v109, v108, v109
; %bb.1822:                             ;   in Loop: Header=BB6_138 Depth=3
	s_andn2_saveexec_b32 s16, s16
; %bb.1823:                             ;   in Loop: Header=BB6_138 Depth=3
	v_bfe_u32 v110, v109, 23, 1
; %bb.1824:                             ;   in Loop: Header=BB6_138 Depth=3
	s_or_b32 exec_lo, exec_lo, s16
	v_and_b32_sdwa v9, v107, v117 dst_sel:DWORD dst_unused:UNUSED_PAD src0_sel:BYTE_3 src1_sel:DWORD
	v_lshrrev_b32_e32 v107, 21, v109
	v_min_i32_e32 v108, 31, v110
	v_cmp_gt_i32_e32 vcc_lo, 32, v110
	v_lshlrev_b32_e32 v108, 2, v108
	v_cndmask_b32_e32 v107, 3, v107, vcc_lo
	v_and_b32_e32 v108, 0xfc, v108
	v_or_b32_e32 v109, v110, v107
	v_and_b32_e32 v107, 3, v107
	v_cmp_ne_u32_e32 vcc_lo, 0, v109
	v_or3_b32 v9, v9, v108, v107
	v_lshlrev_b32_e32 v9, 8, v9
	v_cndmask_b32_e32 v9, 0, v9, vcc_lo
.LBB6_1825:                             ;   in Loop: Header=BB6_138 Depth=3
	s_or_b32 exec_lo, exec_lo, s73
.LBB6_1826:                             ;   in Loop: Header=BB6_138 Depth=3
	s_or_b32 exec_lo, exec_lo, s72
	v_cmp_gt_i16_sdwa s16, v10, v116 src0_sel:BYTE_0 src1_sel:DWORD
	s_mov_b32 s72, 0
	s_and_saveexec_b32 s73, s16
	s_xor_b32 s16, exec_lo, s73
	s_cbranch_execz .LBB6_2176
; %bb.1827:                             ;   in Loop: Header=BB6_138 Depth=3
	v_cmp_eq_u16_sdwa s74, v10, v117 src0_sel:BYTE_0 src1_sel:DWORD
	s_mov_b32 s72, -1
	s_and_saveexec_b32 s73, s74
; %bb.1828:                             ;   in Loop: Header=BB6_138 Depth=3
	s_xor_b32 s72, exec_lo, -1
; %bb.1829:                             ;   in Loop: Header=BB6_138 Depth=3
	s_or_b32 exec_lo, exec_lo, s73
	s_and_b32 s72, s72, exec_lo
	s_or_saveexec_b32 s16, s16
	v_mov_b32_e32 v107, 0x7f800001
	s_xor_b32 exec_lo, exec_lo, s16
	s_cbranch_execnz .LBB6_2177
.LBB6_1830:                             ;   in Loop: Header=BB6_138 Depth=3
	s_or_b32 exec_lo, exec_lo, s16
	s_and_saveexec_b32 s16, s72
	s_cbranch_execz .LBB6_1832
.LBB6_1831:                             ;   in Loop: Header=BB6_138 Depth=3
	v_and_b32_e32 v107, 3, v10
	v_bfe_u32 v108, v10, 2, 5
	v_ffbh_u32_e32 v109, v107
	v_cmp_eq_u32_e32 vcc_lo, 0, v108
	v_min_u32_e32 v109, 32, v109
	v_subrev_nc_u32_e32 v110, 29, v109
	v_sub_nc_u32_e32 v109, 30, v109
	v_lshlrev_b32_e32 v110, v110, v10
	v_cndmask_b32_e32 v108, v108, v109, vcc_lo
	v_lshlrev_b32_e32 v109, 24, v10
	v_and_b32_e32 v110, 3, v110
	v_lshl_add_u32 v108, v108, 23, 0x37800000
	v_and_b32_e32 v109, 0x80000000, v109
	v_cndmask_b32_e32 v107, v107, v110, vcc_lo
	v_lshlrev_b32_e32 v107, 21, v107
	v_or3_b32 v107, v109, v108, v107
.LBB6_1832:                             ;   in Loop: Header=BB6_138 Depth=3
	s_or_b32 exec_lo, exec_lo, s16
	v_mul_f32_e32 v108, s63, v107
	v_and_b32_e32 v107, 0x7f800000, v108
	v_cmp_ne_u32_e32 vcc_lo, 0x7f800000, v107
	v_mov_b32_e32 v107, 0x80
	s_and_saveexec_b32 s72, vcc_lo
	s_cbranch_execz .LBB6_1840
; %bb.1833:                             ;   in Loop: Header=BB6_138 Depth=3
	v_mov_b32_e32 v107, 0
	s_mov_b32 s73, exec_lo
	v_cmpx_ne_u32_e32 0, v108
	s_cbranch_execz .LBB6_1839
; %bb.1834:                             ;   in Loop: Header=BB6_138 Depth=3
	v_bfe_u32 v109, v108, 23, 8
	v_and_b32_e32 v107, 0x7fffff, v108
	v_cmp_gt_u32_e64 s16, 0x71, v109
	v_sub_nc_u32_e32 v110, 0x70, v109
	v_cmp_eq_u32_e32 vcc_lo, 0, v109
	v_or_b32_e32 v111, 0x800000, v107
	v_cndmask_b32_e64 v110, 0, v110, s16
	v_cndmask_b32_e32 v107, v111, v107, vcc_lo
	v_cndmask_b32_e64 v110, v110, 0x6f, vcc_lo
	v_lshl_add_u32 v111, 0x200000, v110, -1
	v_lshlrev_b32_e64 v120, v110, 0x100000
	v_and_b32_e32 v111, v111, v107
	v_cmp_eq_u32_e64 s16, v111, v120
	v_lshrrev_b32_e32 v111, v110, v107
	v_add_nc_u32_e32 v107, 0xffffff91, v109
	v_lshrrev_b32_e32 v109, 23, v111
	v_cndmask_b32_e64 v107, v107, 0xffffff92, vcc_lo
	v_xor_b32_e32 v109, 1, v109
	v_add_nc_u32_e32 v107, v110, v107
	v_bfe_u32 v110, v111, 21, 1
	v_add_nc_u32_e32 v110, -1, v110
	v_cndmask_b32_e64 v110, 0, v110, s16
	s_mov_b32 s16, exec_lo
	v_add_nc_u32_e32 v110, v110, v111
	v_and_b32_e32 v110, 0x1fffff, v110
	v_add_nc_u32_e32 v110, v110, v111
                                        ; implicit-def: $vgpr111
	v_cmpx_ne_u32_e64 v107, v109
	s_xor_b32 s16, exec_lo, s16
; %bb.1835:                             ;   in Loop: Header=BB6_138 Depth=3
	v_cmp_lt_u32_e32 vcc_lo, 0xffffff, v110
	v_sub_nc_u32_e32 v107, v107, v109
	v_cndmask_b32_e64 v109, 0, 1, vcc_lo
	v_add_co_ci_u32_e64 v111, null, 0, v107, vcc_lo
	v_lshrrev_b32_e32 v110, v109, v110
; %bb.1836:                             ;   in Loop: Header=BB6_138 Depth=3
	s_andn2_saveexec_b32 s16, s16
; %bb.1837:                             ;   in Loop: Header=BB6_138 Depth=3
	v_bfe_u32 v111, v110, 23, 1
; %bb.1838:                             ;   in Loop: Header=BB6_138 Depth=3
	s_or_b32 exec_lo, exec_lo, s16
	v_and_b32_sdwa v107, v108, v117 dst_sel:DWORD dst_unused:UNUSED_PAD src0_sel:BYTE_3 src1_sel:DWORD
	v_lshrrev_b32_e32 v108, 21, v110
	v_min_i32_e32 v109, 31, v111
	v_cmp_gt_i32_e32 vcc_lo, 32, v111
	v_lshlrev_b32_e32 v109, 2, v109
	v_cndmask_b32_e32 v108, 3, v108, vcc_lo
	v_and_b32_e32 v109, 0xfc, v109
	v_or_b32_e32 v110, v111, v108
	v_and_b32_e32 v108, 3, v108
	v_cmp_ne_u32_e32 vcc_lo, 0, v110
	v_or3_b32 v107, v109, v107, v108
	v_cndmask_b32_e32 v107, 0, v107, vcc_lo
.LBB6_1839:                             ;   in Loop: Header=BB6_138 Depth=3
	s_or_b32 exec_lo, exec_lo, s73
.LBB6_1840:                             ;   in Loop: Header=BB6_138 Depth=3
	s_or_b32 exec_lo, exec_lo, s72
	v_cmp_gt_i16_sdwa s72, v10, v116 src0_sel:BYTE_1 src1_sel:DWORD
	s_mov_b32 s16, 0
	s_and_saveexec_b32 s73, s72
	s_xor_b32 s72, exec_lo, s73
	s_cbranch_execz .LBB6_2178
; %bb.1841:                             ;   in Loop: Header=BB6_138 Depth=3
	v_cmp_eq_u16_sdwa s74, v10, v117 src0_sel:BYTE_1 src1_sel:DWORD
	s_mov_b32 s16, -1
	s_and_saveexec_b32 s73, s74
; %bb.1842:                             ;   in Loop: Header=BB6_138 Depth=3
	s_xor_b32 s16, exec_lo, -1
; %bb.1843:                             ;   in Loop: Header=BB6_138 Depth=3
	s_or_b32 exec_lo, exec_lo, s73
	s_and_b32 s16, s16, exec_lo
	s_or_saveexec_b32 s72, s72
	v_mov_b32_e32 v108, 0x7f800001
	s_xor_b32 exec_lo, exec_lo, s72
	s_cbranch_execnz .LBB6_2179
.LBB6_1844:                             ;   in Loop: Header=BB6_138 Depth=3
	s_or_b32 exec_lo, exec_lo, s72
	s_and_saveexec_b32 s72, s16
	s_cbranch_execz .LBB6_1846
.LBB6_1845:                             ;   in Loop: Header=BB6_138 Depth=3
	v_and_b32_sdwa v108, v118, v10 dst_sel:DWORD dst_unused:UNUSED_PAD src0_sel:DWORD src1_sel:BYTE_1
	v_and_b32_e32 v109, 3, v108
	v_bfe_u32 v120, v108, 2, 5
	v_ffbh_u32_e32 v110, v109
	v_cmp_eq_u32_e32 vcc_lo, 0, v120
	v_min_u32_e32 v110, 32, v110
	v_subrev_nc_u32_e32 v111, 29, v110
	v_sub_nc_u32_e32 v110, 30, v110
	v_lshlrev_b32_e32 v108, v111, v108
	v_lshlrev_b32_sdwa v111, v119, v10 dst_sel:DWORD dst_unused:UNUSED_PAD src0_sel:DWORD src1_sel:BYTE_1
	v_cndmask_b32_e32 v110, v120, v110, vcc_lo
	v_and_b32_e32 v108, 3, v108
	v_lshl_add_u32 v110, v110, 23, 0x37800000
	v_cndmask_b32_e32 v108, v109, v108, vcc_lo
	v_and_b32_e32 v109, 0x80000000, v111
	v_lshlrev_b32_e32 v108, 21, v108
	v_or3_b32 v108, v109, v110, v108
.LBB6_1846:                             ;   in Loop: Header=BB6_138 Depth=3
	s_or_b32 exec_lo, exec_lo, s72
	v_mul_f32_e32 v109, s63, v108
	v_and_b32_e32 v108, 0x7f800000, v109
	v_cmp_ne_u32_e32 vcc_lo, 0x7f800000, v108
	v_mov_b32_e32 v108, 0x8000
	s_and_saveexec_b32 s72, vcc_lo
	s_cbranch_execz .LBB6_1854
; %bb.1847:                             ;   in Loop: Header=BB6_138 Depth=3
	v_mov_b32_e32 v108, 0
	s_mov_b32 s73, exec_lo
	v_cmpx_ne_u32_e32 0, v109
	s_cbranch_execz .LBB6_1853
; %bb.1848:                             ;   in Loop: Header=BB6_138 Depth=3
	v_bfe_u32 v110, v109, 23, 8
	v_and_b32_e32 v108, 0x7fffff, v109
	v_cmp_gt_u32_e64 s16, 0x71, v110
	v_sub_nc_u32_e32 v111, 0x70, v110
	v_cmp_eq_u32_e32 vcc_lo, 0, v110
	v_or_b32_e32 v120, 0x800000, v108
	v_cndmask_b32_e64 v111, 0, v111, s16
	v_cndmask_b32_e32 v108, v120, v108, vcc_lo
	v_cndmask_b32_e64 v111, v111, 0x6f, vcc_lo
	v_lshl_add_u32 v120, 0x200000, v111, -1
	v_lshlrev_b32_e64 v121, v111, 0x100000
	v_and_b32_e32 v120, v120, v108
	v_cmp_eq_u32_e64 s16, v120, v121
	v_lshrrev_b32_e32 v120, v111, v108
	v_add_nc_u32_e32 v108, 0xffffff91, v110
	v_lshrrev_b32_e32 v110, 23, v120
	v_cndmask_b32_e64 v108, v108, 0xffffff92, vcc_lo
	v_xor_b32_e32 v110, 1, v110
	v_add_nc_u32_e32 v108, v111, v108
	v_bfe_u32 v111, v120, 21, 1
	v_add_nc_u32_e32 v111, -1, v111
	v_cndmask_b32_e64 v111, 0, v111, s16
	s_mov_b32 s16, exec_lo
	v_add_nc_u32_e32 v111, v111, v120
	v_and_b32_e32 v111, 0x1fffff, v111
	v_add_nc_u32_e32 v111, v111, v120
                                        ; implicit-def: $vgpr120
	v_cmpx_ne_u32_e64 v108, v110
	s_xor_b32 s16, exec_lo, s16
; %bb.1849:                             ;   in Loop: Header=BB6_138 Depth=3
	v_cmp_lt_u32_e32 vcc_lo, 0xffffff, v111
	v_sub_nc_u32_e32 v108, v108, v110
	v_cndmask_b32_e64 v110, 0, 1, vcc_lo
	v_add_co_ci_u32_e64 v120, null, 0, v108, vcc_lo
	v_lshrrev_b32_e32 v111, v110, v111
; %bb.1850:                             ;   in Loop: Header=BB6_138 Depth=3
	s_andn2_saveexec_b32 s16, s16
; %bb.1851:                             ;   in Loop: Header=BB6_138 Depth=3
	v_bfe_u32 v120, v111, 23, 1
; %bb.1852:                             ;   in Loop: Header=BB6_138 Depth=3
	s_or_b32 exec_lo, exec_lo, s16
	v_and_b32_sdwa v108, v109, v117 dst_sel:DWORD dst_unused:UNUSED_PAD src0_sel:BYTE_3 src1_sel:DWORD
	v_lshrrev_b32_e32 v109, 21, v111
	v_min_i32_e32 v110, 31, v120
	v_cmp_gt_i32_e32 vcc_lo, 32, v120
	v_lshlrev_b32_e32 v110, 2, v110
	v_cndmask_b32_e32 v109, 3, v109, vcc_lo
	v_and_b32_e32 v110, 0xfc, v110
	v_or_b32_e32 v111, v120, v109
	v_and_b32_e32 v109, 3, v109
	v_cmp_ne_u32_e32 vcc_lo, 0, v111
	v_or3_b32 v108, v108, v110, v109
	v_lshlrev_b32_e32 v108, 8, v108
	v_cndmask_b32_e32 v108, 0, v108, vcc_lo
.LBB6_1853:                             ;   in Loop: Header=BB6_138 Depth=3
	s_or_b32 exec_lo, exec_lo, s73
.LBB6_1854:                             ;   in Loop: Header=BB6_138 Depth=3
	s_or_b32 exec_lo, exec_lo, s72
	v_and_b32_sdwa v110, v10, v40 dst_sel:DWORD dst_unused:UNUSED_PAD src0_sel:WORD_1 src1_sel:DWORD
	s_mov_b32 s72, 0
	s_mov_b32 s16, exec_lo
	v_cmpx_lt_i16_e32 0x7f, v110
	s_xor_b32 s16, exec_lo, s16
	s_cbranch_execz .LBB6_2180
; %bb.1855:                             ;   in Loop: Header=BB6_138 Depth=3
	s_mov_b32 s72, -1
	s_mov_b32 s73, exec_lo
	v_cmpx_eq_u16_e32 0x80, v110
; %bb.1856:                             ;   in Loop: Header=BB6_138 Depth=3
	s_xor_b32 s72, exec_lo, -1
; %bb.1857:                             ;   in Loop: Header=BB6_138 Depth=3
	s_or_b32 exec_lo, exec_lo, s73
	s_and_b32 s72, s72, exec_lo
                                        ; implicit-def: $vgpr110
	s_or_saveexec_b32 s16, s16
	v_mov_b32_e32 v109, 0x7f800001
	s_xor_b32 exec_lo, exec_lo, s16
	s_cbranch_execnz .LBB6_2181
.LBB6_1858:                             ;   in Loop: Header=BB6_138 Depth=3
	s_or_b32 exec_lo, exec_lo, s16
	s_and_saveexec_b32 s16, s72
	s_cbranch_execz .LBB6_1860
.LBB6_1859:                             ;   in Loop: Header=BB6_138 Depth=3
	v_bfe_u32 v109, v10, 16, 2
	v_bfe_u32 v110, v10, 18, 5
	v_ffbh_u32_e32 v111, v109
	v_cmp_eq_u32_e32 vcc_lo, 0, v110
	v_min_u32_e32 v111, 32, v111
	v_subrev_nc_u32_e32 v120, 29, v111
	v_sub_nc_u32_e32 v111, 30, v111
	v_lshlrev_b32_sdwa v120, v120, v10 dst_sel:DWORD dst_unused:UNUSED_PAD src0_sel:DWORD src1_sel:WORD_1
	v_cndmask_b32_e32 v110, v110, v111, vcc_lo
	v_lshlrev_b32_e32 v111, 8, v10
	v_and_b32_e32 v120, 3, v120
	v_lshl_add_u32 v110, v110, 23, 0x37800000
	v_and_b32_e32 v111, 0x80000000, v111
	v_cndmask_b32_e32 v109, v109, v120, vcc_lo
	v_lshlrev_b32_e32 v109, 21, v109
	v_or3_b32 v109, v111, v110, v109
.LBB6_1860:                             ;   in Loop: Header=BB6_138 Depth=3
	s_or_b32 exec_lo, exec_lo, s16
	v_mul_f32_e32 v110, s63, v109
	v_and_b32_e32 v109, 0x7f800000, v110
	v_cmp_ne_u32_e32 vcc_lo, 0x7f800000, v109
	v_mov_b32_e32 v109, 0x80
	s_and_saveexec_b32 s72, vcc_lo
	s_cbranch_execz .LBB6_1868
; %bb.1861:                             ;   in Loop: Header=BB6_138 Depth=3
	v_mov_b32_e32 v109, 0
	s_mov_b32 s73, exec_lo
	v_cmpx_ne_u32_e32 0, v110
	s_cbranch_execz .LBB6_1867
; %bb.1862:                             ;   in Loop: Header=BB6_138 Depth=3
	v_bfe_u32 v111, v110, 23, 8
	v_and_b32_e32 v109, 0x7fffff, v110
	v_cmp_gt_u32_e64 s16, 0x71, v111
	v_sub_nc_u32_e32 v120, 0x70, v111
	v_cmp_eq_u32_e32 vcc_lo, 0, v111
	v_or_b32_e32 v121, 0x800000, v109
	v_cndmask_b32_e64 v120, 0, v120, s16
	v_cndmask_b32_e32 v109, v121, v109, vcc_lo
	v_cndmask_b32_e64 v120, v120, 0x6f, vcc_lo
	v_lshl_add_u32 v121, 0x200000, v120, -1
	v_lshlrev_b32_e64 v122, v120, 0x100000
	v_and_b32_e32 v121, v121, v109
	v_cmp_eq_u32_e64 s16, v121, v122
	v_lshrrev_b32_e32 v121, v120, v109
	v_add_nc_u32_e32 v109, 0xffffff91, v111
	v_lshrrev_b32_e32 v111, 23, v121
	v_cndmask_b32_e64 v109, v109, 0xffffff92, vcc_lo
	v_xor_b32_e32 v111, 1, v111
	v_add_nc_u32_e32 v109, v120, v109
	v_bfe_u32 v120, v121, 21, 1
	v_add_nc_u32_e32 v120, -1, v120
	v_cndmask_b32_e64 v120, 0, v120, s16
	s_mov_b32 s16, exec_lo
	v_add_nc_u32_e32 v120, v120, v121
	v_and_b32_e32 v120, 0x1fffff, v120
	v_add_nc_u32_e32 v120, v120, v121
                                        ; implicit-def: $vgpr121
	v_cmpx_ne_u32_e64 v109, v111
	s_xor_b32 s16, exec_lo, s16
; %bb.1863:                             ;   in Loop: Header=BB6_138 Depth=3
	v_cmp_lt_u32_e32 vcc_lo, 0xffffff, v120
	v_sub_nc_u32_e32 v109, v109, v111
	v_cndmask_b32_e64 v111, 0, 1, vcc_lo
	v_add_co_ci_u32_e64 v121, null, 0, v109, vcc_lo
	v_lshrrev_b32_e32 v120, v111, v120
; %bb.1864:                             ;   in Loop: Header=BB6_138 Depth=3
	s_andn2_saveexec_b32 s16, s16
; %bb.1865:                             ;   in Loop: Header=BB6_138 Depth=3
	v_bfe_u32 v121, v120, 23, 1
; %bb.1866:                             ;   in Loop: Header=BB6_138 Depth=3
	s_or_b32 exec_lo, exec_lo, s16
	v_and_b32_sdwa v109, v110, v117 dst_sel:DWORD dst_unused:UNUSED_PAD src0_sel:BYTE_3 src1_sel:DWORD
	v_lshrrev_b32_e32 v110, 21, v120
	v_min_i32_e32 v111, 31, v121
	v_cmp_gt_i32_e32 vcc_lo, 32, v121
	v_lshlrev_b32_e32 v111, 2, v111
	v_cndmask_b32_e32 v110, 3, v110, vcc_lo
	v_and_b32_e32 v111, 0xfc, v111
	v_or_b32_e32 v120, v121, v110
	v_and_b32_e32 v110, 3, v110
	v_cmp_ne_u32_e32 vcc_lo, 0, v120
	v_or3_b32 v109, v111, v109, v110
	v_cndmask_b32_e32 v109, 0, v109, vcc_lo
.LBB6_1867:                             ;   in Loop: Header=BB6_138 Depth=3
	s_or_b32 exec_lo, exec_lo, s73
.LBB6_1868:                             ;   in Loop: Header=BB6_138 Depth=3
	s_or_b32 exec_lo, exec_lo, s72
	v_cmp_gt_i16_sdwa s72, v10, v116 src0_sel:BYTE_3 src1_sel:DWORD
	s_mov_b32 s16, 0
	s_and_saveexec_b32 s73, s72
	s_xor_b32 s72, exec_lo, s73
	s_cbranch_execz .LBB6_2182
; %bb.1869:                             ;   in Loop: Header=BB6_138 Depth=3
	v_cmp_eq_u16_sdwa s74, v10, v117 src0_sel:BYTE_3 src1_sel:DWORD
	s_mov_b32 s16, -1
	s_and_saveexec_b32 s73, s74
; %bb.1870:                             ;   in Loop: Header=BB6_138 Depth=3
	s_xor_b32 s16, exec_lo, -1
; %bb.1871:                             ;   in Loop: Header=BB6_138 Depth=3
	s_or_b32 exec_lo, exec_lo, s73
	s_and_b32 s16, s16, exec_lo
	s_or_saveexec_b32 s72, s72
	v_mov_b32_e32 v110, 0x7f800001
	s_xor_b32 exec_lo, exec_lo, s72
	s_cbranch_execnz .LBB6_2183
.LBB6_1872:                             ;   in Loop: Header=BB6_138 Depth=3
	s_or_b32 exec_lo, exec_lo, s72
	s_and_saveexec_b32 s72, s16
	s_cbranch_execz .LBB6_1874
.LBB6_1873:                             ;   in Loop: Header=BB6_138 Depth=3
	v_bfe_u32 v110, v10, 24, 2
	v_bfe_u32 v121, v10, 26, 5
	v_ffbh_u32_e32 v111, v110
	v_cmp_eq_u32_e32 vcc_lo, 0, v121
	v_min_u32_e32 v111, 32, v111
	v_subrev_nc_u32_e32 v120, 29, v111
	v_sub_nc_u32_e32 v111, 30, v111
	v_lshlrev_b32_sdwa v120, v120, v10 dst_sel:DWORD dst_unused:UNUSED_PAD src0_sel:DWORD src1_sel:BYTE_3
	v_cndmask_b32_e32 v111, v121, v111, vcc_lo
	v_and_b32_e32 v10, 0x80000000, v10
	v_and_b32_e32 v120, 3, v120
	v_lshl_add_u32 v111, v111, 23, 0x37800000
	v_cndmask_b32_e32 v110, v110, v120, vcc_lo
	v_lshlrev_b32_e32 v110, 21, v110
	v_or3_b32 v110, v10, v111, v110
.LBB6_1874:                             ;   in Loop: Header=BB6_138 Depth=3
	s_or_b32 exec_lo, exec_lo, s72
	v_mul_f32_e32 v110, s63, v110
	v_and_b32_e32 v10, 0x7f800000, v110
	v_cmp_ne_u32_e32 vcc_lo, 0x7f800000, v10
	v_mov_b32_e32 v10, 0x8000
	s_and_saveexec_b32 s72, vcc_lo
	s_cbranch_execz .LBB6_1882
; %bb.1875:                             ;   in Loop: Header=BB6_138 Depth=3
	v_mov_b32_e32 v10, 0
	s_mov_b32 s73, exec_lo
	v_cmpx_ne_u32_e32 0, v110
	s_cbranch_execz .LBB6_1881
; %bb.1876:                             ;   in Loop: Header=BB6_138 Depth=3
	v_bfe_u32 v111, v110, 23, 8
	v_and_b32_e32 v10, 0x7fffff, v110
	v_cmp_gt_u32_e64 s16, 0x71, v111
	v_sub_nc_u32_e32 v120, 0x70, v111
	v_cmp_eq_u32_e32 vcc_lo, 0, v111
	v_or_b32_e32 v121, 0x800000, v10
	v_cndmask_b32_e64 v120, 0, v120, s16
	v_cndmask_b32_e32 v10, v121, v10, vcc_lo
	v_cndmask_b32_e64 v120, v120, 0x6f, vcc_lo
	v_lshl_add_u32 v121, 0x200000, v120, -1
	v_lshlrev_b32_e64 v122, v120, 0x100000
	v_and_b32_e32 v121, v121, v10
	v_cmp_eq_u32_e64 s16, v121, v122
	v_lshrrev_b32_e32 v121, v120, v10
	v_add_nc_u32_e32 v10, 0xffffff91, v111
	v_lshrrev_b32_e32 v111, 23, v121
	v_cndmask_b32_e64 v10, v10, 0xffffff92, vcc_lo
	v_xor_b32_e32 v111, 1, v111
	v_add_nc_u32_e32 v10, v120, v10
	v_bfe_u32 v120, v121, 21, 1
	v_add_nc_u32_e32 v120, -1, v120
	v_cndmask_b32_e64 v120, 0, v120, s16
	s_mov_b32 s16, exec_lo
	v_add_nc_u32_e32 v120, v120, v121
	v_and_b32_e32 v120, 0x1fffff, v120
	v_add_nc_u32_e32 v120, v120, v121
                                        ; implicit-def: $vgpr121
	v_cmpx_ne_u32_e64 v10, v111
	s_xor_b32 s16, exec_lo, s16
; %bb.1877:                             ;   in Loop: Header=BB6_138 Depth=3
	v_cmp_lt_u32_e32 vcc_lo, 0xffffff, v120
	v_sub_nc_u32_e32 v10, v10, v111
	v_cndmask_b32_e64 v111, 0, 1, vcc_lo
	v_add_co_ci_u32_e64 v121, null, 0, v10, vcc_lo
	v_lshrrev_b32_e32 v120, v111, v120
; %bb.1878:                             ;   in Loop: Header=BB6_138 Depth=3
	s_andn2_saveexec_b32 s16, s16
; %bb.1879:                             ;   in Loop: Header=BB6_138 Depth=3
	v_bfe_u32 v121, v120, 23, 1
; %bb.1880:                             ;   in Loop: Header=BB6_138 Depth=3
	s_or_b32 exec_lo, exec_lo, s16
	v_and_b32_sdwa v10, v110, v117 dst_sel:DWORD dst_unused:UNUSED_PAD src0_sel:BYTE_3 src1_sel:DWORD
	v_lshrrev_b32_e32 v110, 21, v120
	v_min_i32_e32 v111, 31, v121
	v_cmp_gt_i32_e32 vcc_lo, 32, v121
	v_lshlrev_b32_e32 v111, 2, v111
	v_cndmask_b32_e32 v110, 3, v110, vcc_lo
	v_and_b32_e32 v111, 0xfc, v111
	v_or_b32_e32 v120, v121, v110
	v_and_b32_e32 v110, 3, v110
	v_cmp_ne_u32_e32 vcc_lo, 0, v120
	v_or3_b32 v10, v10, v111, v110
	v_lshlrev_b32_e32 v10, 8, v10
	v_cndmask_b32_e32 v10, 0, v10, vcc_lo
.LBB6_1881:                             ;   in Loop: Header=BB6_138 Depth=3
	s_or_b32 exec_lo, exec_lo, s73
.LBB6_1882:                             ;   in Loop: Header=BB6_138 Depth=3
	s_or_b32 exec_lo, exec_lo, s72
	v_cmp_gt_i16_sdwa s16, v11, v116 src0_sel:BYTE_0 src1_sel:DWORD
	s_mov_b32 s72, 0
	s_and_saveexec_b32 s73, s16
	s_xor_b32 s16, exec_lo, s73
	s_cbranch_execz .LBB6_2184
; %bb.1883:                             ;   in Loop: Header=BB6_138 Depth=3
	v_cmp_eq_u16_sdwa s74, v11, v117 src0_sel:BYTE_0 src1_sel:DWORD
	s_mov_b32 s72, -1
	s_and_saveexec_b32 s73, s74
; %bb.1884:                             ;   in Loop: Header=BB6_138 Depth=3
	s_xor_b32 s72, exec_lo, -1
; %bb.1885:                             ;   in Loop: Header=BB6_138 Depth=3
	s_or_b32 exec_lo, exec_lo, s73
	s_and_b32 s72, s72, exec_lo
	s_or_saveexec_b32 s16, s16
	v_mov_b32_e32 v110, 0x7f800001
	s_xor_b32 exec_lo, exec_lo, s16
	s_cbranch_execnz .LBB6_2185
.LBB6_1886:                             ;   in Loop: Header=BB6_138 Depth=3
	s_or_b32 exec_lo, exec_lo, s16
	s_and_saveexec_b32 s16, s72
	s_cbranch_execz .LBB6_1888
.LBB6_1887:                             ;   in Loop: Header=BB6_138 Depth=3
	v_and_b32_e32 v110, 3, v11
	v_bfe_u32 v111, v11, 2, 5
	v_ffbh_u32_e32 v120, v110
	v_cmp_eq_u32_e32 vcc_lo, 0, v111
	v_min_u32_e32 v120, 32, v120
	v_subrev_nc_u32_e32 v121, 29, v120
	v_sub_nc_u32_e32 v120, 30, v120
	v_lshlrev_b32_e32 v121, v121, v11
	v_cndmask_b32_e32 v111, v111, v120, vcc_lo
	v_lshlrev_b32_e32 v120, 24, v11
	v_and_b32_e32 v121, 3, v121
	v_lshl_add_u32 v111, v111, 23, 0x37800000
	v_and_b32_e32 v120, 0x80000000, v120
	v_cndmask_b32_e32 v110, v110, v121, vcc_lo
	v_lshlrev_b32_e32 v110, 21, v110
	v_or3_b32 v110, v120, v111, v110
.LBB6_1888:                             ;   in Loop: Header=BB6_138 Depth=3
	s_or_b32 exec_lo, exec_lo, s16
	v_mul_f32_e32 v111, s63, v110
	v_and_b32_e32 v110, 0x7f800000, v111
	v_cmp_ne_u32_e32 vcc_lo, 0x7f800000, v110
	v_mov_b32_e32 v110, 0x80
	s_and_saveexec_b32 s72, vcc_lo
	s_cbranch_execz .LBB6_1896
; %bb.1889:                             ;   in Loop: Header=BB6_138 Depth=3
	v_mov_b32_e32 v110, 0
	s_mov_b32 s73, exec_lo
	v_cmpx_ne_u32_e32 0, v111
	s_cbranch_execz .LBB6_1895
; %bb.1890:                             ;   in Loop: Header=BB6_138 Depth=3
	v_bfe_u32 v120, v111, 23, 8
	v_and_b32_e32 v110, 0x7fffff, v111
	v_cmp_gt_u32_e64 s16, 0x71, v120
	v_sub_nc_u32_e32 v121, 0x70, v120
	v_cmp_eq_u32_e32 vcc_lo, 0, v120
	v_or_b32_e32 v122, 0x800000, v110
	v_cndmask_b32_e64 v121, 0, v121, s16
	v_cndmask_b32_e32 v110, v122, v110, vcc_lo
	v_cndmask_b32_e64 v121, v121, 0x6f, vcc_lo
	v_lshl_add_u32 v122, 0x200000, v121, -1
	v_lshlrev_b32_e64 v123, v121, 0x100000
	v_and_b32_e32 v122, v122, v110
	v_cmp_eq_u32_e64 s16, v122, v123
	v_lshrrev_b32_e32 v122, v121, v110
	v_add_nc_u32_e32 v110, 0xffffff91, v120
	v_lshrrev_b32_e32 v120, 23, v122
	v_cndmask_b32_e64 v110, v110, 0xffffff92, vcc_lo
	v_xor_b32_e32 v120, 1, v120
	v_add_nc_u32_e32 v110, v121, v110
	v_bfe_u32 v121, v122, 21, 1
	v_add_nc_u32_e32 v121, -1, v121
	v_cndmask_b32_e64 v121, 0, v121, s16
	s_mov_b32 s16, exec_lo
	v_add_nc_u32_e32 v121, v121, v122
	v_and_b32_e32 v121, 0x1fffff, v121
	v_add_nc_u32_e32 v121, v121, v122
                                        ; implicit-def: $vgpr122
	v_cmpx_ne_u32_e64 v110, v120
	s_xor_b32 s16, exec_lo, s16
; %bb.1891:                             ;   in Loop: Header=BB6_138 Depth=3
	v_cmp_lt_u32_e32 vcc_lo, 0xffffff, v121
	v_sub_nc_u32_e32 v110, v110, v120
	v_cndmask_b32_e64 v120, 0, 1, vcc_lo
	v_add_co_ci_u32_e64 v122, null, 0, v110, vcc_lo
	v_lshrrev_b32_e32 v121, v120, v121
; %bb.1892:                             ;   in Loop: Header=BB6_138 Depth=3
	s_andn2_saveexec_b32 s16, s16
; %bb.1893:                             ;   in Loop: Header=BB6_138 Depth=3
	v_bfe_u32 v122, v121, 23, 1
; %bb.1894:                             ;   in Loop: Header=BB6_138 Depth=3
	s_or_b32 exec_lo, exec_lo, s16
	v_and_b32_sdwa v110, v111, v117 dst_sel:DWORD dst_unused:UNUSED_PAD src0_sel:BYTE_3 src1_sel:DWORD
	v_lshrrev_b32_e32 v111, 21, v121
	v_min_i32_e32 v120, 31, v122
	v_cmp_gt_i32_e32 vcc_lo, 32, v122
	v_lshlrev_b32_e32 v120, 2, v120
	v_cndmask_b32_e32 v111, 3, v111, vcc_lo
	v_and_b32_e32 v120, 0xfc, v120
	v_or_b32_e32 v121, v122, v111
	v_and_b32_e32 v111, 3, v111
	v_cmp_ne_u32_e32 vcc_lo, 0, v121
	v_or3_b32 v110, v120, v110, v111
	v_cndmask_b32_e32 v110, 0, v110, vcc_lo
.LBB6_1895:                             ;   in Loop: Header=BB6_138 Depth=3
	s_or_b32 exec_lo, exec_lo, s73
.LBB6_1896:                             ;   in Loop: Header=BB6_138 Depth=3
	s_or_b32 exec_lo, exec_lo, s72
	v_cmp_gt_i16_sdwa s72, v11, v116 src0_sel:BYTE_1 src1_sel:DWORD
	s_mov_b32 s16, 0
	s_and_saveexec_b32 s73, s72
	s_xor_b32 s72, exec_lo, s73
	s_cbranch_execz .LBB6_2186
; %bb.1897:                             ;   in Loop: Header=BB6_138 Depth=3
	v_cmp_eq_u16_sdwa s74, v11, v117 src0_sel:BYTE_1 src1_sel:DWORD
	s_mov_b32 s16, -1
	s_and_saveexec_b32 s73, s74
; %bb.1898:                             ;   in Loop: Header=BB6_138 Depth=3
	s_xor_b32 s16, exec_lo, -1
; %bb.1899:                             ;   in Loop: Header=BB6_138 Depth=3
	s_or_b32 exec_lo, exec_lo, s73
	s_and_b32 s16, s16, exec_lo
	s_or_saveexec_b32 s72, s72
	v_mov_b32_e32 v111, 0x7f800001
	s_xor_b32 exec_lo, exec_lo, s72
	s_cbranch_execnz .LBB6_2187
.LBB6_1900:                             ;   in Loop: Header=BB6_138 Depth=3
	s_or_b32 exec_lo, exec_lo, s72
	s_and_saveexec_b32 s72, s16
	s_cbranch_execz .LBB6_1902
.LBB6_1901:                             ;   in Loop: Header=BB6_138 Depth=3
	v_and_b32_sdwa v111, v118, v11 dst_sel:DWORD dst_unused:UNUSED_PAD src0_sel:DWORD src1_sel:BYTE_1
	v_and_b32_e32 v120, 3, v111
	v_bfe_u32 v123, v111, 2, 5
	v_ffbh_u32_e32 v121, v120
	v_cmp_eq_u32_e32 vcc_lo, 0, v123
	v_min_u32_e32 v121, 32, v121
	v_subrev_nc_u32_e32 v122, 29, v121
	v_sub_nc_u32_e32 v121, 30, v121
	v_lshlrev_b32_e32 v111, v122, v111
	v_lshlrev_b32_sdwa v122, v119, v11 dst_sel:DWORD dst_unused:UNUSED_PAD src0_sel:DWORD src1_sel:BYTE_1
	v_cndmask_b32_e32 v121, v123, v121, vcc_lo
	v_and_b32_e32 v111, 3, v111
	v_lshl_add_u32 v121, v121, 23, 0x37800000
	v_cndmask_b32_e32 v111, v120, v111, vcc_lo
	v_and_b32_e32 v120, 0x80000000, v122
	v_lshlrev_b32_e32 v111, 21, v111
	v_or3_b32 v111, v120, v121, v111
.LBB6_1902:                             ;   in Loop: Header=BB6_138 Depth=3
	s_or_b32 exec_lo, exec_lo, s72
	v_mul_f32_e32 v120, s63, v111
	v_and_b32_e32 v111, 0x7f800000, v120
	v_cmp_ne_u32_e32 vcc_lo, 0x7f800000, v111
	v_mov_b32_e32 v111, 0x8000
	s_and_saveexec_b32 s72, vcc_lo
	s_cbranch_execz .LBB6_1910
; %bb.1903:                             ;   in Loop: Header=BB6_138 Depth=3
	v_mov_b32_e32 v111, 0
	s_mov_b32 s73, exec_lo
	v_cmpx_ne_u32_e32 0, v120
	s_cbranch_execz .LBB6_1909
; %bb.1904:                             ;   in Loop: Header=BB6_138 Depth=3
	v_bfe_u32 v121, v120, 23, 8
	v_and_b32_e32 v111, 0x7fffff, v120
	v_cmp_gt_u32_e64 s16, 0x71, v121
	v_sub_nc_u32_e32 v122, 0x70, v121
	v_cmp_eq_u32_e32 vcc_lo, 0, v121
	v_or_b32_e32 v123, 0x800000, v111
	v_cndmask_b32_e64 v122, 0, v122, s16
	v_cndmask_b32_e32 v111, v123, v111, vcc_lo
	v_cndmask_b32_e64 v122, v122, 0x6f, vcc_lo
	v_lshl_add_u32 v123, 0x200000, v122, -1
	v_lshlrev_b32_e64 v124, v122, 0x100000
	v_and_b32_e32 v123, v123, v111
	v_cmp_eq_u32_e64 s16, v123, v124
	v_lshrrev_b32_e32 v123, v122, v111
	v_add_nc_u32_e32 v111, 0xffffff91, v121
	v_lshrrev_b32_e32 v121, 23, v123
	v_cndmask_b32_e64 v111, v111, 0xffffff92, vcc_lo
	v_xor_b32_e32 v121, 1, v121
	v_add_nc_u32_e32 v111, v122, v111
	v_bfe_u32 v122, v123, 21, 1
	v_add_nc_u32_e32 v122, -1, v122
	v_cndmask_b32_e64 v122, 0, v122, s16
	s_mov_b32 s16, exec_lo
	v_add_nc_u32_e32 v122, v122, v123
	v_and_b32_e32 v122, 0x1fffff, v122
	v_add_nc_u32_e32 v122, v122, v123
                                        ; implicit-def: $vgpr123
	v_cmpx_ne_u32_e64 v111, v121
	s_xor_b32 s16, exec_lo, s16
; %bb.1905:                             ;   in Loop: Header=BB6_138 Depth=3
	v_cmp_lt_u32_e32 vcc_lo, 0xffffff, v122
	v_sub_nc_u32_e32 v111, v111, v121
	v_cndmask_b32_e64 v121, 0, 1, vcc_lo
	v_add_co_ci_u32_e64 v123, null, 0, v111, vcc_lo
	v_lshrrev_b32_e32 v122, v121, v122
; %bb.1906:                             ;   in Loop: Header=BB6_138 Depth=3
	s_andn2_saveexec_b32 s16, s16
; %bb.1907:                             ;   in Loop: Header=BB6_138 Depth=3
	v_bfe_u32 v123, v122, 23, 1
; %bb.1908:                             ;   in Loop: Header=BB6_138 Depth=3
	s_or_b32 exec_lo, exec_lo, s16
	v_and_b32_sdwa v111, v120, v117 dst_sel:DWORD dst_unused:UNUSED_PAD src0_sel:BYTE_3 src1_sel:DWORD
	v_lshrrev_b32_e32 v120, 21, v122
	v_min_i32_e32 v121, 31, v123
	v_cmp_gt_i32_e32 vcc_lo, 32, v123
	v_lshlrev_b32_e32 v121, 2, v121
	v_cndmask_b32_e32 v120, 3, v120, vcc_lo
	v_and_b32_e32 v121, 0xfc, v121
	v_or_b32_e32 v122, v123, v120
	v_and_b32_e32 v120, 3, v120
	v_cmp_ne_u32_e32 vcc_lo, 0, v122
	v_or3_b32 v111, v111, v121, v120
	v_lshlrev_b32_e32 v111, 8, v111
	v_cndmask_b32_e32 v111, 0, v111, vcc_lo
.LBB6_1909:                             ;   in Loop: Header=BB6_138 Depth=3
	s_or_b32 exec_lo, exec_lo, s73
.LBB6_1910:                             ;   in Loop: Header=BB6_138 Depth=3
	s_or_b32 exec_lo, exec_lo, s72
	v_and_b32_sdwa v121, v11, v40 dst_sel:DWORD dst_unused:UNUSED_PAD src0_sel:WORD_1 src1_sel:DWORD
	s_mov_b32 s72, 0
	s_mov_b32 s16, exec_lo
	v_cmpx_lt_i16_e32 0x7f, v121
	s_xor_b32 s16, exec_lo, s16
	s_cbranch_execz .LBB6_2188
; %bb.1911:                             ;   in Loop: Header=BB6_138 Depth=3
	s_mov_b32 s72, -1
	s_mov_b32 s73, exec_lo
	v_cmpx_eq_u16_e32 0x80, v121
; %bb.1912:                             ;   in Loop: Header=BB6_138 Depth=3
	s_xor_b32 s72, exec_lo, -1
; %bb.1913:                             ;   in Loop: Header=BB6_138 Depth=3
	s_or_b32 exec_lo, exec_lo, s73
	s_and_b32 s72, s72, exec_lo
                                        ; implicit-def: $vgpr121
	s_or_saveexec_b32 s16, s16
	v_mov_b32_e32 v120, 0x7f800001
	s_xor_b32 exec_lo, exec_lo, s16
	s_cbranch_execnz .LBB6_2189
.LBB6_1914:                             ;   in Loop: Header=BB6_138 Depth=3
	s_or_b32 exec_lo, exec_lo, s16
	s_and_saveexec_b32 s16, s72
	s_cbranch_execz .LBB6_1916
.LBB6_1915:                             ;   in Loop: Header=BB6_138 Depth=3
	v_bfe_u32 v120, v11, 16, 2
	v_bfe_u32 v121, v11, 18, 5
	v_ffbh_u32_e32 v122, v120
	v_cmp_eq_u32_e32 vcc_lo, 0, v121
	v_min_u32_e32 v122, 32, v122
	v_subrev_nc_u32_e32 v123, 29, v122
	v_sub_nc_u32_e32 v122, 30, v122
	v_lshlrev_b32_sdwa v123, v123, v11 dst_sel:DWORD dst_unused:UNUSED_PAD src0_sel:DWORD src1_sel:WORD_1
	v_cndmask_b32_e32 v121, v121, v122, vcc_lo
	v_lshlrev_b32_e32 v122, 8, v11
	v_and_b32_e32 v123, 3, v123
	v_lshl_add_u32 v121, v121, 23, 0x37800000
	v_and_b32_e32 v122, 0x80000000, v122
	v_cndmask_b32_e32 v120, v120, v123, vcc_lo
	v_lshlrev_b32_e32 v120, 21, v120
	v_or3_b32 v120, v122, v121, v120
.LBB6_1916:                             ;   in Loop: Header=BB6_138 Depth=3
	s_or_b32 exec_lo, exec_lo, s16
	v_mul_f32_e32 v121, s63, v120
	v_and_b32_e32 v120, 0x7f800000, v121
	v_cmp_ne_u32_e32 vcc_lo, 0x7f800000, v120
	v_mov_b32_e32 v120, 0x80
	s_and_saveexec_b32 s72, vcc_lo
	s_cbranch_execz .LBB6_1924
; %bb.1917:                             ;   in Loop: Header=BB6_138 Depth=3
	v_mov_b32_e32 v120, 0
	s_mov_b32 s73, exec_lo
	v_cmpx_ne_u32_e32 0, v121
	s_cbranch_execz .LBB6_1923
; %bb.1918:                             ;   in Loop: Header=BB6_138 Depth=3
	v_bfe_u32 v122, v121, 23, 8
	v_and_b32_e32 v120, 0x7fffff, v121
	v_cmp_gt_u32_e64 s16, 0x71, v122
	v_sub_nc_u32_e32 v123, 0x70, v122
	v_cmp_eq_u32_e32 vcc_lo, 0, v122
	v_or_b32_e32 v124, 0x800000, v120
	v_cndmask_b32_e64 v123, 0, v123, s16
	v_cndmask_b32_e32 v120, v124, v120, vcc_lo
	v_cndmask_b32_e64 v123, v123, 0x6f, vcc_lo
	v_lshl_add_u32 v124, 0x200000, v123, -1
	v_lshlrev_b32_e64 v125, v123, 0x100000
	v_and_b32_e32 v124, v124, v120
	v_cmp_eq_u32_e64 s16, v124, v125
	v_lshrrev_b32_e32 v124, v123, v120
	v_add_nc_u32_e32 v120, 0xffffff91, v122
	v_lshrrev_b32_e32 v122, 23, v124
	v_cndmask_b32_e64 v120, v120, 0xffffff92, vcc_lo
	v_xor_b32_e32 v122, 1, v122
	v_add_nc_u32_e32 v120, v123, v120
	v_bfe_u32 v123, v124, 21, 1
	v_add_nc_u32_e32 v123, -1, v123
	v_cndmask_b32_e64 v123, 0, v123, s16
	s_mov_b32 s16, exec_lo
	v_add_nc_u32_e32 v123, v123, v124
	v_and_b32_e32 v123, 0x1fffff, v123
	v_add_nc_u32_e32 v123, v123, v124
                                        ; implicit-def: $vgpr124
	v_cmpx_ne_u32_e64 v120, v122
	s_xor_b32 s16, exec_lo, s16
; %bb.1919:                             ;   in Loop: Header=BB6_138 Depth=3
	v_cmp_lt_u32_e32 vcc_lo, 0xffffff, v123
	v_sub_nc_u32_e32 v120, v120, v122
	v_cndmask_b32_e64 v122, 0, 1, vcc_lo
	v_add_co_ci_u32_e64 v124, null, 0, v120, vcc_lo
	v_lshrrev_b32_e32 v123, v122, v123
; %bb.1920:                             ;   in Loop: Header=BB6_138 Depth=3
	s_andn2_saveexec_b32 s16, s16
; %bb.1921:                             ;   in Loop: Header=BB6_138 Depth=3
	v_bfe_u32 v124, v123, 23, 1
; %bb.1922:                             ;   in Loop: Header=BB6_138 Depth=3
	s_or_b32 exec_lo, exec_lo, s16
	v_and_b32_sdwa v120, v121, v117 dst_sel:DWORD dst_unused:UNUSED_PAD src0_sel:BYTE_3 src1_sel:DWORD
	v_lshrrev_b32_e32 v121, 21, v123
	v_min_i32_e32 v122, 31, v124
	v_cmp_gt_i32_e32 vcc_lo, 32, v124
	v_lshlrev_b32_e32 v122, 2, v122
	v_cndmask_b32_e32 v121, 3, v121, vcc_lo
	v_and_b32_e32 v122, 0xfc, v122
	v_or_b32_e32 v123, v124, v121
	v_and_b32_e32 v121, 3, v121
	v_cmp_ne_u32_e32 vcc_lo, 0, v123
	v_or3_b32 v120, v122, v120, v121
	v_cndmask_b32_e32 v120, 0, v120, vcc_lo
.LBB6_1923:                             ;   in Loop: Header=BB6_138 Depth=3
	s_or_b32 exec_lo, exec_lo, s73
.LBB6_1924:                             ;   in Loop: Header=BB6_138 Depth=3
	s_or_b32 exec_lo, exec_lo, s72
	v_cmp_gt_i16_sdwa s72, v11, v116 src0_sel:BYTE_3 src1_sel:DWORD
	s_mov_b32 s16, 0
	s_and_saveexec_b32 s73, s72
	s_xor_b32 s72, exec_lo, s73
	s_cbranch_execz .LBB6_2190
; %bb.1925:                             ;   in Loop: Header=BB6_138 Depth=3
	v_cmp_eq_u16_sdwa s74, v11, v117 src0_sel:BYTE_3 src1_sel:DWORD
	s_mov_b32 s16, -1
	s_and_saveexec_b32 s73, s74
; %bb.1926:                             ;   in Loop: Header=BB6_138 Depth=3
	s_xor_b32 s16, exec_lo, -1
; %bb.1927:                             ;   in Loop: Header=BB6_138 Depth=3
	s_or_b32 exec_lo, exec_lo, s73
	s_and_b32 s16, s16, exec_lo
	s_or_saveexec_b32 s72, s72
	v_mov_b32_e32 v121, 0x7f800001
	s_xor_b32 exec_lo, exec_lo, s72
	s_cbranch_execnz .LBB6_2191
.LBB6_1928:                             ;   in Loop: Header=BB6_138 Depth=3
	s_or_b32 exec_lo, exec_lo, s72
	s_and_saveexec_b32 s72, s16
	s_cbranch_execz .LBB6_1930
.LBB6_1929:                             ;   in Loop: Header=BB6_138 Depth=3
	v_bfe_u32 v121, v11, 24, 2
	v_bfe_u32 v124, v11, 26, 5
	v_ffbh_u32_e32 v122, v121
	v_cmp_eq_u32_e32 vcc_lo, 0, v124
	v_min_u32_e32 v122, 32, v122
	v_subrev_nc_u32_e32 v123, 29, v122
	v_sub_nc_u32_e32 v122, 30, v122
	v_lshlrev_b32_sdwa v123, v123, v11 dst_sel:DWORD dst_unused:UNUSED_PAD src0_sel:DWORD src1_sel:BYTE_3
	v_cndmask_b32_e32 v122, v124, v122, vcc_lo
	v_and_b32_e32 v11, 0x80000000, v11
	v_and_b32_e32 v123, 3, v123
	v_lshl_add_u32 v122, v122, 23, 0x37800000
	v_cndmask_b32_e32 v121, v121, v123, vcc_lo
	v_lshlrev_b32_e32 v121, 21, v121
	v_or3_b32 v121, v11, v122, v121
.LBB6_1930:                             ;   in Loop: Header=BB6_138 Depth=3
	s_or_b32 exec_lo, exec_lo, s72
	v_mul_f32_e32 v121, s63, v121
	v_and_b32_e32 v11, 0x7f800000, v121
	v_cmp_ne_u32_e32 vcc_lo, 0x7f800000, v11
	v_mov_b32_e32 v11, 0x8000
	s_and_saveexec_b32 s63, vcc_lo
	s_cbranch_execz .LBB6_137
; %bb.1931:                             ;   in Loop: Header=BB6_138 Depth=3
	v_mov_b32_e32 v11, 0
	s_mov_b32 s72, exec_lo
	v_cmpx_ne_u32_e32 0, v121
	s_cbranch_execz .LBB6_136
; %bb.1932:                             ;   in Loop: Header=BB6_138 Depth=3
	v_bfe_u32 v122, v121, 23, 8
	v_and_b32_e32 v11, 0x7fffff, v121
	v_cmp_gt_u32_e64 s16, 0x71, v122
	v_sub_nc_u32_e32 v123, 0x70, v122
	v_cmp_eq_u32_e32 vcc_lo, 0, v122
	v_or_b32_e32 v124, 0x800000, v11
	v_cndmask_b32_e64 v123, 0, v123, s16
	v_cndmask_b32_e32 v11, v124, v11, vcc_lo
	v_cndmask_b32_e64 v123, v123, 0x6f, vcc_lo
	v_lshl_add_u32 v124, 0x200000, v123, -1
	v_lshlrev_b32_e64 v125, v123, 0x100000
	v_and_b32_e32 v124, v124, v11
	v_cmp_eq_u32_e64 s16, v124, v125
	v_lshrrev_b32_e32 v124, v123, v11
	v_add_nc_u32_e32 v11, 0xffffff91, v122
	v_lshrrev_b32_e32 v122, 23, v124
	v_cndmask_b32_e64 v11, v11, 0xffffff92, vcc_lo
	v_xor_b32_e32 v122, 1, v122
	v_add_nc_u32_e32 v11, v123, v11
	v_bfe_u32 v123, v124, 21, 1
	v_add_nc_u32_e32 v123, -1, v123
	v_cndmask_b32_e64 v123, 0, v123, s16
	s_mov_b32 s16, exec_lo
	v_add_nc_u32_e32 v123, v123, v124
	v_and_b32_e32 v123, 0x1fffff, v123
	v_add_nc_u32_e32 v123, v123, v124
                                        ; implicit-def: $vgpr124
	v_cmpx_ne_u32_e64 v11, v122
	s_xor_b32 s16, exec_lo, s16
; %bb.1933:                             ;   in Loop: Header=BB6_138 Depth=3
	v_cmp_lt_u32_e32 vcc_lo, 0xffffff, v123
	v_sub_nc_u32_e32 v11, v11, v122
	v_cndmask_b32_e64 v122, 0, 1, vcc_lo
	v_add_co_ci_u32_e64 v124, null, 0, v11, vcc_lo
	v_lshrrev_b32_e32 v123, v122, v123
; %bb.1934:                             ;   in Loop: Header=BB6_138 Depth=3
	s_andn2_saveexec_b32 s16, s16
	s_cbranch_execz .LBB6_135
; %bb.1935:                             ;   in Loop: Header=BB6_138 Depth=3
	v_bfe_u32 v124, v123, 23, 1
	s_branch .LBB6_135
.LBB6_1936:                             ;   in Loop: Header=BB6_138 Depth=3
	s_or_saveexec_b32 s72, s72
	v_mov_b32_e32 v0, 0x7f800001
	s_xor_b32 exec_lo, exec_lo, s72
	s_cbranch_execz .LBB6_150
.LBB6_1937:                             ;   in Loop: Header=BB6_138 Depth=3
	v_cmp_ne_u16_sdwa s73, v8, v2 src0_sel:BYTE_0 src1_sel:DWORD
	v_mov_b32_e32 v0, 0
	s_andn2_b32 s16, s16, exec_lo
	s_and_b32 s73, s73, exec_lo
	s_or_b32 s16, s16, s73
	s_or_b32 exec_lo, exec_lo, s72
	s_and_saveexec_b32 s72, s16
	s_cbranch_execnz .LBB6_151
	s_branch .LBB6_152
.LBB6_1938:                             ;   in Loop: Header=BB6_138 Depth=3
	s_or_saveexec_b32 s72, s72
	v_mov_b32_e32 v0, 0x7f800001
	s_xor_b32 exec_lo, exec_lo, s72
	s_cbranch_execz .LBB6_164
.LBB6_1939:                             ;   in Loop: Header=BB6_138 Depth=3
	v_cmp_ne_u16_sdwa s73, v8, v2 src0_sel:BYTE_1 src1_sel:DWORD
	v_mov_b32_e32 v0, 0
	s_andn2_b32 s16, s16, exec_lo
	s_and_b32 s73, s73, exec_lo
	s_or_b32 s16, s16, s73
	s_or_b32 exec_lo, exec_lo, s72
	s_and_saveexec_b32 s72, s16
	s_cbranch_execnz .LBB6_165
	s_branch .LBB6_166
.LBB6_1940:                             ;   in Loop: Header=BB6_138 Depth=3
	s_or_saveexec_b32 s72, s72
	v_mov_b32_e32 v0, 0x7f800001
	s_xor_b32 exec_lo, exec_lo, s72
	s_cbranch_execz .LBB6_178
.LBB6_1941:                             ;   in Loop: Header=BB6_138 Depth=3
	v_cmp_ne_u16_e32 vcc_lo, 0, v1
	v_mov_b32_e32 v0, 0
	s_andn2_b32 s16, s16, exec_lo
	s_and_b32 s73, vcc_lo, exec_lo
	s_or_b32 s16, s16, s73
	s_or_b32 exec_lo, exec_lo, s72
	s_and_saveexec_b32 s72, s16
	s_cbranch_execnz .LBB6_179
	s_branch .LBB6_180
.LBB6_1942:                             ;   in Loop: Header=BB6_138 Depth=3
	s_or_saveexec_b32 s72, s72
	v_mov_b32_e32 v0, 0x7f800001
	s_xor_b32 exec_lo, exec_lo, s72
	s_cbranch_execz .LBB6_192
.LBB6_1943:                             ;   in Loop: Header=BB6_138 Depth=3
	v_cmp_ne_u16_sdwa s73, v8, v2 src0_sel:BYTE_3 src1_sel:DWORD
	v_mov_b32_e32 v0, 0
	s_andn2_b32 s16, s16, exec_lo
	s_and_b32 s73, s73, exec_lo
	s_or_b32 s16, s16, s73
	s_or_b32 exec_lo, exec_lo, s72
	s_and_saveexec_b32 s72, s16
	s_cbranch_execnz .LBB6_193
	s_branch .LBB6_194
.LBB6_1944:                             ;   in Loop: Header=BB6_138 Depth=3
	s_or_saveexec_b32 s72, s72
	v_mov_b32_e32 v0, 0x7f800001
	s_xor_b32 exec_lo, exec_lo, s72
	s_cbranch_execz .LBB6_206
.LBB6_1945:                             ;   in Loop: Header=BB6_138 Depth=3
	v_cmp_ne_u16_sdwa s73, v9, v2 src0_sel:BYTE_0 src1_sel:DWORD
	v_mov_b32_e32 v0, 0
	s_andn2_b32 s16, s16, exec_lo
	s_and_b32 s73, s73, exec_lo
	s_or_b32 s16, s16, s73
	s_or_b32 exec_lo, exec_lo, s72
	s_and_saveexec_b32 s72, s16
	s_cbranch_execnz .LBB6_207
	s_branch .LBB6_208
.LBB6_1946:                             ;   in Loop: Header=BB6_138 Depth=3
	s_or_saveexec_b32 s72, s72
	v_mov_b32_e32 v0, 0x7f800001
	s_xor_b32 exec_lo, exec_lo, s72
	s_cbranch_execz .LBB6_220
.LBB6_1947:                             ;   in Loop: Header=BB6_138 Depth=3
	v_cmp_ne_u16_sdwa s73, v9, v2 src0_sel:BYTE_1 src1_sel:DWORD
	v_mov_b32_e32 v0, 0
	s_andn2_b32 s16, s16, exec_lo
	s_and_b32 s73, s73, exec_lo
	s_or_b32 s16, s16, s73
	s_or_b32 exec_lo, exec_lo, s72
	s_and_saveexec_b32 s72, s16
	s_cbranch_execnz .LBB6_221
	s_branch .LBB6_222
.LBB6_1948:                             ;   in Loop: Header=BB6_138 Depth=3
	s_or_saveexec_b32 s72, s72
	v_mov_b32_e32 v0, 0x7f800001
	s_xor_b32 exec_lo, exec_lo, s72
	s_cbranch_execz .LBB6_234
.LBB6_1949:                             ;   in Loop: Header=BB6_138 Depth=3
	v_cmp_ne_u16_e32 vcc_lo, 0, v1
	v_mov_b32_e32 v0, 0
	s_andn2_b32 s16, s16, exec_lo
	s_and_b32 s73, vcc_lo, exec_lo
	s_or_b32 s16, s16, s73
	s_or_b32 exec_lo, exec_lo, s72
	s_and_saveexec_b32 s72, s16
	s_cbranch_execnz .LBB6_235
	s_branch .LBB6_236
.LBB6_1950:                             ;   in Loop: Header=BB6_138 Depth=3
	s_or_saveexec_b32 s72, s72
	v_mov_b32_e32 v0, 0x7f800001
	s_xor_b32 exec_lo, exec_lo, s72
	s_cbranch_execz .LBB6_248
.LBB6_1951:                             ;   in Loop: Header=BB6_138 Depth=3
	v_cmp_ne_u16_sdwa s73, v9, v2 src0_sel:BYTE_3 src1_sel:DWORD
	v_mov_b32_e32 v0, 0
	s_andn2_b32 s16, s16, exec_lo
	s_and_b32 s73, s73, exec_lo
	s_or_b32 s16, s16, s73
	s_or_b32 exec_lo, exec_lo, s72
	s_and_saveexec_b32 s72, s16
	s_cbranch_execnz .LBB6_249
	s_branch .LBB6_250
.LBB6_1952:                             ;   in Loop: Header=BB6_138 Depth=3
	s_or_saveexec_b32 s72, s72
	v_mov_b32_e32 v0, 0x7f800001
	s_xor_b32 exec_lo, exec_lo, s72
	s_cbranch_execz .LBB6_262
.LBB6_1953:                             ;   in Loop: Header=BB6_138 Depth=3
	v_cmp_ne_u16_sdwa s73, v10, v2 src0_sel:BYTE_0 src1_sel:DWORD
	v_mov_b32_e32 v0, 0
	s_andn2_b32 s16, s16, exec_lo
	s_and_b32 s73, s73, exec_lo
	s_or_b32 s16, s16, s73
	s_or_b32 exec_lo, exec_lo, s72
	s_and_saveexec_b32 s72, s16
	s_cbranch_execnz .LBB6_263
	s_branch .LBB6_264
.LBB6_1954:                             ;   in Loop: Header=BB6_138 Depth=3
	s_or_saveexec_b32 s72, s72
	v_mov_b32_e32 v0, 0x7f800001
	s_xor_b32 exec_lo, exec_lo, s72
	s_cbranch_execz .LBB6_276
.LBB6_1955:                             ;   in Loop: Header=BB6_138 Depth=3
	v_cmp_ne_u16_sdwa s73, v10, v2 src0_sel:BYTE_1 src1_sel:DWORD
	v_mov_b32_e32 v0, 0
	s_andn2_b32 s16, s16, exec_lo
	s_and_b32 s73, s73, exec_lo
	s_or_b32 s16, s16, s73
	s_or_b32 exec_lo, exec_lo, s72
	s_and_saveexec_b32 s72, s16
	s_cbranch_execnz .LBB6_277
	s_branch .LBB6_278
.LBB6_1956:                             ;   in Loop: Header=BB6_138 Depth=3
	s_or_saveexec_b32 s72, s72
	v_mov_b32_e32 v0, 0x7f800001
	s_xor_b32 exec_lo, exec_lo, s72
	s_cbranch_execz .LBB6_290
.LBB6_1957:                             ;   in Loop: Header=BB6_138 Depth=3
	v_cmp_ne_u16_e32 vcc_lo, 0, v1
	v_mov_b32_e32 v0, 0
	s_andn2_b32 s16, s16, exec_lo
	s_and_b32 s73, vcc_lo, exec_lo
	s_or_b32 s16, s16, s73
	s_or_b32 exec_lo, exec_lo, s72
	s_and_saveexec_b32 s72, s16
	s_cbranch_execnz .LBB6_291
	s_branch .LBB6_292
.LBB6_1958:                             ;   in Loop: Header=BB6_138 Depth=3
	s_or_saveexec_b32 s72, s72
	v_mov_b32_e32 v0, 0x7f800001
	s_xor_b32 exec_lo, exec_lo, s72
	s_cbranch_execz .LBB6_304
.LBB6_1959:                             ;   in Loop: Header=BB6_138 Depth=3
	v_cmp_ne_u16_sdwa s73, v10, v2 src0_sel:BYTE_3 src1_sel:DWORD
	v_mov_b32_e32 v0, 0
	s_andn2_b32 s16, s16, exec_lo
	s_and_b32 s73, s73, exec_lo
	s_or_b32 s16, s16, s73
	s_or_b32 exec_lo, exec_lo, s72
	s_and_saveexec_b32 s72, s16
	s_cbranch_execnz .LBB6_305
	s_branch .LBB6_306
.LBB6_1960:                             ;   in Loop: Header=BB6_138 Depth=3
	s_or_saveexec_b32 s72, s72
	v_mov_b32_e32 v0, 0x7f800001
	s_xor_b32 exec_lo, exec_lo, s72
	s_cbranch_execz .LBB6_318
.LBB6_1961:                             ;   in Loop: Header=BB6_138 Depth=3
	v_cmp_ne_u16_sdwa s73, v11, v2 src0_sel:BYTE_0 src1_sel:DWORD
	v_mov_b32_e32 v0, 0
	s_andn2_b32 s16, s16, exec_lo
	s_and_b32 s73, s73, exec_lo
	s_or_b32 s16, s16, s73
	s_or_b32 exec_lo, exec_lo, s72
	s_and_saveexec_b32 s72, s16
	s_cbranch_execnz .LBB6_319
	s_branch .LBB6_320
.LBB6_1962:                             ;   in Loop: Header=BB6_138 Depth=3
	s_or_saveexec_b32 s72, s72
	v_mov_b32_e32 v0, 0x7f800001
	s_xor_b32 exec_lo, exec_lo, s72
	s_cbranch_execz .LBB6_332
.LBB6_1963:                             ;   in Loop: Header=BB6_138 Depth=3
	v_cmp_ne_u16_sdwa s73, v11, v2 src0_sel:BYTE_1 src1_sel:DWORD
	v_mov_b32_e32 v0, 0
	s_andn2_b32 s16, s16, exec_lo
	s_and_b32 s73, s73, exec_lo
	s_or_b32 s16, s16, s73
	s_or_b32 exec_lo, exec_lo, s72
	s_and_saveexec_b32 s72, s16
	s_cbranch_execnz .LBB6_333
	s_branch .LBB6_334
.LBB6_1964:                             ;   in Loop: Header=BB6_138 Depth=3
	s_or_saveexec_b32 s72, s72
	v_mov_b32_e32 v0, 0x7f800001
	s_xor_b32 exec_lo, exec_lo, s72
	s_cbranch_execz .LBB6_346
.LBB6_1965:                             ;   in Loop: Header=BB6_138 Depth=3
	v_cmp_ne_u16_e32 vcc_lo, 0, v1
	v_mov_b32_e32 v0, 0
	s_andn2_b32 s16, s16, exec_lo
	s_and_b32 s73, vcc_lo, exec_lo
	s_or_b32 s16, s16, s73
	s_or_b32 exec_lo, exec_lo, s72
	s_and_saveexec_b32 s72, s16
	s_cbranch_execnz .LBB6_347
	s_branch .LBB6_348
.LBB6_1966:                             ;   in Loop: Header=BB6_138 Depth=3
	s_or_saveexec_b32 s72, s72
	v_mov_b32_e32 v0, 0x7f800001
	s_xor_b32 exec_lo, exec_lo, s72
	s_cbranch_execz .LBB6_360
.LBB6_1967:                             ;   in Loop: Header=BB6_138 Depth=3
	v_cmp_ne_u16_sdwa s73, v11, v2 src0_sel:BYTE_3 src1_sel:DWORD
	v_mov_b32_e32 v0, 0
	s_andn2_b32 s16, s16, exec_lo
	s_and_b32 s73, s73, exec_lo
	s_or_b32 s16, s16, s73
	s_or_b32 exec_lo, exec_lo, s72
	s_and_saveexec_b32 s72, s16
	s_cbranch_execnz .LBB6_361
	s_branch .LBB6_362
.LBB6_1968:                             ;   in Loop: Header=BB6_138 Depth=3
	s_or_saveexec_b32 s72, s72
	v_mov_b32_e32 v0, 0x7f800001
	s_xor_b32 exec_lo, exec_lo, s72
	s_cbranch_execz .LBB6_374
.LBB6_1969:                             ;   in Loop: Header=BB6_138 Depth=3
	v_cmp_ne_u16_sdwa s73, v8, v2 src0_sel:BYTE_0 src1_sel:DWORD
	v_mov_b32_e32 v0, 0
	s_andn2_b32 s16, s16, exec_lo
	s_and_b32 s73, s73, exec_lo
	s_or_b32 s16, s16, s73
	s_or_b32 exec_lo, exec_lo, s72
	s_and_saveexec_b32 s72, s16
	s_cbranch_execnz .LBB6_375
	s_branch .LBB6_376
.LBB6_1970:                             ;   in Loop: Header=BB6_138 Depth=3
	s_or_saveexec_b32 s72, s72
	v_mov_b32_e32 v0, 0x7f800001
	s_xor_b32 exec_lo, exec_lo, s72
	s_cbranch_execz .LBB6_388
.LBB6_1971:                             ;   in Loop: Header=BB6_138 Depth=3
	v_cmp_ne_u16_sdwa s73, v8, v2 src0_sel:BYTE_1 src1_sel:DWORD
	v_mov_b32_e32 v0, 0
	s_andn2_b32 s16, s16, exec_lo
	s_and_b32 s73, s73, exec_lo
	s_or_b32 s16, s16, s73
	s_or_b32 exec_lo, exec_lo, s72
	s_and_saveexec_b32 s72, s16
	s_cbranch_execnz .LBB6_389
	s_branch .LBB6_390
.LBB6_1972:                             ;   in Loop: Header=BB6_138 Depth=3
	s_or_saveexec_b32 s72, s72
	v_mov_b32_e32 v0, 0x7f800001
	s_xor_b32 exec_lo, exec_lo, s72
	s_cbranch_execz .LBB6_402
.LBB6_1973:                             ;   in Loop: Header=BB6_138 Depth=3
	v_cmp_ne_u16_e32 vcc_lo, 0, v1
	v_mov_b32_e32 v0, 0
	s_andn2_b32 s16, s16, exec_lo
	s_and_b32 s73, vcc_lo, exec_lo
	s_or_b32 s16, s16, s73
	s_or_b32 exec_lo, exec_lo, s72
	s_and_saveexec_b32 s72, s16
	s_cbranch_execnz .LBB6_403
	s_branch .LBB6_404
.LBB6_1974:                             ;   in Loop: Header=BB6_138 Depth=3
	s_or_saveexec_b32 s72, s72
	v_mov_b32_e32 v0, 0x7f800001
	s_xor_b32 exec_lo, exec_lo, s72
	s_cbranch_execz .LBB6_416
.LBB6_1975:                             ;   in Loop: Header=BB6_138 Depth=3
	v_cmp_ne_u16_sdwa s73, v8, v2 src0_sel:BYTE_3 src1_sel:DWORD
	v_mov_b32_e32 v0, 0
	s_andn2_b32 s16, s16, exec_lo
	s_and_b32 s73, s73, exec_lo
	s_or_b32 s16, s16, s73
	s_or_b32 exec_lo, exec_lo, s72
	s_and_saveexec_b32 s72, s16
	s_cbranch_execnz .LBB6_417
	s_branch .LBB6_418
.LBB6_1976:                             ;   in Loop: Header=BB6_138 Depth=3
	s_or_saveexec_b32 s72, s72
	v_mov_b32_e32 v0, 0x7f800001
	s_xor_b32 exec_lo, exec_lo, s72
	s_cbranch_execz .LBB6_430
.LBB6_1977:                             ;   in Loop: Header=BB6_138 Depth=3
	v_cmp_ne_u16_sdwa s73, v9, v2 src0_sel:BYTE_0 src1_sel:DWORD
	v_mov_b32_e32 v0, 0
	s_andn2_b32 s16, s16, exec_lo
	s_and_b32 s73, s73, exec_lo
	s_or_b32 s16, s16, s73
	s_or_b32 exec_lo, exec_lo, s72
	s_and_saveexec_b32 s72, s16
	s_cbranch_execnz .LBB6_431
	s_branch .LBB6_432
.LBB6_1978:                             ;   in Loop: Header=BB6_138 Depth=3
	s_or_saveexec_b32 s72, s72
	v_mov_b32_e32 v0, 0x7f800001
	s_xor_b32 exec_lo, exec_lo, s72
	s_cbranch_execz .LBB6_444
.LBB6_1979:                             ;   in Loop: Header=BB6_138 Depth=3
	v_cmp_ne_u16_sdwa s73, v9, v2 src0_sel:BYTE_1 src1_sel:DWORD
	v_mov_b32_e32 v0, 0
	s_andn2_b32 s16, s16, exec_lo
	s_and_b32 s73, s73, exec_lo
	s_or_b32 s16, s16, s73
	s_or_b32 exec_lo, exec_lo, s72
	s_and_saveexec_b32 s72, s16
	s_cbranch_execnz .LBB6_445
	s_branch .LBB6_446
.LBB6_1980:                             ;   in Loop: Header=BB6_138 Depth=3
	s_or_saveexec_b32 s72, s72
	v_mov_b32_e32 v0, 0x7f800001
	s_xor_b32 exec_lo, exec_lo, s72
	s_cbranch_execz .LBB6_458
.LBB6_1981:                             ;   in Loop: Header=BB6_138 Depth=3
	v_cmp_ne_u16_e32 vcc_lo, 0, v1
	v_mov_b32_e32 v0, 0
	s_andn2_b32 s16, s16, exec_lo
	s_and_b32 s73, vcc_lo, exec_lo
	s_or_b32 s16, s16, s73
	s_or_b32 exec_lo, exec_lo, s72
	s_and_saveexec_b32 s72, s16
	s_cbranch_execnz .LBB6_459
	s_branch .LBB6_460
.LBB6_1982:                             ;   in Loop: Header=BB6_138 Depth=3
	s_or_saveexec_b32 s72, s72
	v_mov_b32_e32 v0, 0x7f800001
	s_xor_b32 exec_lo, exec_lo, s72
	s_cbranch_execz .LBB6_472
.LBB6_1983:                             ;   in Loop: Header=BB6_138 Depth=3
	v_cmp_ne_u16_sdwa s73, v9, v2 src0_sel:BYTE_3 src1_sel:DWORD
	v_mov_b32_e32 v0, 0
	s_andn2_b32 s16, s16, exec_lo
	s_and_b32 s73, s73, exec_lo
	s_or_b32 s16, s16, s73
	s_or_b32 exec_lo, exec_lo, s72
	s_and_saveexec_b32 s72, s16
	s_cbranch_execnz .LBB6_473
	s_branch .LBB6_474
.LBB6_1984:                             ;   in Loop: Header=BB6_138 Depth=3
	s_or_saveexec_b32 s72, s72
	v_mov_b32_e32 v0, 0x7f800001
	s_xor_b32 exec_lo, exec_lo, s72
	s_cbranch_execz .LBB6_486
.LBB6_1985:                             ;   in Loop: Header=BB6_138 Depth=3
	v_cmp_ne_u16_sdwa s73, v10, v2 src0_sel:BYTE_0 src1_sel:DWORD
	v_mov_b32_e32 v0, 0
	s_andn2_b32 s16, s16, exec_lo
	s_and_b32 s73, s73, exec_lo
	s_or_b32 s16, s16, s73
	s_or_b32 exec_lo, exec_lo, s72
	s_and_saveexec_b32 s72, s16
	s_cbranch_execnz .LBB6_487
	s_branch .LBB6_488
.LBB6_1986:                             ;   in Loop: Header=BB6_138 Depth=3
	s_or_saveexec_b32 s72, s72
	v_mov_b32_e32 v0, 0x7f800001
	s_xor_b32 exec_lo, exec_lo, s72
	s_cbranch_execz .LBB6_500
.LBB6_1987:                             ;   in Loop: Header=BB6_138 Depth=3
	v_cmp_ne_u16_sdwa s73, v10, v2 src0_sel:BYTE_1 src1_sel:DWORD
	v_mov_b32_e32 v0, 0
	s_andn2_b32 s16, s16, exec_lo
	s_and_b32 s73, s73, exec_lo
	s_or_b32 s16, s16, s73
	s_or_b32 exec_lo, exec_lo, s72
	s_and_saveexec_b32 s72, s16
	s_cbranch_execnz .LBB6_501
	s_branch .LBB6_502
.LBB6_1988:                             ;   in Loop: Header=BB6_138 Depth=3
	s_or_saveexec_b32 s72, s72
	v_mov_b32_e32 v0, 0x7f800001
	s_xor_b32 exec_lo, exec_lo, s72
	s_cbranch_execz .LBB6_514
.LBB6_1989:                             ;   in Loop: Header=BB6_138 Depth=3
	v_cmp_ne_u16_e32 vcc_lo, 0, v1
	v_mov_b32_e32 v0, 0
	s_andn2_b32 s16, s16, exec_lo
	s_and_b32 s73, vcc_lo, exec_lo
	s_or_b32 s16, s16, s73
	s_or_b32 exec_lo, exec_lo, s72
	s_and_saveexec_b32 s72, s16
	s_cbranch_execnz .LBB6_515
	s_branch .LBB6_516
.LBB6_1990:                             ;   in Loop: Header=BB6_138 Depth=3
	s_or_saveexec_b32 s72, s72
	v_mov_b32_e32 v0, 0x7f800001
	s_xor_b32 exec_lo, exec_lo, s72
	s_cbranch_execz .LBB6_528
.LBB6_1991:                             ;   in Loop: Header=BB6_138 Depth=3
	v_cmp_ne_u16_sdwa s73, v10, v2 src0_sel:BYTE_3 src1_sel:DWORD
	v_mov_b32_e32 v0, 0
	s_andn2_b32 s16, s16, exec_lo
	s_and_b32 s73, s73, exec_lo
	s_or_b32 s16, s16, s73
	s_or_b32 exec_lo, exec_lo, s72
	s_and_saveexec_b32 s72, s16
	s_cbranch_execnz .LBB6_529
	s_branch .LBB6_530
.LBB6_1992:                             ;   in Loop: Header=BB6_138 Depth=3
	s_or_saveexec_b32 s72, s72
	v_mov_b32_e32 v0, 0x7f800001
	s_xor_b32 exec_lo, exec_lo, s72
	s_cbranch_execz .LBB6_542
.LBB6_1993:                             ;   in Loop: Header=BB6_138 Depth=3
	v_cmp_ne_u16_sdwa s73, v11, v2 src0_sel:BYTE_0 src1_sel:DWORD
	v_mov_b32_e32 v0, 0
	s_andn2_b32 s16, s16, exec_lo
	s_and_b32 s73, s73, exec_lo
	s_or_b32 s16, s16, s73
	s_or_b32 exec_lo, exec_lo, s72
	s_and_saveexec_b32 s72, s16
	s_cbranch_execnz .LBB6_543
	s_branch .LBB6_544
.LBB6_1994:                             ;   in Loop: Header=BB6_138 Depth=3
	s_or_saveexec_b32 s72, s72
	v_mov_b32_e32 v0, 0x7f800001
	s_xor_b32 exec_lo, exec_lo, s72
	s_cbranch_execz .LBB6_556
.LBB6_1995:                             ;   in Loop: Header=BB6_138 Depth=3
	v_cmp_ne_u16_sdwa s73, v11, v2 src0_sel:BYTE_1 src1_sel:DWORD
	v_mov_b32_e32 v0, 0
	s_andn2_b32 s16, s16, exec_lo
	s_and_b32 s73, s73, exec_lo
	s_or_b32 s16, s16, s73
	s_or_b32 exec_lo, exec_lo, s72
	s_and_saveexec_b32 s72, s16
	s_cbranch_execnz .LBB6_557
	s_branch .LBB6_558
.LBB6_1996:                             ;   in Loop: Header=BB6_138 Depth=3
	s_or_saveexec_b32 s72, s72
	v_mov_b32_e32 v0, 0x7f800001
	s_xor_b32 exec_lo, exec_lo, s72
	s_cbranch_execz .LBB6_570
.LBB6_1997:                             ;   in Loop: Header=BB6_138 Depth=3
	v_cmp_ne_u16_e32 vcc_lo, 0, v1
	v_mov_b32_e32 v0, 0
	s_andn2_b32 s16, s16, exec_lo
	s_and_b32 s73, vcc_lo, exec_lo
	s_or_b32 s16, s16, s73
	s_or_b32 exec_lo, exec_lo, s72
	s_and_saveexec_b32 s72, s16
	s_cbranch_execnz .LBB6_571
	s_branch .LBB6_572
.LBB6_1998:                             ;   in Loop: Header=BB6_138 Depth=3
	s_or_saveexec_b32 s72, s72
	v_mov_b32_e32 v0, 0x7f800001
	s_xor_b32 exec_lo, exec_lo, s72
	s_cbranch_execz .LBB6_584
.LBB6_1999:                             ;   in Loop: Header=BB6_138 Depth=3
	v_cmp_ne_u16_sdwa s73, v11, v2 src0_sel:BYTE_3 src1_sel:DWORD
	v_mov_b32_e32 v0, 0
	s_andn2_b32 s16, s16, exec_lo
	s_and_b32 s73, s73, exec_lo
	s_or_b32 s16, s16, s73
	s_or_b32 exec_lo, exec_lo, s72
	s_and_saveexec_b32 s72, s16
	s_cbranch_execnz .LBB6_585
	s_branch .LBB6_586
.LBB6_2000:                             ;   in Loop: Header=BB6_138 Depth=3
	s_or_saveexec_b32 s72, s72
	v_mov_b32_e32 v0, 0x7f800001
	s_xor_b32 exec_lo, exec_lo, s72
	s_cbranch_execz .LBB6_598
.LBB6_2001:                             ;   in Loop: Header=BB6_138 Depth=3
	v_cmp_ne_u16_sdwa s73, v8, v2 src0_sel:BYTE_0 src1_sel:DWORD
	v_mov_b32_e32 v0, 0
	s_andn2_b32 s16, s16, exec_lo
	s_and_b32 s73, s73, exec_lo
	s_or_b32 s16, s16, s73
	s_or_b32 exec_lo, exec_lo, s72
	s_and_saveexec_b32 s72, s16
	s_cbranch_execnz .LBB6_599
	s_branch .LBB6_600
.LBB6_2002:                             ;   in Loop: Header=BB6_138 Depth=3
	s_or_saveexec_b32 s72, s72
	v_mov_b32_e32 v0, 0x7f800001
	s_xor_b32 exec_lo, exec_lo, s72
	s_cbranch_execz .LBB6_612
.LBB6_2003:                             ;   in Loop: Header=BB6_138 Depth=3
	v_cmp_ne_u16_sdwa s73, v8, v2 src0_sel:BYTE_1 src1_sel:DWORD
	v_mov_b32_e32 v0, 0
	s_andn2_b32 s16, s16, exec_lo
	s_and_b32 s73, s73, exec_lo
	s_or_b32 s16, s16, s73
	s_or_b32 exec_lo, exec_lo, s72
	s_and_saveexec_b32 s72, s16
	s_cbranch_execnz .LBB6_613
	s_branch .LBB6_614
.LBB6_2004:                             ;   in Loop: Header=BB6_138 Depth=3
	s_or_saveexec_b32 s16, s16
	v_mov_b32_e32 v0, 0x7f800001
	s_xor_b32 exec_lo, exec_lo, s16
	s_cbranch_execz .LBB6_626
.LBB6_2005:                             ;   in Loop: Header=BB6_138 Depth=3
	v_cmp_ne_u16_e32 vcc_lo, 0, v1
	v_mov_b32_e32 v0, 0
	s_andn2_b32 s72, s72, exec_lo
	s_and_b32 s73, vcc_lo, exec_lo
	s_or_b32 s72, s72, s73
	s_or_b32 exec_lo, exec_lo, s16
	s_and_saveexec_b32 s16, s72
	s_cbranch_execnz .LBB6_627
	s_branch .LBB6_628
.LBB6_2006:                             ;   in Loop: Header=BB6_138 Depth=3
	s_or_saveexec_b32 s72, s72
	v_mov_b32_e32 v0, 0x7f800001
	s_xor_b32 exec_lo, exec_lo, s72
	s_cbranch_execz .LBB6_640
.LBB6_2007:                             ;   in Loop: Header=BB6_138 Depth=3
	v_cmp_ne_u16_sdwa s73, v8, v2 src0_sel:BYTE_3 src1_sel:DWORD
	v_mov_b32_e32 v0, 0
	s_andn2_b32 s16, s16, exec_lo
	s_and_b32 s73, s73, exec_lo
	s_or_b32 s16, s16, s73
	s_or_b32 exec_lo, exec_lo, s72
	s_and_saveexec_b32 s72, s16
	s_cbranch_execnz .LBB6_641
	s_branch .LBB6_642
.LBB6_2008:                             ;   in Loop: Header=BB6_138 Depth=3
	s_or_saveexec_b32 s16, s16
	v_mov_b32_e32 v0, 0x7f800001
	s_xor_b32 exec_lo, exec_lo, s16
	s_cbranch_execz .LBB6_654
.LBB6_2009:                             ;   in Loop: Header=BB6_138 Depth=3
	v_cmp_ne_u16_sdwa s73, v9, v2 src0_sel:BYTE_0 src1_sel:DWORD
	v_mov_b32_e32 v0, 0
	s_andn2_b32 s72, s72, exec_lo
	s_and_b32 s73, s73, exec_lo
	s_or_b32 s72, s72, s73
	s_or_b32 exec_lo, exec_lo, s16
	s_and_saveexec_b32 s16, s72
	s_cbranch_execnz .LBB6_655
	s_branch .LBB6_656
.LBB6_2010:                             ;   in Loop: Header=BB6_138 Depth=3
	s_or_saveexec_b32 s72, s72
	v_mov_b32_e32 v0, 0x7f800001
	s_xor_b32 exec_lo, exec_lo, s72
	s_cbranch_execz .LBB6_668
.LBB6_2011:                             ;   in Loop: Header=BB6_138 Depth=3
	v_cmp_ne_u16_sdwa s73, v9, v2 src0_sel:BYTE_1 src1_sel:DWORD
	v_mov_b32_e32 v0, 0
	s_andn2_b32 s16, s16, exec_lo
	s_and_b32 s73, s73, exec_lo
	s_or_b32 s16, s16, s73
	s_or_b32 exec_lo, exec_lo, s72
	s_and_saveexec_b32 s72, s16
	s_cbranch_execnz .LBB6_669
	s_branch .LBB6_670
.LBB6_2012:                             ;   in Loop: Header=BB6_138 Depth=3
	s_or_saveexec_b32 s16, s16
	v_mov_b32_e32 v0, 0x7f800001
	s_xor_b32 exec_lo, exec_lo, s16
	s_cbranch_execz .LBB6_682
.LBB6_2013:                             ;   in Loop: Header=BB6_138 Depth=3
	v_cmp_ne_u16_e32 vcc_lo, 0, v1
	v_mov_b32_e32 v0, 0
	s_andn2_b32 s72, s72, exec_lo
	s_and_b32 s73, vcc_lo, exec_lo
	s_or_b32 s72, s72, s73
	s_or_b32 exec_lo, exec_lo, s16
	s_and_saveexec_b32 s16, s72
	s_cbranch_execnz .LBB6_683
	s_branch .LBB6_684
.LBB6_2014:                             ;   in Loop: Header=BB6_138 Depth=3
	s_or_saveexec_b32 s72, s72
	v_mov_b32_e32 v0, 0x7f800001
	s_xor_b32 exec_lo, exec_lo, s72
	s_cbranch_execz .LBB6_696
.LBB6_2015:                             ;   in Loop: Header=BB6_138 Depth=3
	v_cmp_ne_u16_sdwa s73, v9, v2 src0_sel:BYTE_3 src1_sel:DWORD
	v_mov_b32_e32 v0, 0
	s_andn2_b32 s16, s16, exec_lo
	s_and_b32 s73, s73, exec_lo
	s_or_b32 s16, s16, s73
	s_or_b32 exec_lo, exec_lo, s72
	s_and_saveexec_b32 s72, s16
	s_cbranch_execnz .LBB6_697
	s_branch .LBB6_698
.LBB6_2016:                             ;   in Loop: Header=BB6_138 Depth=3
	s_or_saveexec_b32 s16, s16
	v_mov_b32_e32 v0, 0x7f800001
	s_xor_b32 exec_lo, exec_lo, s16
	s_cbranch_execz .LBB6_710
.LBB6_2017:                             ;   in Loop: Header=BB6_138 Depth=3
	v_cmp_ne_u16_sdwa s73, v10, v2 src0_sel:BYTE_0 src1_sel:DWORD
	v_mov_b32_e32 v0, 0
	s_andn2_b32 s72, s72, exec_lo
	s_and_b32 s73, s73, exec_lo
	s_or_b32 s72, s72, s73
	s_or_b32 exec_lo, exec_lo, s16
	s_and_saveexec_b32 s16, s72
	s_cbranch_execnz .LBB6_711
	s_branch .LBB6_712
.LBB6_2018:                             ;   in Loop: Header=BB6_138 Depth=3
	s_or_saveexec_b32 s72, s72
	v_mov_b32_e32 v0, 0x7f800001
	s_xor_b32 exec_lo, exec_lo, s72
	s_cbranch_execz .LBB6_724
.LBB6_2019:                             ;   in Loop: Header=BB6_138 Depth=3
	v_cmp_ne_u16_sdwa s73, v10, v2 src0_sel:BYTE_1 src1_sel:DWORD
	v_mov_b32_e32 v0, 0
	s_andn2_b32 s16, s16, exec_lo
	s_and_b32 s73, s73, exec_lo
	s_or_b32 s16, s16, s73
	s_or_b32 exec_lo, exec_lo, s72
	s_and_saveexec_b32 s72, s16
	s_cbranch_execnz .LBB6_725
	s_branch .LBB6_726
.LBB6_2020:                             ;   in Loop: Header=BB6_138 Depth=3
	s_or_saveexec_b32 s16, s16
	v_mov_b32_e32 v0, 0x7f800001
	s_xor_b32 exec_lo, exec_lo, s16
	s_cbranch_execz .LBB6_738
.LBB6_2021:                             ;   in Loop: Header=BB6_138 Depth=3
	v_cmp_ne_u16_e32 vcc_lo, 0, v1
	v_mov_b32_e32 v0, 0
	s_andn2_b32 s72, s72, exec_lo
	s_and_b32 s73, vcc_lo, exec_lo
	s_or_b32 s72, s72, s73
	s_or_b32 exec_lo, exec_lo, s16
	s_and_saveexec_b32 s16, s72
	s_cbranch_execnz .LBB6_739
	s_branch .LBB6_740
.LBB6_2022:                             ;   in Loop: Header=BB6_138 Depth=3
	s_or_saveexec_b32 s72, s72
	v_mov_b32_e32 v0, 0x7f800001
	s_xor_b32 exec_lo, exec_lo, s72
	s_cbranch_execz .LBB6_752
.LBB6_2023:                             ;   in Loop: Header=BB6_138 Depth=3
	v_cmp_ne_u16_sdwa s73, v10, v2 src0_sel:BYTE_3 src1_sel:DWORD
	v_mov_b32_e32 v0, 0
	s_andn2_b32 s16, s16, exec_lo
	s_and_b32 s73, s73, exec_lo
	s_or_b32 s16, s16, s73
	s_or_b32 exec_lo, exec_lo, s72
	s_and_saveexec_b32 s72, s16
	s_cbranch_execnz .LBB6_753
	s_branch .LBB6_754
.LBB6_2024:                             ;   in Loop: Header=BB6_138 Depth=3
	s_or_saveexec_b32 s16, s16
	v_mov_b32_e32 v0, 0x7f800001
	s_xor_b32 exec_lo, exec_lo, s16
	s_cbranch_execz .LBB6_766
.LBB6_2025:                             ;   in Loop: Header=BB6_138 Depth=3
	v_cmp_ne_u16_sdwa s73, v11, v2 src0_sel:BYTE_0 src1_sel:DWORD
	v_mov_b32_e32 v0, 0
	s_andn2_b32 s72, s72, exec_lo
	s_and_b32 s73, s73, exec_lo
	s_or_b32 s72, s72, s73
	s_or_b32 exec_lo, exec_lo, s16
	s_and_saveexec_b32 s16, s72
	s_cbranch_execnz .LBB6_767
	s_branch .LBB6_768
.LBB6_2026:                             ;   in Loop: Header=BB6_138 Depth=3
	s_or_saveexec_b32 s72, s72
	v_mov_b32_e32 v0, 0x7f800001
	s_xor_b32 exec_lo, exec_lo, s72
	s_cbranch_execz .LBB6_780
.LBB6_2027:                             ;   in Loop: Header=BB6_138 Depth=3
	v_cmp_ne_u16_sdwa s73, v11, v2 src0_sel:BYTE_1 src1_sel:DWORD
	v_mov_b32_e32 v0, 0
	s_andn2_b32 s16, s16, exec_lo
	s_and_b32 s73, s73, exec_lo
	s_or_b32 s16, s16, s73
	s_or_b32 exec_lo, exec_lo, s72
	s_and_saveexec_b32 s72, s16
	s_cbranch_execnz .LBB6_781
	s_branch .LBB6_782
.LBB6_2028:                             ;   in Loop: Header=BB6_138 Depth=3
	s_or_saveexec_b32 s16, s16
	v_mov_b32_e32 v0, 0x7f800001
	s_xor_b32 exec_lo, exec_lo, s16
	s_cbranch_execz .LBB6_794
.LBB6_2029:                             ;   in Loop: Header=BB6_138 Depth=3
	v_cmp_ne_u16_e32 vcc_lo, 0, v1
	v_mov_b32_e32 v0, 0
	s_andn2_b32 s72, s72, exec_lo
	s_and_b32 s73, vcc_lo, exec_lo
	s_or_b32 s72, s72, s73
	s_or_b32 exec_lo, exec_lo, s16
	s_and_saveexec_b32 s16, s72
	s_cbranch_execnz .LBB6_795
	s_branch .LBB6_796
.LBB6_2030:                             ;   in Loop: Header=BB6_138 Depth=3
	s_or_saveexec_b32 s72, s72
	v_mov_b32_e32 v0, 0x7f800001
	s_xor_b32 exec_lo, exec_lo, s72
	s_cbranch_execz .LBB6_808
.LBB6_2031:                             ;   in Loop: Header=BB6_138 Depth=3
	v_cmp_ne_u16_sdwa s73, v11, v2 src0_sel:BYTE_3 src1_sel:DWORD
	v_mov_b32_e32 v0, 0
	s_andn2_b32 s16, s16, exec_lo
	s_and_b32 s73, s73, exec_lo
	s_or_b32 s16, s16, s73
	s_or_b32 exec_lo, exec_lo, s72
	s_and_saveexec_b32 s72, s16
	s_cbranch_execnz .LBB6_809
	s_branch .LBB6_810
.LBB6_2032:                             ;   in Loop: Header=BB6_138 Depth=3
	s_or_saveexec_b32 s16, s16
	v_mov_b32_e32 v0, 0x7f800001
	s_xor_b32 exec_lo, exec_lo, s16
	s_cbranch_execz .LBB6_822
.LBB6_2033:                             ;   in Loop: Header=BB6_138 Depth=3
	v_cmp_ne_u16_sdwa s73, v8, v2 src0_sel:BYTE_0 src1_sel:DWORD
	v_mov_b32_e32 v0, 0
	s_andn2_b32 s72, s72, exec_lo
	s_and_b32 s73, s73, exec_lo
	s_or_b32 s72, s72, s73
	s_or_b32 exec_lo, exec_lo, s16
	s_and_saveexec_b32 s16, s72
	s_cbranch_execnz .LBB6_823
	s_branch .LBB6_824
.LBB6_2034:                             ;   in Loop: Header=BB6_138 Depth=3
	s_or_saveexec_b32 s72, s72
	v_mov_b32_e32 v0, 0x7f800001
	s_xor_b32 exec_lo, exec_lo, s72
	s_cbranch_execz .LBB6_836
.LBB6_2035:                             ;   in Loop: Header=BB6_138 Depth=3
	v_cmp_ne_u16_sdwa s73, v8, v2 src0_sel:BYTE_1 src1_sel:DWORD
	v_mov_b32_e32 v0, 0
	s_andn2_b32 s16, s16, exec_lo
	s_and_b32 s73, s73, exec_lo
	s_or_b32 s16, s16, s73
	s_or_b32 exec_lo, exec_lo, s72
	s_and_saveexec_b32 s72, s16
	s_cbranch_execnz .LBB6_837
	s_branch .LBB6_838
.LBB6_2036:                             ;   in Loop: Header=BB6_138 Depth=3
	s_or_saveexec_b32 s16, s16
	v_mov_b32_e32 v0, 0x7f800001
	s_xor_b32 exec_lo, exec_lo, s16
	s_cbranch_execz .LBB6_850
.LBB6_2037:                             ;   in Loop: Header=BB6_138 Depth=3
	v_cmp_ne_u16_e32 vcc_lo, 0, v1
	v_mov_b32_e32 v0, 0
	s_andn2_b32 s72, s72, exec_lo
	s_and_b32 s73, vcc_lo, exec_lo
	s_or_b32 s72, s72, s73
	s_or_b32 exec_lo, exec_lo, s16
	s_and_saveexec_b32 s16, s72
	s_cbranch_execnz .LBB6_851
	s_branch .LBB6_852
.LBB6_2038:                             ;   in Loop: Header=BB6_138 Depth=3
	s_or_saveexec_b32 s72, s72
	v_mov_b32_e32 v0, 0x7f800001
	s_xor_b32 exec_lo, exec_lo, s72
	s_cbranch_execz .LBB6_864
.LBB6_2039:                             ;   in Loop: Header=BB6_138 Depth=3
	v_cmp_ne_u16_sdwa s73, v8, v2 src0_sel:BYTE_3 src1_sel:DWORD
	v_mov_b32_e32 v0, 0
	s_andn2_b32 s16, s16, exec_lo
	s_and_b32 s73, s73, exec_lo
	s_or_b32 s16, s16, s73
	s_or_b32 exec_lo, exec_lo, s72
	s_and_saveexec_b32 s72, s16
	s_cbranch_execnz .LBB6_865
	s_branch .LBB6_866
.LBB6_2040:                             ;   in Loop: Header=BB6_138 Depth=3
	s_or_saveexec_b32 s16, s16
	v_mov_b32_e32 v0, 0x7f800001
	s_xor_b32 exec_lo, exec_lo, s16
	s_cbranch_execz .LBB6_878
.LBB6_2041:                             ;   in Loop: Header=BB6_138 Depth=3
	v_cmp_ne_u16_sdwa s73, v9, v2 src0_sel:BYTE_0 src1_sel:DWORD
	v_mov_b32_e32 v0, 0
	s_andn2_b32 s72, s72, exec_lo
	s_and_b32 s73, s73, exec_lo
	s_or_b32 s72, s72, s73
	s_or_b32 exec_lo, exec_lo, s16
	s_and_saveexec_b32 s16, s72
	s_cbranch_execnz .LBB6_879
	s_branch .LBB6_880
.LBB6_2042:                             ;   in Loop: Header=BB6_138 Depth=3
	s_or_saveexec_b32 s72, s72
	v_mov_b32_e32 v0, 0x7f800001
	s_xor_b32 exec_lo, exec_lo, s72
	s_cbranch_execz .LBB6_892
.LBB6_2043:                             ;   in Loop: Header=BB6_138 Depth=3
	v_cmp_ne_u16_sdwa s73, v9, v2 src0_sel:BYTE_1 src1_sel:DWORD
	v_mov_b32_e32 v0, 0
	s_andn2_b32 s16, s16, exec_lo
	s_and_b32 s73, s73, exec_lo
	s_or_b32 s16, s16, s73
	s_or_b32 exec_lo, exec_lo, s72
	s_and_saveexec_b32 s72, s16
	s_cbranch_execnz .LBB6_893
	s_branch .LBB6_894
.LBB6_2044:                             ;   in Loop: Header=BB6_138 Depth=3
	s_or_saveexec_b32 s16, s16
	v_mov_b32_e32 v0, 0x7f800001
	s_xor_b32 exec_lo, exec_lo, s16
	s_cbranch_execz .LBB6_906
.LBB6_2045:                             ;   in Loop: Header=BB6_138 Depth=3
	v_cmp_ne_u16_e32 vcc_lo, 0, v3
	v_mov_b32_e32 v0, 0
	s_andn2_b32 s72, s72, exec_lo
	s_and_b32 s73, vcc_lo, exec_lo
	s_or_b32 s72, s72, s73
	s_or_b32 exec_lo, exec_lo, s16
	s_and_saveexec_b32 s16, s72
	s_cbranch_execnz .LBB6_907
	s_branch .LBB6_908
.LBB6_2046:                             ;   in Loop: Header=BB6_138 Depth=3
	s_or_saveexec_b32 s72, s72
	v_mov_b32_e32 v0, 0x7f800001
	s_xor_b32 exec_lo, exec_lo, s72
	s_cbranch_execz .LBB6_920
.LBB6_2047:                             ;   in Loop: Header=BB6_138 Depth=3
	v_cmp_ne_u16_sdwa s73, v9, v2 src0_sel:BYTE_3 src1_sel:DWORD
	v_mov_b32_e32 v0, 0
	s_andn2_b32 s16, s16, exec_lo
	s_and_b32 s73, s73, exec_lo
	s_or_b32 s16, s16, s73
	s_or_b32 exec_lo, exec_lo, s72
	s_and_saveexec_b32 s72, s16
	s_cbranch_execnz .LBB6_921
	s_branch .LBB6_922
.LBB6_2048:                             ;   in Loop: Header=BB6_138 Depth=3
	s_or_saveexec_b32 s16, s16
	v_mov_b32_e32 v0, 0x7f800001
	s_xor_b32 exec_lo, exec_lo, s16
	s_cbranch_execz .LBB6_934
.LBB6_2049:                             ;   in Loop: Header=BB6_138 Depth=3
	v_cmp_ne_u16_sdwa s73, v10, v2 src0_sel:BYTE_0 src1_sel:DWORD
	v_mov_b32_e32 v0, 0
	s_andn2_b32 s72, s72, exec_lo
	s_and_b32 s73, s73, exec_lo
	s_or_b32 s72, s72, s73
	s_or_b32 exec_lo, exec_lo, s16
	s_and_saveexec_b32 s16, s72
	s_cbranch_execnz .LBB6_935
	s_branch .LBB6_936
.LBB6_2050:                             ;   in Loop: Header=BB6_138 Depth=3
	s_or_saveexec_b32 s72, s72
	v_mov_b32_e32 v0, 0x7f800001
	s_xor_b32 exec_lo, exec_lo, s72
	s_cbranch_execz .LBB6_948
.LBB6_2051:                             ;   in Loop: Header=BB6_138 Depth=3
	v_cmp_ne_u16_sdwa s73, v10, v2 src0_sel:BYTE_1 src1_sel:DWORD
	v_mov_b32_e32 v0, 0
	s_andn2_b32 s16, s16, exec_lo
	s_and_b32 s73, s73, exec_lo
	s_or_b32 s16, s16, s73
	s_or_b32 exec_lo, exec_lo, s72
	s_and_saveexec_b32 s72, s16
	s_cbranch_execnz .LBB6_949
	s_branch .LBB6_950
.LBB6_2052:                             ;   in Loop: Header=BB6_138 Depth=3
	s_or_saveexec_b32 s16, s16
	v_mov_b32_e32 v0, 0x7f800001
	s_xor_b32 exec_lo, exec_lo, s16
	s_cbranch_execz .LBB6_962
.LBB6_2053:                             ;   in Loop: Header=BB6_138 Depth=3
	v_cmp_ne_u16_e32 vcc_lo, 0, v3
	v_mov_b32_e32 v0, 0
	s_andn2_b32 s72, s72, exec_lo
	s_and_b32 s73, vcc_lo, exec_lo
	s_or_b32 s72, s72, s73
	s_or_b32 exec_lo, exec_lo, s16
	s_and_saveexec_b32 s16, s72
	s_cbranch_execnz .LBB6_963
	s_branch .LBB6_964
.LBB6_2054:                             ;   in Loop: Header=BB6_138 Depth=3
	s_or_saveexec_b32 s72, s72
	v_mov_b32_e32 v0, 0x7f800001
	s_xor_b32 exec_lo, exec_lo, s72
	s_cbranch_execz .LBB6_976
.LBB6_2055:                             ;   in Loop: Header=BB6_138 Depth=3
	v_cmp_ne_u16_sdwa s73, v10, v2 src0_sel:BYTE_3 src1_sel:DWORD
	v_mov_b32_e32 v0, 0
	s_andn2_b32 s16, s16, exec_lo
	s_and_b32 s73, s73, exec_lo
	s_or_b32 s16, s16, s73
	s_or_b32 exec_lo, exec_lo, s72
	s_and_saveexec_b32 s72, s16
	s_cbranch_execnz .LBB6_977
	s_branch .LBB6_978
.LBB6_2056:                             ;   in Loop: Header=BB6_138 Depth=3
	s_or_saveexec_b32 s16, s16
	v_mov_b32_e32 v0, 0x7f800001
	s_xor_b32 exec_lo, exec_lo, s16
	s_cbranch_execz .LBB6_990
.LBB6_2057:                             ;   in Loop: Header=BB6_138 Depth=3
	v_cmp_ne_u16_sdwa s73, v11, v2 src0_sel:BYTE_0 src1_sel:DWORD
	v_mov_b32_e32 v0, 0
	s_andn2_b32 s72, s72, exec_lo
	s_and_b32 s73, s73, exec_lo
	s_or_b32 s72, s72, s73
	s_or_b32 exec_lo, exec_lo, s16
	s_and_saveexec_b32 s16, s72
	s_cbranch_execnz .LBB6_991
	s_branch .LBB6_992
.LBB6_2058:                             ;   in Loop: Header=BB6_138 Depth=3
	s_or_saveexec_b32 s72, s72
	v_mov_b32_e32 v0, 0x7f800001
	s_xor_b32 exec_lo, exec_lo, s72
	s_cbranch_execz .LBB6_1004
.LBB6_2059:                             ;   in Loop: Header=BB6_138 Depth=3
	v_cmp_ne_u16_sdwa s73, v11, v2 src0_sel:BYTE_1 src1_sel:DWORD
	v_mov_b32_e32 v0, 0
	s_andn2_b32 s16, s16, exec_lo
	s_and_b32 s73, s73, exec_lo
	s_or_b32 s16, s16, s73
	s_or_b32 exec_lo, exec_lo, s72
	s_and_saveexec_b32 s72, s16
	s_cbranch_execnz .LBB6_1005
	s_branch .LBB6_1006
.LBB6_2060:                             ;   in Loop: Header=BB6_138 Depth=3
	s_or_saveexec_b32 s16, s16
	v_mov_b32_e32 v0, 0x7f800001
	s_xor_b32 exec_lo, exec_lo, s16
	s_cbranch_execz .LBB6_1018
.LBB6_2061:                             ;   in Loop: Header=BB6_138 Depth=3
	v_cmp_ne_u16_e32 vcc_lo, 0, v3
	v_mov_b32_e32 v0, 0
	s_andn2_b32 s72, s72, exec_lo
	s_and_b32 s73, vcc_lo, exec_lo
	s_or_b32 s72, s72, s73
	s_or_b32 exec_lo, exec_lo, s16
	s_and_saveexec_b32 s16, s72
	s_cbranch_execnz .LBB6_1019
	s_branch .LBB6_1020
.LBB6_2062:                             ;   in Loop: Header=BB6_138 Depth=3
	s_or_saveexec_b32 s72, s72
	v_mov_b32_e32 v0, 0x7f800001
	s_xor_b32 exec_lo, exec_lo, s72
	s_cbranch_execz .LBB6_1032
.LBB6_2063:                             ;   in Loop: Header=BB6_138 Depth=3
	v_cmp_ne_u16_sdwa s73, v11, v2 src0_sel:BYTE_3 src1_sel:DWORD
	v_mov_b32_e32 v0, 0
	s_andn2_b32 s16, s16, exec_lo
	s_and_b32 s73, s73, exec_lo
	s_or_b32 s16, s16, s73
	s_or_b32 exec_lo, exec_lo, s72
	s_and_saveexec_b32 s72, s16
	s_cbranch_execnz .LBB6_1033
	s_branch .LBB6_1034
.LBB6_2064:                             ;   in Loop: Header=BB6_138 Depth=3
	s_or_saveexec_b32 s16, s16
	v_mov_b32_e32 v0, 0x7f800001
	s_xor_b32 exec_lo, exec_lo, s16
	s_cbranch_execz .LBB6_1046
.LBB6_2065:                             ;   in Loop: Header=BB6_138 Depth=3
	v_cmp_ne_u16_sdwa s73, v8, v2 src0_sel:BYTE_0 src1_sel:DWORD
	v_mov_b32_e32 v0, 0
	s_andn2_b32 s72, s72, exec_lo
	s_and_b32 s73, s73, exec_lo
	s_or_b32 s72, s72, s73
	s_or_b32 exec_lo, exec_lo, s16
	s_and_saveexec_b32 s16, s72
	s_cbranch_execnz .LBB6_1047
	s_branch .LBB6_1048
.LBB6_2066:                             ;   in Loop: Header=BB6_138 Depth=3
	s_or_saveexec_b32 s72, s72
	v_mov_b32_e32 v3, 0x7f800001
	s_xor_b32 exec_lo, exec_lo, s72
	s_cbranch_execz .LBB6_1060
.LBB6_2067:                             ;   in Loop: Header=BB6_138 Depth=3
	v_cmp_ne_u16_sdwa s73, v8, v2 src0_sel:BYTE_1 src1_sel:DWORD
	v_mov_b32_e32 v3, 0
	s_andn2_b32 s16, s16, exec_lo
	s_and_b32 s73, s73, exec_lo
	s_or_b32 s16, s16, s73
	s_or_b32 exec_lo, exec_lo, s72
	s_and_saveexec_b32 s72, s16
	s_cbranch_execnz .LBB6_1061
	s_branch .LBB6_1062
.LBB6_2068:                             ;   in Loop: Header=BB6_138 Depth=3
	s_or_saveexec_b32 s16, s16
	v_mov_b32_e32 v3, 0x7f800001
	s_xor_b32 exec_lo, exec_lo, s16
	s_cbranch_execz .LBB6_1074
.LBB6_2069:                             ;   in Loop: Header=BB6_138 Depth=3
	v_cmp_ne_u16_e32 vcc_lo, 0, v6
	v_mov_b32_e32 v3, 0
	s_andn2_b32 s72, s72, exec_lo
	s_and_b32 s73, vcc_lo, exec_lo
	s_or_b32 s72, s72, s73
	s_or_b32 exec_lo, exec_lo, s16
	s_and_saveexec_b32 s16, s72
	s_cbranch_execnz .LBB6_1075
	s_branch .LBB6_1076
.LBB6_2070:                             ;   in Loop: Header=BB6_138 Depth=3
	s_or_saveexec_b32 s72, s72
	v_mov_b32_e32 v3, 0x7f800001
	s_xor_b32 exec_lo, exec_lo, s72
	s_cbranch_execz .LBB6_1088
.LBB6_2071:                             ;   in Loop: Header=BB6_138 Depth=3
	v_cmp_ne_u16_sdwa s73, v8, v2 src0_sel:BYTE_3 src1_sel:DWORD
	v_mov_b32_e32 v3, 0
	s_andn2_b32 s16, s16, exec_lo
	s_and_b32 s73, s73, exec_lo
	s_or_b32 s16, s16, s73
	s_or_b32 exec_lo, exec_lo, s72
	s_and_saveexec_b32 s72, s16
	s_cbranch_execnz .LBB6_1089
	s_branch .LBB6_1090
.LBB6_2072:                             ;   in Loop: Header=BB6_138 Depth=3
	s_or_saveexec_b32 s16, s16
	v_mov_b32_e32 v3, 0x7f800001
	s_xor_b32 exec_lo, exec_lo, s16
	s_cbranch_execz .LBB6_1102
.LBB6_2073:                             ;   in Loop: Header=BB6_138 Depth=3
	v_cmp_ne_u16_sdwa s73, v9, v2 src0_sel:BYTE_0 src1_sel:DWORD
	v_mov_b32_e32 v3, 0
	s_andn2_b32 s72, s72, exec_lo
	s_and_b32 s73, s73, exec_lo
	s_or_b32 s72, s72, s73
	s_or_b32 exec_lo, exec_lo, s16
	s_and_saveexec_b32 s16, s72
	s_cbranch_execnz .LBB6_1103
	s_branch .LBB6_1104
.LBB6_2074:                             ;   in Loop: Header=BB6_138 Depth=3
	s_or_saveexec_b32 s72, s72
	v_mov_b32_e32 v3, 0x7f800001
	s_xor_b32 exec_lo, exec_lo, s72
	s_cbranch_execz .LBB6_1116
.LBB6_2075:                             ;   in Loop: Header=BB6_138 Depth=3
	v_cmp_ne_u16_sdwa s73, v9, v2 src0_sel:BYTE_1 src1_sel:DWORD
	v_mov_b32_e32 v3, 0
	s_andn2_b32 s16, s16, exec_lo
	s_and_b32 s73, s73, exec_lo
	s_or_b32 s16, s16, s73
	s_or_b32 exec_lo, exec_lo, s72
	s_and_saveexec_b32 s72, s16
	s_cbranch_execnz .LBB6_1117
	s_branch .LBB6_1118
.LBB6_2076:                             ;   in Loop: Header=BB6_138 Depth=3
	s_or_saveexec_b32 s16, s16
	v_mov_b32_e32 v3, 0x7f800001
	s_xor_b32 exec_lo, exec_lo, s16
	s_cbranch_execz .LBB6_1130
.LBB6_2077:                             ;   in Loop: Header=BB6_138 Depth=3
	v_cmp_ne_u16_e32 vcc_lo, 0, v6
	v_mov_b32_e32 v3, 0
	s_andn2_b32 s72, s72, exec_lo
	s_and_b32 s73, vcc_lo, exec_lo
	s_or_b32 s72, s72, s73
	s_or_b32 exec_lo, exec_lo, s16
	s_and_saveexec_b32 s16, s72
	s_cbranch_execnz .LBB6_1131
	s_branch .LBB6_1132
.LBB6_2078:                             ;   in Loop: Header=BB6_138 Depth=3
	s_or_saveexec_b32 s72, s72
	v_mov_b32_e32 v3, 0x7f800001
	s_xor_b32 exec_lo, exec_lo, s72
	s_cbranch_execz .LBB6_1144
.LBB6_2079:                             ;   in Loop: Header=BB6_138 Depth=3
	v_cmp_ne_u16_sdwa s73, v9, v2 src0_sel:BYTE_3 src1_sel:DWORD
	v_mov_b32_e32 v3, 0
	s_andn2_b32 s16, s16, exec_lo
	s_and_b32 s73, s73, exec_lo
	s_or_b32 s16, s16, s73
	s_or_b32 exec_lo, exec_lo, s72
	s_and_saveexec_b32 s72, s16
	s_cbranch_execnz .LBB6_1145
	s_branch .LBB6_1146
.LBB6_2080:                             ;   in Loop: Header=BB6_138 Depth=3
	s_or_saveexec_b32 s16, s16
	v_mov_b32_e32 v3, 0x7f800001
	s_xor_b32 exec_lo, exec_lo, s16
	s_cbranch_execz .LBB6_1158
.LBB6_2081:                             ;   in Loop: Header=BB6_138 Depth=3
	v_cmp_ne_u16_sdwa s73, v10, v2 src0_sel:BYTE_0 src1_sel:DWORD
	v_mov_b32_e32 v3, 0
	s_andn2_b32 s72, s72, exec_lo
	s_and_b32 s73, s73, exec_lo
	s_or_b32 s72, s72, s73
	s_or_b32 exec_lo, exec_lo, s16
	s_and_saveexec_b32 s16, s72
	s_cbranch_execnz .LBB6_1159
	s_branch .LBB6_1160
.LBB6_2082:                             ;   in Loop: Header=BB6_138 Depth=3
	s_or_saveexec_b32 s72, s72
	v_mov_b32_e32 v3, 0x7f800001
	s_xor_b32 exec_lo, exec_lo, s72
	s_cbranch_execz .LBB6_1172
.LBB6_2083:                             ;   in Loop: Header=BB6_138 Depth=3
	v_cmp_ne_u16_sdwa s73, v10, v2 src0_sel:BYTE_1 src1_sel:DWORD
	v_mov_b32_e32 v3, 0
	s_andn2_b32 s16, s16, exec_lo
	s_and_b32 s73, s73, exec_lo
	s_or_b32 s16, s16, s73
	s_or_b32 exec_lo, exec_lo, s72
	s_and_saveexec_b32 s72, s16
	s_cbranch_execnz .LBB6_1173
	s_branch .LBB6_1174
.LBB6_2084:                             ;   in Loop: Header=BB6_138 Depth=3
	s_or_saveexec_b32 s16, s16
	v_mov_b32_e32 v3, 0x7f800001
	s_xor_b32 exec_lo, exec_lo, s16
	s_cbranch_execz .LBB6_1186
.LBB6_2085:                             ;   in Loop: Header=BB6_138 Depth=3
	v_cmp_ne_u16_e32 vcc_lo, 0, v6
	v_mov_b32_e32 v3, 0
	s_andn2_b32 s72, s72, exec_lo
	s_and_b32 s73, vcc_lo, exec_lo
	s_or_b32 s72, s72, s73
	s_or_b32 exec_lo, exec_lo, s16
	s_and_saveexec_b32 s16, s72
	s_cbranch_execnz .LBB6_1187
	s_branch .LBB6_1188
.LBB6_2086:                             ;   in Loop: Header=BB6_138 Depth=3
	s_or_saveexec_b32 s72, s72
	v_mov_b32_e32 v3, 0x7f800001
	s_xor_b32 exec_lo, exec_lo, s72
	s_cbranch_execz .LBB6_1200
.LBB6_2087:                             ;   in Loop: Header=BB6_138 Depth=3
	v_cmp_ne_u16_sdwa s73, v10, v2 src0_sel:BYTE_3 src1_sel:DWORD
	v_mov_b32_e32 v3, 0
	s_andn2_b32 s16, s16, exec_lo
	s_and_b32 s73, s73, exec_lo
	s_or_b32 s16, s16, s73
	s_or_b32 exec_lo, exec_lo, s72
	s_and_saveexec_b32 s72, s16
	s_cbranch_execnz .LBB6_1201
	s_branch .LBB6_1202
.LBB6_2088:                             ;   in Loop: Header=BB6_138 Depth=3
	s_or_saveexec_b32 s16, s16
	v_mov_b32_e32 v3, 0x7f800001
	s_xor_b32 exec_lo, exec_lo, s16
	s_cbranch_execz .LBB6_1214
.LBB6_2089:                             ;   in Loop: Header=BB6_138 Depth=3
	v_cmp_ne_u16_sdwa s73, v11, v2 src0_sel:BYTE_0 src1_sel:DWORD
	v_mov_b32_e32 v3, 0
	s_andn2_b32 s72, s72, exec_lo
	s_and_b32 s73, s73, exec_lo
	s_or_b32 s72, s72, s73
	s_or_b32 exec_lo, exec_lo, s16
	s_and_saveexec_b32 s16, s72
	s_cbranch_execnz .LBB6_1215
	s_branch .LBB6_1216
.LBB6_2090:                             ;   in Loop: Header=BB6_138 Depth=3
	s_or_saveexec_b32 s72, s72
	v_mov_b32_e32 v3, 0x7f800001
	s_xor_b32 exec_lo, exec_lo, s72
	s_cbranch_execz .LBB6_1228
.LBB6_2091:                             ;   in Loop: Header=BB6_138 Depth=3
	v_cmp_ne_u16_sdwa s73, v11, v2 src0_sel:BYTE_1 src1_sel:DWORD
	v_mov_b32_e32 v3, 0
	s_andn2_b32 s16, s16, exec_lo
	s_and_b32 s73, s73, exec_lo
	s_or_b32 s16, s16, s73
	s_or_b32 exec_lo, exec_lo, s72
	s_and_saveexec_b32 s72, s16
	s_cbranch_execnz .LBB6_1229
	s_branch .LBB6_1230
.LBB6_2092:                             ;   in Loop: Header=BB6_138 Depth=3
	s_or_saveexec_b32 s16, s16
	v_mov_b32_e32 v3, 0x7f800001
	s_xor_b32 exec_lo, exec_lo, s16
	s_cbranch_execz .LBB6_1242
.LBB6_2093:                             ;   in Loop: Header=BB6_138 Depth=3
	v_cmp_ne_u16_e32 vcc_lo, 0, v6
	v_mov_b32_e32 v3, 0
	s_andn2_b32 s72, s72, exec_lo
	s_and_b32 s73, vcc_lo, exec_lo
	s_or_b32 s72, s72, s73
	s_or_b32 exec_lo, exec_lo, s16
	s_and_saveexec_b32 s16, s72
	s_cbranch_execnz .LBB6_1243
	s_branch .LBB6_1244
.LBB6_2094:                             ;   in Loop: Header=BB6_138 Depth=3
	s_or_saveexec_b32 s72, s72
	v_mov_b32_e32 v3, 0x7f800001
	s_xor_b32 exec_lo, exec_lo, s72
	s_cbranch_execz .LBB6_1256
.LBB6_2095:                             ;   in Loop: Header=BB6_138 Depth=3
	v_cmp_ne_u16_sdwa s73, v11, v2 src0_sel:BYTE_3 src1_sel:DWORD
	v_mov_b32_e32 v3, 0
	s_andn2_b32 s16, s16, exec_lo
	s_and_b32 s73, s73, exec_lo
	s_or_b32 s16, s16, s73
	s_or_b32 exec_lo, exec_lo, s72
	s_and_saveexec_b32 s72, s16
	s_cbranch_execnz .LBB6_1257
	s_branch .LBB6_1258
.LBB6_2096:                             ;   in Loop: Header=BB6_138 Depth=3
	s_or_saveexec_b32 s16, s16
	v_mov_b32_e32 v6, 0x7f800001
	s_xor_b32 exec_lo, exec_lo, s16
	s_cbranch_execz .LBB6_1270
.LBB6_2097:                             ;   in Loop: Header=BB6_138 Depth=3
	v_cmp_ne_u16_sdwa s73, v8, v2 src0_sel:BYTE_0 src1_sel:DWORD
	v_mov_b32_e32 v6, 0
	s_andn2_b32 s72, s72, exec_lo
	s_and_b32 s73, s73, exec_lo
	s_or_b32 s72, s72, s73
	s_or_b32 exec_lo, exec_lo, s16
	s_and_saveexec_b32 s16, s72
	s_cbranch_execnz .LBB6_1271
	s_branch .LBB6_1272
.LBB6_2098:                             ;   in Loop: Header=BB6_138 Depth=3
	s_or_saveexec_b32 s72, s72
	v_mov_b32_e32 v6, 0x7f800001
	s_xor_b32 exec_lo, exec_lo, s72
	s_cbranch_execz .LBB6_1284
.LBB6_2099:                             ;   in Loop: Header=BB6_138 Depth=3
	v_cmp_ne_u16_sdwa s73, v8, v2 src0_sel:BYTE_1 src1_sel:DWORD
	v_mov_b32_e32 v6, 0
	s_andn2_b32 s16, s16, exec_lo
	s_and_b32 s73, s73, exec_lo
	s_or_b32 s16, s16, s73
	s_or_b32 exec_lo, exec_lo, s72
	s_and_saveexec_b32 s72, s16
	s_cbranch_execnz .LBB6_1285
	s_branch .LBB6_1286
.LBB6_2100:                             ;   in Loop: Header=BB6_138 Depth=3
	s_or_saveexec_b32 s16, s16
	v_mov_b32_e32 v6, 0x7f800001
	s_xor_b32 exec_lo, exec_lo, s16
	s_cbranch_execz .LBB6_1298
.LBB6_2101:                             ;   in Loop: Header=BB6_138 Depth=3
	v_cmp_ne_u16_e32 vcc_lo, 0, v7
	v_mov_b32_e32 v6, 0
	s_andn2_b32 s72, s72, exec_lo
	s_and_b32 s73, vcc_lo, exec_lo
	s_or_b32 s72, s72, s73
	s_or_b32 exec_lo, exec_lo, s16
	s_and_saveexec_b32 s16, s72
	s_cbranch_execnz .LBB6_1299
	s_branch .LBB6_1300
.LBB6_2102:                             ;   in Loop: Header=BB6_138 Depth=3
	s_or_saveexec_b32 s72, s72
	v_mov_b32_e32 v6, 0x7f800001
	s_xor_b32 exec_lo, exec_lo, s72
	s_cbranch_execz .LBB6_1312
.LBB6_2103:                             ;   in Loop: Header=BB6_138 Depth=3
	v_cmp_ne_u16_sdwa s73, v8, v2 src0_sel:BYTE_3 src1_sel:DWORD
	v_mov_b32_e32 v6, 0
	s_andn2_b32 s16, s16, exec_lo
	s_and_b32 s73, s73, exec_lo
	s_or_b32 s16, s16, s73
	s_or_b32 exec_lo, exec_lo, s72
	s_and_saveexec_b32 s72, s16
	s_cbranch_execnz .LBB6_1313
	s_branch .LBB6_1314
.LBB6_2104:                             ;   in Loop: Header=BB6_138 Depth=3
	s_or_saveexec_b32 s16, s16
	v_mov_b32_e32 v6, 0x7f800001
	s_xor_b32 exec_lo, exec_lo, s16
	s_cbranch_execz .LBB6_1326
.LBB6_2105:                             ;   in Loop: Header=BB6_138 Depth=3
	v_cmp_ne_u16_sdwa s73, v9, v2 src0_sel:BYTE_0 src1_sel:DWORD
	v_mov_b32_e32 v6, 0
	s_andn2_b32 s72, s72, exec_lo
	s_and_b32 s73, s73, exec_lo
	s_or_b32 s72, s72, s73
	s_or_b32 exec_lo, exec_lo, s16
	s_and_saveexec_b32 s16, s72
	s_cbranch_execnz .LBB6_1327
	s_branch .LBB6_1328
.LBB6_2106:                             ;   in Loop: Header=BB6_138 Depth=3
	s_or_saveexec_b32 s72, s72
	v_mov_b32_e32 v7, 0x7f800001
	s_xor_b32 exec_lo, exec_lo, s72
	s_cbranch_execz .LBB6_1340
.LBB6_2107:                             ;   in Loop: Header=BB6_138 Depth=3
	v_cmp_ne_u16_sdwa s73, v9, v2 src0_sel:BYTE_1 src1_sel:DWORD
	v_mov_b32_e32 v7, 0
	s_andn2_b32 s16, s16, exec_lo
	s_and_b32 s73, s73, exec_lo
	s_or_b32 s16, s16, s73
	s_or_b32 exec_lo, exec_lo, s72
	s_and_saveexec_b32 s72, s16
	s_cbranch_execnz .LBB6_1341
	s_branch .LBB6_1342
.LBB6_2108:                             ;   in Loop: Header=BB6_138 Depth=3
	s_or_saveexec_b32 s16, s16
	v_mov_b32_e32 v8, 0x7f800001
	s_xor_b32 exec_lo, exec_lo, s16
	s_cbranch_execz .LBB6_1354
.LBB6_2109:                             ;   in Loop: Header=BB6_138 Depth=3
	v_cmp_ne_u16_e32 vcc_lo, 0, v12
	v_mov_b32_e32 v8, 0
	s_andn2_b32 s72, s72, exec_lo
	s_and_b32 s73, vcc_lo, exec_lo
	s_or_b32 s72, s72, s73
	s_or_b32 exec_lo, exec_lo, s16
	s_and_saveexec_b32 s16, s72
	s_cbranch_execnz .LBB6_1355
	s_branch .LBB6_1356
.LBB6_2110:                             ;   in Loop: Header=BB6_138 Depth=3
	s_or_saveexec_b32 s72, s72
	v_mov_b32_e32 v8, 0x7f800001
	s_xor_b32 exec_lo, exec_lo, s72
	s_cbranch_execz .LBB6_1368
.LBB6_2111:                             ;   in Loop: Header=BB6_138 Depth=3
	v_cmp_ne_u16_sdwa s73, v9, v2 src0_sel:BYTE_3 src1_sel:DWORD
	v_mov_b32_e32 v8, 0
	s_andn2_b32 s16, s16, exec_lo
	s_and_b32 s73, s73, exec_lo
	s_or_b32 s16, s16, s73
	s_or_b32 exec_lo, exec_lo, s72
	s_and_saveexec_b32 s72, s16
	s_cbranch_execnz .LBB6_1369
	s_branch .LBB6_1370
.LBB6_2112:                             ;   in Loop: Header=BB6_138 Depth=3
	s_or_saveexec_b32 s16, s16
	v_mov_b32_e32 v8, 0x7f800001
	s_xor_b32 exec_lo, exec_lo, s16
	s_cbranch_execz .LBB6_1382
.LBB6_2113:                             ;   in Loop: Header=BB6_138 Depth=3
	v_cmp_ne_u16_sdwa s73, v10, v2 src0_sel:BYTE_0 src1_sel:DWORD
	v_mov_b32_e32 v8, 0
	s_andn2_b32 s72, s72, exec_lo
	s_and_b32 s73, s73, exec_lo
	s_or_b32 s72, s72, s73
	s_or_b32 exec_lo, exec_lo, s16
	s_and_saveexec_b32 s16, s72
	s_cbranch_execnz .LBB6_1383
	s_branch .LBB6_1384
.LBB6_2114:                             ;   in Loop: Header=BB6_138 Depth=3
	s_or_saveexec_b32 s72, s72
	v_mov_b32_e32 v8, 0x7f800001
	s_xor_b32 exec_lo, exec_lo, s72
	s_cbranch_execz .LBB6_1396
.LBB6_2115:                             ;   in Loop: Header=BB6_138 Depth=3
	v_cmp_ne_u16_sdwa s73, v10, v2 src0_sel:BYTE_1 src1_sel:DWORD
	v_mov_b32_e32 v8, 0
	s_andn2_b32 s16, s16, exec_lo
	s_and_b32 s73, s73, exec_lo
	s_or_b32 s16, s16, s73
	s_or_b32 exec_lo, exec_lo, s72
	s_and_saveexec_b32 s72, s16
	s_cbranch_execnz .LBB6_1397
	s_branch .LBB6_1398
.LBB6_2116:                             ;   in Loop: Header=BB6_138 Depth=3
	s_or_saveexec_b32 s16, s16
	v_mov_b32_e32 v8, 0x7f800001
	s_xor_b32 exec_lo, exec_lo, s16
	s_cbranch_execz .LBB6_1410
.LBB6_2117:                             ;   in Loop: Header=BB6_138 Depth=3
	v_cmp_ne_u16_e32 vcc_lo, 0, v9
	v_mov_b32_e32 v8, 0
	s_andn2_b32 s72, s72, exec_lo
	s_and_b32 s73, vcc_lo, exec_lo
	s_or_b32 s72, s72, s73
	s_or_b32 exec_lo, exec_lo, s16
	s_and_saveexec_b32 s16, s72
	s_cbranch_execnz .LBB6_1411
	s_branch .LBB6_1412
.LBB6_2118:                             ;   in Loop: Header=BB6_138 Depth=3
	s_or_saveexec_b32 s72, s72
	v_mov_b32_e32 v8, 0x7f800001
	s_xor_b32 exec_lo, exec_lo, s72
	s_cbranch_execz .LBB6_1424
.LBB6_2119:                             ;   in Loop: Header=BB6_138 Depth=3
	v_cmp_ne_u16_sdwa s73, v10, v2 src0_sel:BYTE_3 src1_sel:DWORD
	v_mov_b32_e32 v8, 0
	s_andn2_b32 s16, s16, exec_lo
	s_and_b32 s73, s73, exec_lo
	s_or_b32 s16, s16, s73
	s_or_b32 exec_lo, exec_lo, s72
	s_and_saveexec_b32 s72, s16
	s_cbranch_execnz .LBB6_1425
	s_branch .LBB6_1426
.LBB6_2120:                             ;   in Loop: Header=BB6_138 Depth=3
	s_or_saveexec_b32 s16, s16
	v_mov_b32_e32 v8, 0x7f800001
	s_xor_b32 exec_lo, exec_lo, s16
	s_cbranch_execz .LBB6_1438
.LBB6_2121:                             ;   in Loop: Header=BB6_138 Depth=3
	v_cmp_ne_u16_sdwa s73, v11, v2 src0_sel:BYTE_0 src1_sel:DWORD
	v_mov_b32_e32 v8, 0
	s_andn2_b32 s72, s72, exec_lo
	s_and_b32 s73, s73, exec_lo
	s_or_b32 s72, s72, s73
	s_or_b32 exec_lo, exec_lo, s16
	s_and_saveexec_b32 s16, s72
	s_cbranch_execnz .LBB6_1439
	s_branch .LBB6_1440
.LBB6_2122:                             ;   in Loop: Header=BB6_138 Depth=3
	s_or_saveexec_b32 s72, s72
	v_mov_b32_e32 v8, 0x7f800001
	s_xor_b32 exec_lo, exec_lo, s72
	s_cbranch_execz .LBB6_1452
.LBB6_2123:                             ;   in Loop: Header=BB6_138 Depth=3
	v_cmp_ne_u16_sdwa s73, v11, v2 src0_sel:BYTE_1 src1_sel:DWORD
	v_mov_b32_e32 v8, 0
	s_andn2_b32 s16, s16, exec_lo
	s_and_b32 s73, s73, exec_lo
	s_or_b32 s16, s16, s73
	s_or_b32 exec_lo, exec_lo, s72
	s_and_saveexec_b32 s72, s16
	s_cbranch_execnz .LBB6_1453
	s_branch .LBB6_1454
.LBB6_2124:                             ;   in Loop: Header=BB6_138 Depth=3
	s_or_saveexec_b32 s16, s16
	v_mov_b32_e32 v8, 0x7f800001
	s_xor_b32 exec_lo, exec_lo, s16
	s_cbranch_execz .LBB6_1466
.LBB6_2125:                             ;   in Loop: Header=BB6_138 Depth=3
	v_cmp_ne_u16_e32 vcc_lo, 0, v9
	v_mov_b32_e32 v8, 0
	s_andn2_b32 s72, s72, exec_lo
	s_and_b32 s73, vcc_lo, exec_lo
	s_or_b32 s72, s72, s73
	s_or_b32 exec_lo, exec_lo, s16
	s_and_saveexec_b32 s16, s72
	s_cbranch_execnz .LBB6_1467
	s_branch .LBB6_1468
.LBB6_2126:                             ;   in Loop: Header=BB6_138 Depth=3
	s_or_saveexec_b32 s72, s72
	v_mov_b32_e32 v8, 0x7f800001
	s_xor_b32 exec_lo, exec_lo, s72
	s_cbranch_execz .LBB6_1480
.LBB6_2127:                             ;   in Loop: Header=BB6_138 Depth=3
	v_cmp_ne_u16_sdwa s73, v11, v2 src0_sel:BYTE_3 src1_sel:DWORD
	v_mov_b32_e32 v8, 0
	s_andn2_b32 s16, s16, exec_lo
	s_and_b32 s73, s73, exec_lo
	s_or_b32 s16, s16, s73
	s_or_b32 exec_lo, exec_lo, s72
	s_and_saveexec_b32 s72, s16
	s_cbranch_execnz .LBB6_1481
	s_branch .LBB6_1482
.LBB6_2128:                             ;   in Loop: Header=BB6_138 Depth=3
	s_or_saveexec_b32 s16, s16
	v_mov_b32_e32 v96, 0x7f800001
	s_xor_b32 exec_lo, exec_lo, s16
	s_cbranch_execz .LBB6_1494
.LBB6_2129:                             ;   in Loop: Header=BB6_138 Depth=3
	v_cmp_ne_u16_sdwa s73, v8, v2 src0_sel:BYTE_0 src1_sel:DWORD
	v_mov_b32_e32 v96, 0
	s_andn2_b32 s72, s72, exec_lo
	s_and_b32 s73, s73, exec_lo
	s_or_b32 s72, s72, s73
	s_or_b32 exec_lo, exec_lo, s16
	s_and_saveexec_b32 s16, s72
	s_cbranch_execnz .LBB6_1495
	s_branch .LBB6_1496
.LBB6_2130:                             ;   in Loop: Header=BB6_138 Depth=3
	s_or_saveexec_b32 s72, s72
	v_mov_b32_e32 v97, 0x7f800001
	s_xor_b32 exec_lo, exec_lo, s72
	s_cbranch_execz .LBB6_1508
.LBB6_2131:                             ;   in Loop: Header=BB6_138 Depth=3
	v_cmp_ne_u16_sdwa s73, v8, v2 src0_sel:BYTE_1 src1_sel:DWORD
	v_mov_b32_e32 v97, 0
	s_andn2_b32 s16, s16, exec_lo
	s_and_b32 s73, s73, exec_lo
	s_or_b32 s16, s16, s73
	s_or_b32 exec_lo, exec_lo, s72
	s_and_saveexec_b32 s72, s16
	s_cbranch_execnz .LBB6_1509
	s_branch .LBB6_1510
.LBB6_2132:                             ;   in Loop: Header=BB6_138 Depth=3
	s_or_saveexec_b32 s16, s16
	v_mov_b32_e32 v98, 0x7f800001
	s_xor_b32 exec_lo, exec_lo, s16
	s_cbranch_execz .LBB6_1522
.LBB6_2133:                             ;   in Loop: Header=BB6_138 Depth=3
	v_cmp_ne_u16_e32 vcc_lo, 0, v99
	v_mov_b32_e32 v98, 0
	s_andn2_b32 s72, s72, exec_lo
	s_and_b32 s73, vcc_lo, exec_lo
	s_or_b32 s72, s72, s73
	s_or_b32 exec_lo, exec_lo, s16
	s_and_saveexec_b32 s16, s72
	s_cbranch_execnz .LBB6_1523
	s_branch .LBB6_1524
.LBB6_2134:                             ;   in Loop: Header=BB6_138 Depth=3
	s_or_saveexec_b32 s72, s72
	v_mov_b32_e32 v99, 0x7f800001
	s_xor_b32 exec_lo, exec_lo, s72
	s_cbranch_execz .LBB6_1536
.LBB6_2135:                             ;   in Loop: Header=BB6_138 Depth=3
	v_cmp_ne_u16_sdwa s73, v8, v2 src0_sel:BYTE_3 src1_sel:DWORD
	v_mov_b32_e32 v99, 0
	s_andn2_b32 s16, s16, exec_lo
	s_and_b32 s73, s73, exec_lo
	s_or_b32 s16, s16, s73
	s_or_b32 exec_lo, exec_lo, s72
	s_and_saveexec_b32 s72, s16
	s_cbranch_execnz .LBB6_1537
	s_branch .LBB6_1538
.LBB6_2136:                             ;   in Loop: Header=BB6_138 Depth=3
	s_or_saveexec_b32 s16, s16
	v_mov_b32_e32 v8, 0x7f800001
	s_xor_b32 exec_lo, exec_lo, s16
	s_cbranch_execz .LBB6_1550
.LBB6_2137:                             ;   in Loop: Header=BB6_138 Depth=3
	v_cmp_ne_u16_sdwa s73, v9, v2 src0_sel:BYTE_0 src1_sel:DWORD
	v_mov_b32_e32 v8, 0
	s_andn2_b32 s72, s72, exec_lo
	s_and_b32 s73, s73, exec_lo
	s_or_b32 s72, s72, s73
	s_or_b32 exec_lo, exec_lo, s16
	s_and_saveexec_b32 s16, s72
	s_cbranch_execnz .LBB6_1551
	s_branch .LBB6_1552
.LBB6_2138:                             ;   in Loop: Header=BB6_138 Depth=3
	s_or_saveexec_b32 s72, s72
	v_mov_b32_e32 v8, 0x7f800001
	s_xor_b32 exec_lo, exec_lo, s72
	s_cbranch_execz .LBB6_1564
.LBB6_2139:                             ;   in Loop: Header=BB6_138 Depth=3
	v_cmp_ne_u16_sdwa s73, v9, v2 src0_sel:BYTE_1 src1_sel:DWORD
	v_mov_b32_e32 v8, 0
	s_andn2_b32 s16, s16, exec_lo
	s_and_b32 s73, s73, exec_lo
	s_or_b32 s16, s16, s73
	s_or_b32 exec_lo, exec_lo, s72
	s_and_saveexec_b32 s72, s16
	s_cbranch_execnz .LBB6_1565
	s_branch .LBB6_1566
.LBB6_2140:                             ;   in Loop: Header=BB6_138 Depth=3
	s_or_saveexec_b32 s16, s16
	v_mov_b32_e32 v8, 0x7f800001
	s_xor_b32 exec_lo, exec_lo, s16
	s_cbranch_execz .LBB6_1578
.LBB6_2141:                             ;   in Loop: Header=BB6_138 Depth=3
	v_cmp_ne_u16_e32 vcc_lo, 0, v45
	v_mov_b32_e32 v8, 0
	s_andn2_b32 s72, s72, exec_lo
	s_and_b32 s73, vcc_lo, exec_lo
	s_or_b32 s72, s72, s73
	s_or_b32 exec_lo, exec_lo, s16
	s_and_saveexec_b32 s16, s72
	s_cbranch_execnz .LBB6_1579
	s_branch .LBB6_1580
.LBB6_2142:                             ;   in Loop: Header=BB6_138 Depth=3
	s_or_saveexec_b32 s72, s72
	v_mov_b32_e32 v8, 0x7f800001
	s_xor_b32 exec_lo, exec_lo, s72
	s_cbranch_execz .LBB6_1592
.LBB6_2143:                             ;   in Loop: Header=BB6_138 Depth=3
	v_cmp_ne_u16_sdwa s73, v9, v2 src0_sel:BYTE_3 src1_sel:DWORD
	v_mov_b32_e32 v8, 0
	s_andn2_b32 s16, s16, exec_lo
	s_and_b32 s73, s73, exec_lo
	s_or_b32 s16, s16, s73
	s_or_b32 exec_lo, exec_lo, s72
	s_and_saveexec_b32 s72, s16
	s_cbranch_execnz .LBB6_1593
	s_branch .LBB6_1594
.LBB6_2144:                             ;   in Loop: Header=BB6_138 Depth=3
	s_or_saveexec_b32 s16, s16
	v_mov_b32_e32 v8, 0x7f800001
	s_xor_b32 exec_lo, exec_lo, s16
	s_cbranch_execz .LBB6_1606
.LBB6_2145:                             ;   in Loop: Header=BB6_138 Depth=3
	v_cmp_ne_u16_sdwa s73, v10, v2 src0_sel:BYTE_0 src1_sel:DWORD
	v_mov_b32_e32 v8, 0
	s_andn2_b32 s72, s72, exec_lo
	s_and_b32 s73, s73, exec_lo
	s_or_b32 s72, s72, s73
	s_or_b32 exec_lo, exec_lo, s16
	s_and_saveexec_b32 s16, s72
	s_cbranch_execnz .LBB6_1607
	s_branch .LBB6_1608
.LBB6_2146:                             ;   in Loop: Header=BB6_138 Depth=3
	s_or_saveexec_b32 s72, s72
	v_mov_b32_e32 v8, 0x7f800001
	s_xor_b32 exec_lo, exec_lo, s72
	s_cbranch_execz .LBB6_1620
.LBB6_2147:                             ;   in Loop: Header=BB6_138 Depth=3
	v_cmp_ne_u16_sdwa s73, v10, v2 src0_sel:BYTE_1 src1_sel:DWORD
	v_mov_b32_e32 v8, 0
	s_andn2_b32 s16, s16, exec_lo
	s_and_b32 s73, s73, exec_lo
	s_or_b32 s16, s16, s73
	s_or_b32 exec_lo, exec_lo, s72
	s_and_saveexec_b32 s72, s16
	s_cbranch_execnz .LBB6_1621
	s_branch .LBB6_1622
.LBB6_2148:                             ;   in Loop: Header=BB6_138 Depth=3
	s_or_saveexec_b32 s16, s16
	v_mov_b32_e32 v8, 0x7f800001
	s_xor_b32 exec_lo, exec_lo, s16
	s_cbranch_execz .LBB6_1634
.LBB6_2149:                             ;   in Loop: Header=BB6_138 Depth=3
	v_cmp_ne_u16_e32 vcc_lo, 0, v9
	v_mov_b32_e32 v8, 0
	s_andn2_b32 s72, s72, exec_lo
	s_and_b32 s73, vcc_lo, exec_lo
	s_or_b32 s72, s72, s73
	s_or_b32 exec_lo, exec_lo, s16
	s_and_saveexec_b32 s16, s72
	s_cbranch_execnz .LBB6_1635
	s_branch .LBB6_1636
.LBB6_2150:                             ;   in Loop: Header=BB6_138 Depth=3
	s_or_saveexec_b32 s72, s72
	v_mov_b32_e32 v8, 0x7f800001
	s_xor_b32 exec_lo, exec_lo, s72
	s_cbranch_execz .LBB6_1648
.LBB6_2151:                             ;   in Loop: Header=BB6_138 Depth=3
	v_cmp_ne_u16_sdwa s73, v10, v2 src0_sel:BYTE_3 src1_sel:DWORD
	v_mov_b32_e32 v8, 0
	s_andn2_b32 s16, s16, exec_lo
	s_and_b32 s73, s73, exec_lo
	s_or_b32 s16, s16, s73
	s_or_b32 exec_lo, exec_lo, s72
	s_and_saveexec_b32 s72, s16
	s_cbranch_execnz .LBB6_1649
	s_branch .LBB6_1650
.LBB6_2152:                             ;   in Loop: Header=BB6_138 Depth=3
	s_or_saveexec_b32 s16, s16
	v_mov_b32_e32 v8, 0x7f800001
	s_xor_b32 exec_lo, exec_lo, s16
	s_cbranch_execz .LBB6_1662
.LBB6_2153:                             ;   in Loop: Header=BB6_138 Depth=3
	v_cmp_ne_u16_sdwa s73, v11, v2 src0_sel:BYTE_0 src1_sel:DWORD
	v_mov_b32_e32 v8, 0
	s_andn2_b32 s72, s72, exec_lo
	s_and_b32 s73, s73, exec_lo
	s_or_b32 s72, s72, s73
	s_or_b32 exec_lo, exec_lo, s16
	s_and_saveexec_b32 s16, s72
	s_cbranch_execnz .LBB6_1663
	s_branch .LBB6_1664
.LBB6_2154:                             ;   in Loop: Header=BB6_138 Depth=3
	s_or_saveexec_b32 s72, s72
	v_mov_b32_e32 v8, 0x7f800001
	s_xor_b32 exec_lo, exec_lo, s72
	s_cbranch_execz .LBB6_1676
.LBB6_2155:                             ;   in Loop: Header=BB6_138 Depth=3
	v_cmp_ne_u16_sdwa s73, v11, v2 src0_sel:BYTE_1 src1_sel:DWORD
	v_mov_b32_e32 v8, 0
	s_andn2_b32 s16, s16, exec_lo
	s_and_b32 s73, s73, exec_lo
	s_or_b32 s16, s16, s73
	s_or_b32 exec_lo, exec_lo, s72
	s_and_saveexec_b32 s72, s16
	s_cbranch_execnz .LBB6_1677
	s_branch .LBB6_1678
.LBB6_2156:                             ;   in Loop: Header=BB6_138 Depth=3
	s_or_saveexec_b32 s16, s16
	v_mov_b32_e32 v8, 0x7f800001
	s_xor_b32 exec_lo, exec_lo, s16
	s_cbranch_execz .LBB6_1690
.LBB6_2157:                             ;   in Loop: Header=BB6_138 Depth=3
	v_cmp_ne_u16_e32 vcc_lo, 0, v9
	v_mov_b32_e32 v8, 0
	s_andn2_b32 s72, s72, exec_lo
	s_and_b32 s73, vcc_lo, exec_lo
	s_or_b32 s72, s72, s73
	s_or_b32 exec_lo, exec_lo, s16
	s_and_saveexec_b32 s16, s72
	s_cbranch_execnz .LBB6_1691
	s_branch .LBB6_1692
.LBB6_2158:                             ;   in Loop: Header=BB6_138 Depth=3
	s_or_saveexec_b32 s72, s72
	v_mov_b32_e32 v8, 0x7f800001
	s_xor_b32 exec_lo, exec_lo, s72
	s_cbranch_execz .LBB6_1704
.LBB6_2159:                             ;   in Loop: Header=BB6_138 Depth=3
	v_cmp_ne_u16_sdwa s73, v11, v2 src0_sel:BYTE_3 src1_sel:DWORD
	v_mov_b32_e32 v8, 0
	s_andn2_b32 s16, s16, exec_lo
	s_and_b32 s73, s73, exec_lo
	s_or_b32 s16, s16, s73
	s_or_b32 exec_lo, exec_lo, s72
	s_and_saveexec_b32 s72, s16
	s_cbranch_execnz .LBB6_1705
	s_branch .LBB6_1706
.LBB6_2160:                             ;   in Loop: Header=BB6_138 Depth=3
	s_or_saveexec_b32 s16, s16
	v_mov_b32_e32 v68, 0x7f800001
	s_xor_b32 exec_lo, exec_lo, s16
	s_cbranch_execz .LBB6_1718
.LBB6_2161:                             ;   in Loop: Header=BB6_138 Depth=3
	v_cmp_ne_u16_sdwa s73, v8, v2 src0_sel:BYTE_0 src1_sel:DWORD
	v_mov_b32_e32 v68, 0
	s_andn2_b32 s72, s72, exec_lo
	s_and_b32 s73, s73, exec_lo
	s_or_b32 s72, s72, s73
	s_or_b32 exec_lo, exec_lo, s16
	s_and_saveexec_b32 s16, s72
	s_cbranch_execnz .LBB6_1719
	s_branch .LBB6_1720
.LBB6_2162:                             ;   in Loop: Header=BB6_138 Depth=3
	s_or_saveexec_b32 s72, s72
	v_mov_b32_e32 v69, 0x7f800001
	s_xor_b32 exec_lo, exec_lo, s72
	s_cbranch_execz .LBB6_1732
.LBB6_2163:                             ;   in Loop: Header=BB6_138 Depth=3
	v_cmp_ne_u16_sdwa s73, v8, v2 src0_sel:BYTE_1 src1_sel:DWORD
	v_mov_b32_e32 v69, 0
	s_andn2_b32 s16, s16, exec_lo
	s_and_b32 s73, s73, exec_lo
	s_or_b32 s16, s16, s73
	s_or_b32 exec_lo, exec_lo, s72
	s_and_saveexec_b32 s72, s16
	s_cbranch_execnz .LBB6_1733
	s_branch .LBB6_1734
.LBB6_2164:                             ;   in Loop: Header=BB6_138 Depth=3
	s_or_saveexec_b32 s16, s16
	v_mov_b32_e32 v95, 0x7f800001
	s_xor_b32 exec_lo, exec_lo, s16
	s_cbranch_execz .LBB6_1746
.LBB6_2165:                             ;   in Loop: Header=BB6_138 Depth=3
	v_cmp_ne_u16_e32 vcc_lo, 0, v104
	v_mov_b32_e32 v95, 0
	s_andn2_b32 s72, s72, exec_lo
	s_and_b32 s73, vcc_lo, exec_lo
	s_or_b32 s72, s72, s73
	s_or_b32 exec_lo, exec_lo, s16
	s_and_saveexec_b32 s16, s72
	s_cbranch_execnz .LBB6_1747
	s_branch .LBB6_1748
.LBB6_2166:                             ;   in Loop: Header=BB6_138 Depth=3
	s_or_saveexec_b32 s72, s72
	v_mov_b32_e32 v104, 0x7f800001
	s_xor_b32 exec_lo, exec_lo, s72
	s_cbranch_execz .LBB6_1760
.LBB6_2167:                             ;   in Loop: Header=BB6_138 Depth=3
	v_cmp_ne_u16_sdwa s73, v8, v2 src0_sel:BYTE_3 src1_sel:DWORD
	v_mov_b32_e32 v104, 0
	s_andn2_b32 s16, s16, exec_lo
	s_and_b32 s73, s73, exec_lo
	s_or_b32 s16, s16, s73
	s_or_b32 exec_lo, exec_lo, s72
	s_and_saveexec_b32 s72, s16
	s_cbranch_execnz .LBB6_1761
	s_branch .LBB6_1762
.LBB6_2168:                             ;   in Loop: Header=BB6_138 Depth=3
	s_or_saveexec_b32 s16, s16
	v_mov_b32_e32 v104, 0x7f800001
	s_xor_b32 exec_lo, exec_lo, s16
	s_cbranch_execz .LBB6_1774
.LBB6_2169:                             ;   in Loop: Header=BB6_138 Depth=3
	v_cmp_ne_u16_sdwa s73, v9, v2 src0_sel:BYTE_0 src1_sel:DWORD
	v_mov_b32_e32 v104, 0
	s_andn2_b32 s72, s72, exec_lo
	s_and_b32 s73, s73, exec_lo
	s_or_b32 s72, s72, s73
	s_or_b32 exec_lo, exec_lo, s16
	s_and_saveexec_b32 s16, s72
	s_cbranch_execnz .LBB6_1775
	s_branch .LBB6_1776
.LBB6_2170:                             ;   in Loop: Header=BB6_138 Depth=3
	s_or_saveexec_b32 s72, s72
	v_mov_b32_e32 v105, 0x7f800001
	s_xor_b32 exec_lo, exec_lo, s72
	s_cbranch_execz .LBB6_1788
.LBB6_2171:                             ;   in Loop: Header=BB6_138 Depth=3
	v_cmp_ne_u16_sdwa s73, v9, v2 src0_sel:BYTE_1 src1_sel:DWORD
	v_mov_b32_e32 v105, 0
	s_andn2_b32 s16, s16, exec_lo
	s_and_b32 s73, s73, exec_lo
	s_or_b32 s16, s16, s73
	s_or_b32 exec_lo, exec_lo, s72
	s_and_saveexec_b32 s72, s16
	s_cbranch_execnz .LBB6_1789
	s_branch .LBB6_1790
.LBB6_2172:                             ;   in Loop: Header=BB6_138 Depth=3
	s_or_saveexec_b32 s16, s16
	v_mov_b32_e32 v106, 0x7f800001
	s_xor_b32 exec_lo, exec_lo, s16
	s_cbranch_execz .LBB6_1802
.LBB6_2173:                             ;   in Loop: Header=BB6_138 Depth=3
	v_cmp_ne_u16_e32 vcc_lo, 0, v107
	v_mov_b32_e32 v106, 0
	s_andn2_b32 s72, s72, exec_lo
	s_and_b32 s73, vcc_lo, exec_lo
	s_or_b32 s72, s72, s73
	s_or_b32 exec_lo, exec_lo, s16
	s_and_saveexec_b32 s16, s72
	s_cbranch_execnz .LBB6_1803
	s_branch .LBB6_1804
.LBB6_2174:                             ;   in Loop: Header=BB6_138 Depth=3
	s_or_saveexec_b32 s72, s72
	v_mov_b32_e32 v107, 0x7f800001
	s_xor_b32 exec_lo, exec_lo, s72
	s_cbranch_execz .LBB6_1816
.LBB6_2175:                             ;   in Loop: Header=BB6_138 Depth=3
	v_cmp_ne_u16_sdwa s73, v9, v2 src0_sel:BYTE_3 src1_sel:DWORD
	v_mov_b32_e32 v107, 0
	s_andn2_b32 s16, s16, exec_lo
	s_and_b32 s73, s73, exec_lo
	s_or_b32 s16, s16, s73
	s_or_b32 exec_lo, exec_lo, s72
	s_and_saveexec_b32 s72, s16
	s_cbranch_execnz .LBB6_1817
	s_branch .LBB6_1818
.LBB6_2176:                             ;   in Loop: Header=BB6_138 Depth=3
	s_or_saveexec_b32 s16, s16
	v_mov_b32_e32 v107, 0x7f800001
	s_xor_b32 exec_lo, exec_lo, s16
	s_cbranch_execz .LBB6_1830
.LBB6_2177:                             ;   in Loop: Header=BB6_138 Depth=3
	v_cmp_ne_u16_sdwa s73, v10, v2 src0_sel:BYTE_0 src1_sel:DWORD
	v_mov_b32_e32 v107, 0
	s_andn2_b32 s72, s72, exec_lo
	s_and_b32 s73, s73, exec_lo
	s_or_b32 s72, s72, s73
	s_or_b32 exec_lo, exec_lo, s16
	s_and_saveexec_b32 s16, s72
	s_cbranch_execnz .LBB6_1831
	s_branch .LBB6_1832
.LBB6_2178:                             ;   in Loop: Header=BB6_138 Depth=3
	s_or_saveexec_b32 s72, s72
	v_mov_b32_e32 v108, 0x7f800001
	s_xor_b32 exec_lo, exec_lo, s72
	s_cbranch_execz .LBB6_1844
.LBB6_2179:                             ;   in Loop: Header=BB6_138 Depth=3
	v_cmp_ne_u16_sdwa s73, v10, v2 src0_sel:BYTE_1 src1_sel:DWORD
	v_mov_b32_e32 v108, 0
	s_andn2_b32 s16, s16, exec_lo
	s_and_b32 s73, s73, exec_lo
	s_or_b32 s16, s16, s73
	s_or_b32 exec_lo, exec_lo, s72
	s_and_saveexec_b32 s72, s16
	s_cbranch_execnz .LBB6_1845
	s_branch .LBB6_1846
.LBB6_2180:                             ;   in Loop: Header=BB6_138 Depth=3
	s_or_saveexec_b32 s16, s16
	v_mov_b32_e32 v109, 0x7f800001
	s_xor_b32 exec_lo, exec_lo, s16
	s_cbranch_execz .LBB6_1858
.LBB6_2181:                             ;   in Loop: Header=BB6_138 Depth=3
	v_cmp_ne_u16_e32 vcc_lo, 0, v110
	v_mov_b32_e32 v109, 0
	s_andn2_b32 s72, s72, exec_lo
	s_and_b32 s73, vcc_lo, exec_lo
	s_or_b32 s72, s72, s73
	s_or_b32 exec_lo, exec_lo, s16
	s_and_saveexec_b32 s16, s72
	s_cbranch_execnz .LBB6_1859
	s_branch .LBB6_1860
.LBB6_2182:                             ;   in Loop: Header=BB6_138 Depth=3
	s_or_saveexec_b32 s72, s72
	v_mov_b32_e32 v110, 0x7f800001
	s_xor_b32 exec_lo, exec_lo, s72
	s_cbranch_execz .LBB6_1872
.LBB6_2183:                             ;   in Loop: Header=BB6_138 Depth=3
	v_cmp_ne_u16_sdwa s73, v10, v2 src0_sel:BYTE_3 src1_sel:DWORD
	v_mov_b32_e32 v110, 0
	s_andn2_b32 s16, s16, exec_lo
	s_and_b32 s73, s73, exec_lo
	s_or_b32 s16, s16, s73
	s_or_b32 exec_lo, exec_lo, s72
	s_and_saveexec_b32 s72, s16
	s_cbranch_execnz .LBB6_1873
	s_branch .LBB6_1874
.LBB6_2184:                             ;   in Loop: Header=BB6_138 Depth=3
	s_or_saveexec_b32 s16, s16
	v_mov_b32_e32 v110, 0x7f800001
	s_xor_b32 exec_lo, exec_lo, s16
	s_cbranch_execz .LBB6_1886
.LBB6_2185:                             ;   in Loop: Header=BB6_138 Depth=3
	v_cmp_ne_u16_sdwa s73, v11, v2 src0_sel:BYTE_0 src1_sel:DWORD
	v_mov_b32_e32 v110, 0
	s_andn2_b32 s72, s72, exec_lo
	s_and_b32 s73, s73, exec_lo
	s_or_b32 s72, s72, s73
	s_or_b32 exec_lo, exec_lo, s16
	s_and_saveexec_b32 s16, s72
	s_cbranch_execnz .LBB6_1887
	s_branch .LBB6_1888
.LBB6_2186:                             ;   in Loop: Header=BB6_138 Depth=3
	s_or_saveexec_b32 s72, s72
	v_mov_b32_e32 v111, 0x7f800001
	s_xor_b32 exec_lo, exec_lo, s72
	s_cbranch_execz .LBB6_1900
.LBB6_2187:                             ;   in Loop: Header=BB6_138 Depth=3
	v_cmp_ne_u16_sdwa s73, v11, v2 src0_sel:BYTE_1 src1_sel:DWORD
	v_mov_b32_e32 v111, 0
	s_andn2_b32 s16, s16, exec_lo
	s_and_b32 s73, s73, exec_lo
	s_or_b32 s16, s16, s73
	s_or_b32 exec_lo, exec_lo, s72
	s_and_saveexec_b32 s72, s16
	s_cbranch_execnz .LBB6_1901
	s_branch .LBB6_1902
.LBB6_2188:                             ;   in Loop: Header=BB6_138 Depth=3
	s_or_saveexec_b32 s16, s16
	v_mov_b32_e32 v120, 0x7f800001
	s_xor_b32 exec_lo, exec_lo, s16
	s_cbranch_execz .LBB6_1914
.LBB6_2189:                             ;   in Loop: Header=BB6_138 Depth=3
	v_cmp_ne_u16_e32 vcc_lo, 0, v121
	v_mov_b32_e32 v120, 0
	s_andn2_b32 s72, s72, exec_lo
	s_and_b32 s73, vcc_lo, exec_lo
	s_or_b32 s72, s72, s73
	s_or_b32 exec_lo, exec_lo, s16
	s_and_saveexec_b32 s16, s72
	s_cbranch_execnz .LBB6_1915
	s_branch .LBB6_1916
.LBB6_2190:                             ;   in Loop: Header=BB6_138 Depth=3
	s_or_saveexec_b32 s72, s72
	v_mov_b32_e32 v121, 0x7f800001
	s_xor_b32 exec_lo, exec_lo, s72
	s_cbranch_execz .LBB6_1928
.LBB6_2191:                             ;   in Loop: Header=BB6_138 Depth=3
	v_cmp_ne_u16_sdwa s73, v11, v2 src0_sel:BYTE_3 src1_sel:DWORD
	v_mov_b32_e32 v121, 0
	s_andn2_b32 s16, s16, exec_lo
	s_and_b32 s73, s73, exec_lo
	s_or_b32 s16, s16, s73
	s_or_b32 exec_lo, exec_lo, s72
	s_and_saveexec_b32 s72, s16
	s_cbranch_execnz .LBB6_1929
	s_branch .LBB6_1930
.LBB6_2192:                             ;   in Loop: Header=BB6_57 Depth=2
	s_or_b32 exec_lo, exec_lo, s23
	buffer_load_dword v1, off, s[0:3], s33 offset:476 ; 4-byte Folded Reload
.LBB6_2193:                             ;   in Loop: Header=BB6_57 Depth=2
	s_or_b32 exec_lo, exec_lo, s17
	buffer_load_dword v0, off, s[0:3], s33 offset:452 ; 4-byte Folded Reload
	s_waitcnt vmcnt(1)
	v_lshlrev_b32_e32 v4, 12, v1
	s_mov_b32 s16, 0
                                        ; implicit-def: $vgpr1
                                        ; implicit-def: $vgpr3
	s_waitcnt vmcnt(0)
	v_cmp_ne_u32_e32 vcc_lo, v0, v4
	v_mov_b32_e32 v0, 0
	s_and_saveexec_b32 s23, vcc_lo
	s_cbranch_execz .LBB6_2463
; %bb.2194:                             ;   in Loop: Header=BB6_57 Depth=2
	s_clause 0x1
	buffer_load_dword v1, off, s[0:3], s33 offset:420
	buffer_load_dword v3, off, s[0:3], s33 offset:452
	v_lshlrev_b32_e32 v0, 5, v13
	s_mov_b32 s61, exec_lo
	s_waitcnt vmcnt(1)
	v_sub_nc_u32_e32 v0, v1, v0
	s_waitcnt vmcnt(0)
	v_sub_nc_u32_e32 v5, v3, v4
	v_ashrrev_i32_e32 v1, 31, v0
	v_ashrrev_i32_e32 v3, 31, v5
	v_lshrrev_b32_e32 v1, 27, v1
	v_lshrrev_b32_e32 v3, 23, v3
	v_add_nc_u32_e32 v1, v0, v1
	v_add_nc_u32_e32 v7, v5, v3
	v_and_b32_e32 v6, 0xffffffe0, v1
	v_ashrrev_i32_e32 v8, 5, v1
	v_ashrrev_i32_e32 v9, 9, v7
	v_sub_nc_u32_e32 v3, v0, v6
	v_and_b32_e32 v0, 0xfffffe00, v7
	v_lshlrev_b32_e32 v6, 4, v3
	v_sub_nc_u32_e32 v1, v5, v0
	v_lshl_add_u32 v7, v8, 9, v6
	v_cmp_lt_i32_e64 s16, 15, v1
	v_sub_nc_u32_e32 v6, v5, v7
	v_add_co_ci_u32_e64 v9, null, 0, v9, s16
	v_sub_nc_u32_e32 v5, v9, v8
	v_cmpx_lt_i32_e32 15, v6
	s_cbranch_execz .LBB6_2462
; %bb.2195:                             ;   in Loop: Header=BB6_57 Depth=2
	s_trap 2
	ds_read_b64 v[8:9], v0
	v_add_nc_u32_e32 v7, v7, v4
	v_ashrrev_i32_e32 v12, 31, v7
	s_waitcnt lgkmcnt(0)
	v_readfirstlane_b32 s17, v8
	s_and_b32 s62, s17, 3
	s_bfe_u32 s73, s17, 0x50002
	s_flbit_i32_b32 s63, s62
	s_min_u32 s63, s63, 32
	s_sub_i32 s72, s63, 29
	s_sub_i32 s63, 30, s63
	s_lshl_b32 s72, s17, s72
	s_and_b32 s72, s72, 3
	s_cmp_eq_u32 s73, 0
	s_cselect_b32 s63, s63, s73
	s_cselect_b32 s62, s72, s62
	s_lshl_b32 s72, s17, 24
	s_lshl_b32 s63, s63, 23
	s_and_b32 s72, s72, 0x80000000
	s_add_i32 s63, s63, 0x37800000
	s_lshl_b32 s73, s62, 21
	s_or_b32 s63, s72, s63
	s_mov_b32 s62, 0
	s_or_b32 s63, s63, s73
	s_and_b32 s72, s17, 0xff
	s_branch .LBB6_2199
.LBB6_2196:                             ;   in Loop: Header=BB6_2199 Depth=3
	s_or_b32 exec_lo, exec_lo, s17
	v_lshrrev_b32_e32 v30, 21, v30
	v_min_i32_e32 v31, 31, v29
	v_cmp_gt_i32_e32 vcc_lo, 32, v29
	v_and_b32_sdwa v11, v11, v117 dst_sel:DWORD dst_unused:UNUSED_PAD src0_sel:BYTE_3 src1_sel:DWORD
	v_lshlrev_b32_e32 v31, 2, v31
	v_cndmask_b32_e32 v30, 3, v30, vcc_lo
	v_and_b32_e32 v31, 0xfc, v31
	v_and_b32_e32 v36, 3, v30
	v_or_b32_e32 v29, v29, v30
	v_or3_b32 v11, v11, v31, v36
	v_cmp_ne_u32_e32 vcc_lo, 0, v29
	v_lshlrev_b32_e32 v11, 8, v11
	v_cndmask_b32_e32 v29, 0, v11, vcc_lo
.LBB6_2197:                             ;   in Loop: Header=BB6_2199 Depth=3
	s_or_b32 exec_lo, exec_lo, s74
.LBB6_2198:                             ;   in Loop: Header=BB6_2199 Depth=3
	s_or_b32 exec_lo, exec_lo, s73
	v_or_b32_sdwa v8, v8, v15 dst_sel:WORD_1 dst_unused:UNUSED_PAD src0_sel:DWORD src1_sel:DWORD
	v_lshlrev_b32_e32 v15, 9, v103
	v_or_b32_sdwa v9, v9, v22 dst_sel:WORD_1 dst_unused:UNUSED_PAD src0_sel:DWORD src1_sel:DWORD
	v_or_b32_sdwa v10, v10, v25 dst_sel:WORD_1 dst_unused:UNUSED_PAD src0_sel:DWORD src1_sel:DWORD
	;; [unrolled: 1-line block ×3, first 2 shown]
	v_add_co_u32 v30, vcc_lo, v18, v7
	v_sub_nc_u32_e32 v6, v6, v15
	v_add_co_ci_u32_e64 v31, null, v19, v12, vcc_lo
	v_add_co_u32 v7, s17, v7, v15
	v_cmp_gt_i32_e32 vcc_lo, 16, v6
	v_or3_b32 v9, v21, v20, v9
	v_or3_b32 v8, v14, v13, v8
	;; [unrolled: 1-line block ×4, first 2 shown]
	v_sub_nc_u32_e32 v5, v5, v103
	v_add_co_ci_u32_e64 v12, null, 0, v12, s17
	s_or_b32 s62, vcc_lo, s62
	global_store_dwordx4 v[30:31], v[8:11], off glc slc
	s_andn2_b32 exec_lo, exec_lo, s62
	s_cbranch_execz .LBB6_2461
.LBB6_2199:                             ;   Parent Loop BB6_47 Depth=1
                                        ;     Parent Loop BB6_57 Depth=2
                                        ; =>    This Inner Loop Header: Depth=3
	s_cmpk_lt_i32 s72, 0x80
	s_cbranch_scc1 .LBB6_2203
; %bb.2200:                             ;   in Loop: Header=BB6_2199 Depth=3
	s_and_b32 s17, 0xffff, s72
	s_cmpk_eq_i32 s17, 0x80
	s_mov_b32 s17, -1
	s_cbranch_scc0 .LBB6_2202
; %bb.2201:                             ;   in Loop: Header=BB6_2199 Depth=3
	s_mov_b32 s17, 0
.LBB6_2202:                             ;   in Loop: Header=BB6_2199 Depth=3
	s_mov_b32 s73, 0x7f800001
	s_branch .LBB6_2205
.LBB6_2203:                             ;   in Loop: Header=BB6_2199 Depth=3
	s_mov_b32 s17, 0
	s_mov_b32 s73, 0x7f800001
	s_cbranch_execz .LBB6_2205
; %bb.2204:                             ;   in Loop: Header=BB6_2199 Depth=3
	s_and_b32 s17, 0xffff, s72
	s_mov_b32 s73, 0
	s_cmp_lg_u32 s17, 0
	s_cselect_b32 s17, -1, 0
.LBB6_2205:                             ;   in Loop: Header=BB6_2199 Depth=3
	s_andn2_b32 vcc_lo, exec_lo, s17
	s_cbranch_vccnz .LBB6_2207
; %bb.2206:                             ;   in Loop: Header=BB6_2199 Depth=3
	s_mov_b32 s73, s63
.LBB6_2207:                             ;   in Loop: Header=BB6_2199 Depth=3
	v_add_co_u32 v8, vcc_lo, v16, v7
	v_add_co_ci_u32_e64 v9, null, v17, v12, vcc_lo
	s_mov_b32 s17, 0
	global_load_dwordx4 v[8:11], v[8:9], off slc
	s_waitcnt vmcnt(0)
	v_cmp_gt_i16_sdwa s74, v8, v116 src0_sel:BYTE_0 src1_sel:DWORD
	s_and_saveexec_b32 s75, s74
	s_xor_b32 s74, exec_lo, s75
	s_cbranch_execz .LBB6_2429
; %bb.2208:                             ;   in Loop: Header=BB6_2199 Depth=3
	v_cmp_eq_u16_sdwa s76, v8, v117 src0_sel:BYTE_0 src1_sel:DWORD
	s_mov_b32 s17, -1
	s_and_saveexec_b32 s75, s76
; %bb.2209:                             ;   in Loop: Header=BB6_2199 Depth=3
	s_xor_b32 s17, exec_lo, -1
; %bb.2210:                             ;   in Loop: Header=BB6_2199 Depth=3
	s_or_b32 exec_lo, exec_lo, s75
	s_and_b32 s17, s17, exec_lo
	s_or_saveexec_b32 s74, s74
	v_mov_b32_e32 v13, 0x7f800001
	s_xor_b32 exec_lo, exec_lo, s74
	s_cbranch_execnz .LBB6_2430
.LBB6_2211:                             ;   in Loop: Header=BB6_2199 Depth=3
	s_or_b32 exec_lo, exec_lo, s74
	s_and_saveexec_b32 s74, s17
	s_cbranch_execz .LBB6_2213
.LBB6_2212:                             ;   in Loop: Header=BB6_2199 Depth=3
	v_and_b32_e32 v13, 3, v8
	v_bfe_u32 v20, v8, 2, 5
	v_lshlrev_b32_e32 v21, 24, v8
	v_ffbh_u32_e32 v14, v13
	v_cmp_eq_u32_e32 vcc_lo, 0, v20
	v_min_u32_e32 v14, 32, v14
	v_subrev_nc_u32_e32 v15, 29, v14
	v_sub_nc_u32_e32 v14, 30, v14
	v_lshlrev_b32_e32 v15, v15, v8
	v_cndmask_b32_e32 v14, v20, v14, vcc_lo
	v_and_b32_e32 v15, 3, v15
	v_lshl_add_u32 v14, v14, 23, 0x37800000
	v_cndmask_b32_e32 v13, v13, v15, vcc_lo
	v_and_b32_e32 v15, 0x80000000, v21
	v_lshlrev_b32_e32 v13, 21, v13
	v_or3_b32 v13, v15, v14, v13
.LBB6_2213:                             ;   in Loop: Header=BB6_2199 Depth=3
	s_or_b32 exec_lo, exec_lo, s74
	v_mul_f32_e32 v14, s73, v13
	v_and_b32_e32 v13, 0x7f800000, v14
	v_cmp_ne_u32_e32 vcc_lo, 0x7f800000, v13
	v_mov_b32_e32 v13, 0x80
	s_and_saveexec_b32 s74, vcc_lo
	s_cbranch_execz .LBB6_2221
; %bb.2214:                             ;   in Loop: Header=BB6_2199 Depth=3
	v_mov_b32_e32 v13, 0
	s_mov_b32 s75, exec_lo
	v_cmpx_ne_u32_e32 0, v14
	s_cbranch_execz .LBB6_2220
; %bb.2215:                             ;   in Loop: Header=BB6_2199 Depth=3
	v_bfe_u32 v13, v14, 23, 8
	v_and_b32_e32 v15, 0x7fffff, v14
	v_sub_nc_u32_e32 v20, 0x70, v13
	v_cmp_gt_u32_e32 vcc_lo, 0x71, v13
	v_or_b32_e32 v21, 0x800000, v15
	v_cndmask_b32_e32 v20, 0, v20, vcc_lo
	v_cmp_eq_u32_e32 vcc_lo, 0, v13
	v_add_nc_u32_e32 v13, 0xffffff91, v13
	v_cndmask_b32_e64 v20, v20, 0x6f, vcc_lo
	v_cndmask_b32_e32 v15, v21, v15, vcc_lo
	v_cndmask_b32_e64 v13, v13, 0xffffff92, vcc_lo
	v_lshl_add_u32 v21, 0x200000, v20, -1
	v_lshrrev_b32_e32 v22, v20, v15
	v_lshlrev_b32_e64 v24, v20, 0x100000
	v_add_nc_u32_e32 v20, v20, v13
	v_and_b32_e32 v15, v21, v15
	v_bfe_u32 v23, v22, 21, 1
	v_cmp_eq_u32_e64 s17, v15, v24
	v_add_nc_u32_e32 v21, -1, v23
	v_cndmask_b32_e64 v15, 0, v21, s17
	v_lshrrev_b32_e32 v21, 23, v22
	s_mov_b32 s17, exec_lo
	v_add_nc_u32_e32 v15, v15, v22
	v_xor_b32_e32 v21, 1, v21
	v_and_b32_e32 v13, 0x1fffff, v15
	v_add_nc_u32_e32 v15, v13, v22
                                        ; implicit-def: $vgpr13
	v_cmpx_ne_u32_e64 v20, v21
	s_xor_b32 s17, exec_lo, s17
; %bb.2216:                             ;   in Loop: Header=BB6_2199 Depth=3
	v_cmp_lt_u32_e32 vcc_lo, 0xffffff, v15
	v_sub_nc_u32_e32 v13, v20, v21
	v_cndmask_b32_e64 v20, 0, 1, vcc_lo
	v_add_co_ci_u32_e64 v13, null, 0, v13, vcc_lo
	v_lshrrev_b32_e32 v15, v20, v15
; %bb.2217:                             ;   in Loop: Header=BB6_2199 Depth=3
	s_andn2_saveexec_b32 s17, s17
; %bb.2218:                             ;   in Loop: Header=BB6_2199 Depth=3
	v_bfe_u32 v13, v15, 23, 1
; %bb.2219:                             ;   in Loop: Header=BB6_2199 Depth=3
	s_or_b32 exec_lo, exec_lo, s17
	v_lshrrev_b32_e32 v15, 21, v15
	v_min_i32_e32 v20, 31, v13
	v_cmp_gt_i32_e32 vcc_lo, 32, v13
	v_and_b32_sdwa v14, v14, v117 dst_sel:DWORD dst_unused:UNUSED_PAD src0_sel:BYTE_3 src1_sel:DWORD
	v_lshlrev_b32_e32 v20, 2, v20
	v_cndmask_b32_e32 v15, 3, v15, vcc_lo
	v_and_b32_e32 v20, 0xfc, v20
	v_and_b32_e32 v21, 3, v15
	v_or_b32_e32 v13, v13, v15
	v_or3_b32 v14, v20, v14, v21
	v_cmp_ne_u32_e32 vcc_lo, 0, v13
	v_cndmask_b32_e32 v13, 0, v14, vcc_lo
.LBB6_2220:                             ;   in Loop: Header=BB6_2199 Depth=3
	s_or_b32 exec_lo, exec_lo, s75
.LBB6_2221:                             ;   in Loop: Header=BB6_2199 Depth=3
	s_or_b32 exec_lo, exec_lo, s74
	v_cmp_gt_i16_sdwa s74, v8, v116 src0_sel:BYTE_1 src1_sel:DWORD
	s_mov_b32 s17, 0
	s_and_saveexec_b32 s75, s74
	s_xor_b32 s74, exec_lo, s75
	s_cbranch_execz .LBB6_2431
; %bb.2222:                             ;   in Loop: Header=BB6_2199 Depth=3
	v_cmp_eq_u16_sdwa s76, v8, v117 src0_sel:BYTE_1 src1_sel:DWORD
	s_mov_b32 s17, -1
	s_and_saveexec_b32 s75, s76
; %bb.2223:                             ;   in Loop: Header=BB6_2199 Depth=3
	s_xor_b32 s17, exec_lo, -1
; %bb.2224:                             ;   in Loop: Header=BB6_2199 Depth=3
	s_or_b32 exec_lo, exec_lo, s75
	s_and_b32 s17, s17, exec_lo
	s_or_saveexec_b32 s74, s74
	v_mov_b32_e32 v14, 0x7f800001
	s_xor_b32 exec_lo, exec_lo, s74
	s_cbranch_execnz .LBB6_2432
.LBB6_2225:                             ;   in Loop: Header=BB6_2199 Depth=3
	s_or_b32 exec_lo, exec_lo, s74
	s_and_saveexec_b32 s74, s17
	s_cbranch_execz .LBB6_2227
.LBB6_2226:                             ;   in Loop: Header=BB6_2199 Depth=3
	v_and_b32_sdwa v14, v118, v8 dst_sel:DWORD dst_unused:UNUSED_PAD src0_sel:DWORD src1_sel:BYTE_1
	v_and_b32_e32 v15, 3, v14
	v_bfe_u32 v22, v14, 2, 5
	v_ffbh_u32_e32 v20, v15
	v_cmp_eq_u32_e32 vcc_lo, 0, v22
	v_min_u32_e32 v20, 32, v20
	v_subrev_nc_u32_e32 v21, 29, v20
	v_sub_nc_u32_e32 v20, 30, v20
	v_lshlrev_b32_e32 v14, v21, v14
	v_lshlrev_b32_sdwa v21, v119, v8 dst_sel:DWORD dst_unused:UNUSED_PAD src0_sel:DWORD src1_sel:BYTE_1
	v_cndmask_b32_e32 v20, v22, v20, vcc_lo
	v_and_b32_e32 v14, 3, v14
	v_lshl_add_u32 v20, v20, 23, 0x37800000
	v_cndmask_b32_e32 v14, v15, v14, vcc_lo
	v_and_b32_e32 v15, 0x80000000, v21
	v_lshlrev_b32_e32 v14, 21, v14
	v_or3_b32 v14, v15, v20, v14
.LBB6_2227:                             ;   in Loop: Header=BB6_2199 Depth=3
	s_or_b32 exec_lo, exec_lo, s74
	v_mul_f32_e32 v15, s73, v14
	v_and_b32_e32 v14, 0x7f800000, v15
	v_cmp_ne_u32_e32 vcc_lo, 0x7f800000, v14
	v_mov_b32_e32 v14, 0x8000
	s_and_saveexec_b32 s74, vcc_lo
	s_cbranch_execz .LBB6_2235
; %bb.2228:                             ;   in Loop: Header=BB6_2199 Depth=3
	v_mov_b32_e32 v14, 0
	s_mov_b32 s75, exec_lo
	v_cmpx_ne_u32_e32 0, v15
	s_cbranch_execz .LBB6_2234
; %bb.2229:                             ;   in Loop: Header=BB6_2199 Depth=3
	v_bfe_u32 v14, v15, 23, 8
	v_and_b32_e32 v20, 0x7fffff, v15
	v_sub_nc_u32_e32 v21, 0x70, v14
	v_cmp_gt_u32_e32 vcc_lo, 0x71, v14
	v_or_b32_e32 v22, 0x800000, v20
	v_cndmask_b32_e32 v21, 0, v21, vcc_lo
	v_cmp_eq_u32_e32 vcc_lo, 0, v14
	v_add_nc_u32_e32 v14, 0xffffff91, v14
	v_cndmask_b32_e64 v21, v21, 0x6f, vcc_lo
	v_cndmask_b32_e32 v20, v22, v20, vcc_lo
	v_cndmask_b32_e64 v14, v14, 0xffffff92, vcc_lo
	v_lshl_add_u32 v22, 0x200000, v21, -1
	v_lshrrev_b32_e32 v23, v21, v20
	v_lshlrev_b32_e64 v25, v21, 0x100000
	v_add_nc_u32_e32 v21, v21, v14
	v_and_b32_e32 v20, v22, v20
	v_bfe_u32 v24, v23, 21, 1
	v_cmp_eq_u32_e64 s17, v20, v25
	v_add_nc_u32_e32 v22, -1, v24
	v_cndmask_b32_e64 v20, 0, v22, s17
	v_lshrrev_b32_e32 v22, 23, v23
	s_mov_b32 s17, exec_lo
	v_add_nc_u32_e32 v20, v20, v23
	v_xor_b32_e32 v22, 1, v22
	v_and_b32_e32 v14, 0x1fffff, v20
	v_add_nc_u32_e32 v20, v14, v23
                                        ; implicit-def: $vgpr14
	v_cmpx_ne_u32_e64 v21, v22
	s_xor_b32 s17, exec_lo, s17
; %bb.2230:                             ;   in Loop: Header=BB6_2199 Depth=3
	v_cmp_lt_u32_e32 vcc_lo, 0xffffff, v20
	v_sub_nc_u32_e32 v14, v21, v22
	v_cndmask_b32_e64 v21, 0, 1, vcc_lo
	v_add_co_ci_u32_e64 v14, null, 0, v14, vcc_lo
	v_lshrrev_b32_e32 v20, v21, v20
; %bb.2231:                             ;   in Loop: Header=BB6_2199 Depth=3
	s_andn2_saveexec_b32 s17, s17
; %bb.2232:                             ;   in Loop: Header=BB6_2199 Depth=3
	v_bfe_u32 v14, v20, 23, 1
; %bb.2233:                             ;   in Loop: Header=BB6_2199 Depth=3
	s_or_b32 exec_lo, exec_lo, s17
	v_lshrrev_b32_e32 v20, 21, v20
	v_min_i32_e32 v21, 31, v14
	v_cmp_gt_i32_e32 vcc_lo, 32, v14
	v_and_b32_sdwa v15, v15, v117 dst_sel:DWORD dst_unused:UNUSED_PAD src0_sel:BYTE_3 src1_sel:DWORD
	v_lshlrev_b32_e32 v21, 2, v21
	v_cndmask_b32_e32 v20, 3, v20, vcc_lo
	v_and_b32_e32 v21, 0xfc, v21
	v_and_b32_e32 v22, 3, v20
	v_or_b32_e32 v14, v14, v20
	v_or3_b32 v15, v15, v21, v22
	v_cmp_ne_u32_e32 vcc_lo, 0, v14
	v_lshlrev_b32_e32 v15, 8, v15
	v_cndmask_b32_e32 v14, 0, v15, vcc_lo
.LBB6_2234:                             ;   in Loop: Header=BB6_2199 Depth=3
	s_or_b32 exec_lo, exec_lo, s75
.LBB6_2235:                             ;   in Loop: Header=BB6_2199 Depth=3
	s_or_b32 exec_lo, exec_lo, s74
	v_and_b32_sdwa v20, v8, v40 dst_sel:DWORD dst_unused:UNUSED_PAD src0_sel:WORD_1 src1_sel:DWORD
	s_mov_b32 s17, 0
	s_mov_b32 s74, exec_lo
	v_cmpx_lt_i16_e32 0x7f, v20
	s_xor_b32 s74, exec_lo, s74
	s_cbranch_execz .LBB6_2433
; %bb.2236:                             ;   in Loop: Header=BB6_2199 Depth=3
	s_mov_b32 s17, -1
	s_mov_b32 s75, exec_lo
	v_cmpx_eq_u16_e32 0x80, v20
; %bb.2237:                             ;   in Loop: Header=BB6_2199 Depth=3
	s_xor_b32 s17, exec_lo, -1
; %bb.2238:                             ;   in Loop: Header=BB6_2199 Depth=3
	s_or_b32 exec_lo, exec_lo, s75
	s_and_b32 s17, s17, exec_lo
                                        ; implicit-def: $vgpr20
	s_or_saveexec_b32 s74, s74
	v_mov_b32_e32 v15, 0x7f800001
	s_xor_b32 exec_lo, exec_lo, s74
	s_cbranch_execnz .LBB6_2434
.LBB6_2239:                             ;   in Loop: Header=BB6_2199 Depth=3
	s_or_b32 exec_lo, exec_lo, s74
	s_and_saveexec_b32 s74, s17
	s_cbranch_execz .LBB6_2241
.LBB6_2240:                             ;   in Loop: Header=BB6_2199 Depth=3
	v_bfe_u32 v15, v8, 16, 2
	v_bfe_u32 v22, v8, 18, 5
	v_lshlrev_b32_e32 v23, 8, v8
	v_ffbh_u32_e32 v20, v15
	v_cmp_eq_u32_e32 vcc_lo, 0, v22
	v_min_u32_e32 v20, 32, v20
	v_subrev_nc_u32_e32 v21, 29, v20
	v_sub_nc_u32_e32 v20, 30, v20
	v_lshlrev_b32_sdwa v21, v21, v8 dst_sel:DWORD dst_unused:UNUSED_PAD src0_sel:DWORD src1_sel:WORD_1
	v_cndmask_b32_e32 v20, v22, v20, vcc_lo
	v_and_b32_e32 v21, 3, v21
	v_lshl_add_u32 v20, v20, 23, 0x37800000
	v_cndmask_b32_e32 v15, v15, v21, vcc_lo
	v_and_b32_e32 v21, 0x80000000, v23
	v_lshlrev_b32_e32 v15, 21, v15
	v_or3_b32 v15, v21, v20, v15
.LBB6_2241:                             ;   in Loop: Header=BB6_2199 Depth=3
	s_or_b32 exec_lo, exec_lo, s74
	v_mul_f32_e32 v20, s73, v15
	v_and_b32_e32 v15, 0x7f800000, v20
	v_cmp_ne_u32_e32 vcc_lo, 0x7f800000, v15
	v_mov_b32_e32 v15, 0x80
	s_and_saveexec_b32 s74, vcc_lo
	s_cbranch_execz .LBB6_2249
; %bb.2242:                             ;   in Loop: Header=BB6_2199 Depth=3
	v_mov_b32_e32 v15, 0
	s_mov_b32 s75, exec_lo
	v_cmpx_ne_u32_e32 0, v20
	s_cbranch_execz .LBB6_2248
; %bb.2243:                             ;   in Loop: Header=BB6_2199 Depth=3
	v_bfe_u32 v15, v20, 23, 8
	v_and_b32_e32 v21, 0x7fffff, v20
	v_sub_nc_u32_e32 v22, 0x70, v15
	v_cmp_gt_u32_e32 vcc_lo, 0x71, v15
	v_or_b32_e32 v23, 0x800000, v21
	v_cndmask_b32_e32 v22, 0, v22, vcc_lo
	v_cmp_eq_u32_e32 vcc_lo, 0, v15
	v_add_nc_u32_e32 v15, 0xffffff91, v15
	v_cndmask_b32_e64 v22, v22, 0x6f, vcc_lo
	v_cndmask_b32_e32 v21, v23, v21, vcc_lo
	v_cndmask_b32_e64 v15, v15, 0xffffff92, vcc_lo
	v_lshl_add_u32 v23, 0x200000, v22, -1
	v_lshrrev_b32_e32 v24, v22, v21
	v_lshlrev_b32_e64 v26, v22, 0x100000
	v_add_nc_u32_e32 v22, v22, v15
	v_and_b32_e32 v21, v23, v21
	v_bfe_u32 v25, v24, 21, 1
	v_cmp_eq_u32_e64 s17, v21, v26
	v_add_nc_u32_e32 v23, -1, v25
	v_cndmask_b32_e64 v21, 0, v23, s17
	v_lshrrev_b32_e32 v23, 23, v24
	s_mov_b32 s17, exec_lo
	v_add_nc_u32_e32 v21, v21, v24
	v_xor_b32_e32 v23, 1, v23
	v_and_b32_e32 v15, 0x1fffff, v21
	v_add_nc_u32_e32 v21, v15, v24
                                        ; implicit-def: $vgpr15
	v_cmpx_ne_u32_e64 v22, v23
	s_xor_b32 s17, exec_lo, s17
; %bb.2244:                             ;   in Loop: Header=BB6_2199 Depth=3
	v_cmp_lt_u32_e32 vcc_lo, 0xffffff, v21
	v_sub_nc_u32_e32 v15, v22, v23
	v_cndmask_b32_e64 v22, 0, 1, vcc_lo
	v_add_co_ci_u32_e64 v15, null, 0, v15, vcc_lo
	v_lshrrev_b32_e32 v21, v22, v21
; %bb.2245:                             ;   in Loop: Header=BB6_2199 Depth=3
	s_andn2_saveexec_b32 s17, s17
; %bb.2246:                             ;   in Loop: Header=BB6_2199 Depth=3
	v_bfe_u32 v15, v21, 23, 1
; %bb.2247:                             ;   in Loop: Header=BB6_2199 Depth=3
	s_or_b32 exec_lo, exec_lo, s17
	v_lshrrev_b32_e32 v21, 21, v21
	v_min_i32_e32 v22, 31, v15
	v_cmp_gt_i32_e32 vcc_lo, 32, v15
	v_and_b32_sdwa v20, v20, v117 dst_sel:DWORD dst_unused:UNUSED_PAD src0_sel:BYTE_3 src1_sel:DWORD
	v_lshlrev_b32_e32 v22, 2, v22
	v_cndmask_b32_e32 v21, 3, v21, vcc_lo
	v_and_b32_e32 v22, 0xfc, v22
	v_and_b32_e32 v23, 3, v21
	v_or_b32_e32 v15, v15, v21
	v_or3_b32 v20, v22, v20, v23
	v_cmp_ne_u32_e32 vcc_lo, 0, v15
	v_cndmask_b32_e32 v15, 0, v20, vcc_lo
.LBB6_2248:                             ;   in Loop: Header=BB6_2199 Depth=3
	s_or_b32 exec_lo, exec_lo, s75
.LBB6_2249:                             ;   in Loop: Header=BB6_2199 Depth=3
	s_or_b32 exec_lo, exec_lo, s74
	v_cmp_gt_i16_sdwa s74, v8, v116 src0_sel:BYTE_3 src1_sel:DWORD
	s_mov_b32 s17, 0
	s_and_saveexec_b32 s75, s74
	s_xor_b32 s74, exec_lo, s75
	s_cbranch_execz .LBB6_2435
; %bb.2250:                             ;   in Loop: Header=BB6_2199 Depth=3
	v_cmp_eq_u16_sdwa s76, v8, v117 src0_sel:BYTE_3 src1_sel:DWORD
	s_mov_b32 s17, -1
	s_and_saveexec_b32 s75, s76
; %bb.2251:                             ;   in Loop: Header=BB6_2199 Depth=3
	s_xor_b32 s17, exec_lo, -1
; %bb.2252:                             ;   in Loop: Header=BB6_2199 Depth=3
	s_or_b32 exec_lo, exec_lo, s75
	s_and_b32 s17, s17, exec_lo
	s_or_saveexec_b32 s74, s74
	v_mov_b32_e32 v20, 0x7f800001
	s_xor_b32 exec_lo, exec_lo, s74
	s_cbranch_execnz .LBB6_2436
.LBB6_2253:                             ;   in Loop: Header=BB6_2199 Depth=3
	s_or_b32 exec_lo, exec_lo, s74
	s_and_saveexec_b32 s74, s17
	s_cbranch_execz .LBB6_2255
.LBB6_2254:                             ;   in Loop: Header=BB6_2199 Depth=3
	v_bfe_u32 v20, v8, 24, 2
	v_bfe_u32 v23, v8, 26, 5
	v_ffbh_u32_e32 v21, v20
	v_cmp_eq_u32_e32 vcc_lo, 0, v23
	v_min_u32_e32 v21, 32, v21
	v_subrev_nc_u32_e32 v22, 29, v21
	v_sub_nc_u32_e32 v21, 30, v21
	v_lshlrev_b32_sdwa v22, v22, v8 dst_sel:DWORD dst_unused:UNUSED_PAD src0_sel:DWORD src1_sel:BYTE_3
	v_cndmask_b32_e32 v21, v23, v21, vcc_lo
	v_and_b32_e32 v8, 0x80000000, v8
	v_and_b32_e32 v22, 3, v22
	v_lshl_add_u32 v21, v21, 23, 0x37800000
	v_cndmask_b32_e32 v20, v20, v22, vcc_lo
	v_lshlrev_b32_e32 v20, 21, v20
	v_or3_b32 v20, v8, v21, v20
.LBB6_2255:                             ;   in Loop: Header=BB6_2199 Depth=3
	s_or_b32 exec_lo, exec_lo, s74
	v_mul_f32_e32 v20, s73, v20
	v_and_b32_e32 v8, 0x7f800000, v20
	v_cmp_ne_u32_e32 vcc_lo, 0x7f800000, v8
	v_mov_b32_e32 v8, 0x8000
	s_and_saveexec_b32 s74, vcc_lo
	s_cbranch_execz .LBB6_2263
; %bb.2256:                             ;   in Loop: Header=BB6_2199 Depth=3
	v_mov_b32_e32 v8, 0
	s_mov_b32 s75, exec_lo
	v_cmpx_ne_u32_e32 0, v20
	s_cbranch_execz .LBB6_2262
; %bb.2257:                             ;   in Loop: Header=BB6_2199 Depth=3
	v_bfe_u32 v8, v20, 23, 8
	v_and_b32_e32 v21, 0x7fffff, v20
	v_sub_nc_u32_e32 v22, 0x70, v8
	v_cmp_gt_u32_e32 vcc_lo, 0x71, v8
	v_or_b32_e32 v23, 0x800000, v21
	v_cndmask_b32_e32 v22, 0, v22, vcc_lo
	v_cmp_eq_u32_e32 vcc_lo, 0, v8
	v_add_nc_u32_e32 v8, 0xffffff91, v8
	v_cndmask_b32_e64 v22, v22, 0x6f, vcc_lo
	v_cndmask_b32_e32 v21, v23, v21, vcc_lo
	v_cndmask_b32_e64 v8, v8, 0xffffff92, vcc_lo
	v_lshl_add_u32 v23, 0x200000, v22, -1
	v_lshrrev_b32_e32 v24, v22, v21
	v_lshlrev_b32_e64 v26, v22, 0x100000
	v_add_nc_u32_e32 v22, v22, v8
	v_and_b32_e32 v21, v23, v21
	v_bfe_u32 v25, v24, 21, 1
	v_cmp_eq_u32_e64 s17, v21, v26
	v_add_nc_u32_e32 v23, -1, v25
	v_cndmask_b32_e64 v21, 0, v23, s17
	v_lshrrev_b32_e32 v23, 23, v24
	s_mov_b32 s17, exec_lo
	v_add_nc_u32_e32 v21, v21, v24
	v_xor_b32_e32 v23, 1, v23
	v_and_b32_e32 v8, 0x1fffff, v21
	v_add_nc_u32_e32 v21, v8, v24
                                        ; implicit-def: $vgpr8
	v_cmpx_ne_u32_e64 v22, v23
	s_xor_b32 s17, exec_lo, s17
; %bb.2258:                             ;   in Loop: Header=BB6_2199 Depth=3
	v_cmp_lt_u32_e32 vcc_lo, 0xffffff, v21
	v_sub_nc_u32_e32 v8, v22, v23
	v_cndmask_b32_e64 v22, 0, 1, vcc_lo
	v_add_co_ci_u32_e64 v8, null, 0, v8, vcc_lo
	v_lshrrev_b32_e32 v21, v22, v21
; %bb.2259:                             ;   in Loop: Header=BB6_2199 Depth=3
	s_andn2_saveexec_b32 s17, s17
; %bb.2260:                             ;   in Loop: Header=BB6_2199 Depth=3
	v_bfe_u32 v8, v21, 23, 1
; %bb.2261:                             ;   in Loop: Header=BB6_2199 Depth=3
	s_or_b32 exec_lo, exec_lo, s17
	v_lshrrev_b32_e32 v21, 21, v21
	v_min_i32_e32 v22, 31, v8
	v_cmp_gt_i32_e32 vcc_lo, 32, v8
	v_and_b32_sdwa v20, v20, v117 dst_sel:DWORD dst_unused:UNUSED_PAD src0_sel:BYTE_3 src1_sel:DWORD
	v_lshlrev_b32_e32 v22, 2, v22
	v_cndmask_b32_e32 v21, 3, v21, vcc_lo
	v_and_b32_e32 v22, 0xfc, v22
	v_and_b32_e32 v23, 3, v21
	v_or_b32_e32 v8, v8, v21
	v_or3_b32 v20, v20, v22, v23
	v_cmp_ne_u32_e32 vcc_lo, 0, v8
	v_lshlrev_b32_e32 v20, 8, v20
	v_cndmask_b32_e32 v8, 0, v20, vcc_lo
.LBB6_2262:                             ;   in Loop: Header=BB6_2199 Depth=3
	s_or_b32 exec_lo, exec_lo, s75
.LBB6_2263:                             ;   in Loop: Header=BB6_2199 Depth=3
	s_or_b32 exec_lo, exec_lo, s74
	v_cmp_gt_i16_sdwa s74, v9, v116 src0_sel:BYTE_0 src1_sel:DWORD
	s_mov_b32 s17, 0
	s_and_saveexec_b32 s75, s74
	s_xor_b32 s74, exec_lo, s75
	s_cbranch_execz .LBB6_2437
; %bb.2264:                             ;   in Loop: Header=BB6_2199 Depth=3
	v_cmp_eq_u16_sdwa s76, v9, v117 src0_sel:BYTE_0 src1_sel:DWORD
	s_mov_b32 s17, -1
	s_and_saveexec_b32 s75, s76
; %bb.2265:                             ;   in Loop: Header=BB6_2199 Depth=3
	s_xor_b32 s17, exec_lo, -1
; %bb.2266:                             ;   in Loop: Header=BB6_2199 Depth=3
	s_or_b32 exec_lo, exec_lo, s75
	s_and_b32 s17, s17, exec_lo
	s_or_saveexec_b32 s74, s74
	v_mov_b32_e32 v20, 0x7f800001
	s_xor_b32 exec_lo, exec_lo, s74
	s_cbranch_execnz .LBB6_2438
.LBB6_2267:                             ;   in Loop: Header=BB6_2199 Depth=3
	s_or_b32 exec_lo, exec_lo, s74
	s_and_saveexec_b32 s74, s17
	s_cbranch_execz .LBB6_2269
.LBB6_2268:                             ;   in Loop: Header=BB6_2199 Depth=3
	v_and_b32_e32 v20, 3, v9
	v_bfe_u32 v23, v9, 2, 5
	v_lshlrev_b32_e32 v24, 24, v9
	v_ffbh_u32_e32 v21, v20
	v_cmp_eq_u32_e32 vcc_lo, 0, v23
	v_min_u32_e32 v21, 32, v21
	v_subrev_nc_u32_e32 v22, 29, v21
	v_sub_nc_u32_e32 v21, 30, v21
	v_lshlrev_b32_e32 v22, v22, v9
	v_cndmask_b32_e32 v21, v23, v21, vcc_lo
	v_and_b32_e32 v22, 3, v22
	v_lshl_add_u32 v21, v21, 23, 0x37800000
	v_cndmask_b32_e32 v20, v20, v22, vcc_lo
	v_and_b32_e32 v22, 0x80000000, v24
	v_lshlrev_b32_e32 v20, 21, v20
	v_or3_b32 v20, v22, v21, v20
.LBB6_2269:                             ;   in Loop: Header=BB6_2199 Depth=3
	s_or_b32 exec_lo, exec_lo, s74
	v_mul_f32_e32 v21, s73, v20
	v_and_b32_e32 v20, 0x7f800000, v21
	v_cmp_ne_u32_e32 vcc_lo, 0x7f800000, v20
	v_mov_b32_e32 v20, 0x80
	s_and_saveexec_b32 s74, vcc_lo
	s_cbranch_execz .LBB6_2277
; %bb.2270:                             ;   in Loop: Header=BB6_2199 Depth=3
	v_mov_b32_e32 v20, 0
	s_mov_b32 s75, exec_lo
	v_cmpx_ne_u32_e32 0, v21
	s_cbranch_execz .LBB6_2276
; %bb.2271:                             ;   in Loop: Header=BB6_2199 Depth=3
	v_bfe_u32 v20, v21, 23, 8
	v_and_b32_e32 v22, 0x7fffff, v21
	v_sub_nc_u32_e32 v23, 0x70, v20
	v_cmp_gt_u32_e32 vcc_lo, 0x71, v20
	v_or_b32_e32 v24, 0x800000, v22
	v_cndmask_b32_e32 v23, 0, v23, vcc_lo
	v_cmp_eq_u32_e32 vcc_lo, 0, v20
	v_add_nc_u32_e32 v20, 0xffffff91, v20
	v_cndmask_b32_e64 v23, v23, 0x6f, vcc_lo
	v_cndmask_b32_e32 v22, v24, v22, vcc_lo
	v_cndmask_b32_e64 v20, v20, 0xffffff92, vcc_lo
	v_lshl_add_u32 v24, 0x200000, v23, -1
	v_lshrrev_b32_e32 v25, v23, v22
	v_lshlrev_b32_e64 v27, v23, 0x100000
	v_add_nc_u32_e32 v23, v23, v20
	v_and_b32_e32 v22, v24, v22
	v_bfe_u32 v26, v25, 21, 1
	v_cmp_eq_u32_e64 s17, v22, v27
	v_add_nc_u32_e32 v24, -1, v26
	v_cndmask_b32_e64 v22, 0, v24, s17
	v_lshrrev_b32_e32 v24, 23, v25
	s_mov_b32 s17, exec_lo
	v_add_nc_u32_e32 v22, v22, v25
	v_xor_b32_e32 v24, 1, v24
	v_and_b32_e32 v20, 0x1fffff, v22
	v_add_nc_u32_e32 v22, v20, v25
                                        ; implicit-def: $vgpr20
	v_cmpx_ne_u32_e64 v23, v24
	s_xor_b32 s17, exec_lo, s17
; %bb.2272:                             ;   in Loop: Header=BB6_2199 Depth=3
	v_cmp_lt_u32_e32 vcc_lo, 0xffffff, v22
	v_sub_nc_u32_e32 v20, v23, v24
	v_cndmask_b32_e64 v23, 0, 1, vcc_lo
	v_add_co_ci_u32_e64 v20, null, 0, v20, vcc_lo
	v_lshrrev_b32_e32 v22, v23, v22
; %bb.2273:                             ;   in Loop: Header=BB6_2199 Depth=3
	s_andn2_saveexec_b32 s17, s17
; %bb.2274:                             ;   in Loop: Header=BB6_2199 Depth=3
	v_bfe_u32 v20, v22, 23, 1
; %bb.2275:                             ;   in Loop: Header=BB6_2199 Depth=3
	s_or_b32 exec_lo, exec_lo, s17
	v_lshrrev_b32_e32 v22, 21, v22
	v_min_i32_e32 v23, 31, v20
	v_cmp_gt_i32_e32 vcc_lo, 32, v20
	v_and_b32_sdwa v21, v21, v117 dst_sel:DWORD dst_unused:UNUSED_PAD src0_sel:BYTE_3 src1_sel:DWORD
	v_lshlrev_b32_e32 v23, 2, v23
	v_cndmask_b32_e32 v22, 3, v22, vcc_lo
	v_and_b32_e32 v23, 0xfc, v23
	v_and_b32_e32 v24, 3, v22
	v_or_b32_e32 v20, v20, v22
	v_or3_b32 v21, v23, v21, v24
	v_cmp_ne_u32_e32 vcc_lo, 0, v20
	v_cndmask_b32_e32 v20, 0, v21, vcc_lo
.LBB6_2276:                             ;   in Loop: Header=BB6_2199 Depth=3
	s_or_b32 exec_lo, exec_lo, s75
.LBB6_2277:                             ;   in Loop: Header=BB6_2199 Depth=3
	s_or_b32 exec_lo, exec_lo, s74
	v_cmp_gt_i16_sdwa s74, v9, v116 src0_sel:BYTE_1 src1_sel:DWORD
	s_mov_b32 s17, 0
	s_and_saveexec_b32 s75, s74
	s_xor_b32 s74, exec_lo, s75
	s_cbranch_execz .LBB6_2439
; %bb.2278:                             ;   in Loop: Header=BB6_2199 Depth=3
	v_cmp_eq_u16_sdwa s76, v9, v117 src0_sel:BYTE_1 src1_sel:DWORD
	s_mov_b32 s17, -1
	s_and_saveexec_b32 s75, s76
; %bb.2279:                             ;   in Loop: Header=BB6_2199 Depth=3
	s_xor_b32 s17, exec_lo, -1
; %bb.2280:                             ;   in Loop: Header=BB6_2199 Depth=3
	s_or_b32 exec_lo, exec_lo, s75
	s_and_b32 s17, s17, exec_lo
	s_or_saveexec_b32 s74, s74
	v_mov_b32_e32 v21, 0x7f800001
	s_xor_b32 exec_lo, exec_lo, s74
	s_cbranch_execnz .LBB6_2440
.LBB6_2281:                             ;   in Loop: Header=BB6_2199 Depth=3
	s_or_b32 exec_lo, exec_lo, s74
	s_and_saveexec_b32 s74, s17
	s_cbranch_execz .LBB6_2283
.LBB6_2282:                             ;   in Loop: Header=BB6_2199 Depth=3
	v_and_b32_sdwa v21, v118, v9 dst_sel:DWORD dst_unused:UNUSED_PAD src0_sel:DWORD src1_sel:BYTE_1
	v_and_b32_e32 v22, 3, v21
	v_bfe_u32 v25, v21, 2, 5
	v_ffbh_u32_e32 v23, v22
	v_cmp_eq_u32_e32 vcc_lo, 0, v25
	v_min_u32_e32 v23, 32, v23
	v_subrev_nc_u32_e32 v24, 29, v23
	v_sub_nc_u32_e32 v23, 30, v23
	v_lshlrev_b32_e32 v21, v24, v21
	v_lshlrev_b32_sdwa v24, v119, v9 dst_sel:DWORD dst_unused:UNUSED_PAD src0_sel:DWORD src1_sel:BYTE_1
	v_cndmask_b32_e32 v23, v25, v23, vcc_lo
	v_and_b32_e32 v21, 3, v21
	v_lshl_add_u32 v23, v23, 23, 0x37800000
	v_cndmask_b32_e32 v21, v22, v21, vcc_lo
	v_and_b32_e32 v22, 0x80000000, v24
	v_lshlrev_b32_e32 v21, 21, v21
	v_or3_b32 v21, v22, v23, v21
.LBB6_2283:                             ;   in Loop: Header=BB6_2199 Depth=3
	s_or_b32 exec_lo, exec_lo, s74
	v_mul_f32_e32 v22, s73, v21
	v_and_b32_e32 v21, 0x7f800000, v22
	v_cmp_ne_u32_e32 vcc_lo, 0x7f800000, v21
	v_mov_b32_e32 v21, 0x8000
	s_and_saveexec_b32 s74, vcc_lo
	s_cbranch_execz .LBB6_2291
; %bb.2284:                             ;   in Loop: Header=BB6_2199 Depth=3
	v_mov_b32_e32 v21, 0
	s_mov_b32 s75, exec_lo
	v_cmpx_ne_u32_e32 0, v22
	s_cbranch_execz .LBB6_2290
; %bb.2285:                             ;   in Loop: Header=BB6_2199 Depth=3
	v_bfe_u32 v21, v22, 23, 8
	v_and_b32_e32 v23, 0x7fffff, v22
	v_sub_nc_u32_e32 v24, 0x70, v21
	v_cmp_gt_u32_e32 vcc_lo, 0x71, v21
	v_or_b32_e32 v25, 0x800000, v23
	v_cndmask_b32_e32 v24, 0, v24, vcc_lo
	v_cmp_eq_u32_e32 vcc_lo, 0, v21
	v_add_nc_u32_e32 v21, 0xffffff91, v21
	v_cndmask_b32_e64 v24, v24, 0x6f, vcc_lo
	v_cndmask_b32_e32 v23, v25, v23, vcc_lo
	v_cndmask_b32_e64 v21, v21, 0xffffff92, vcc_lo
	v_lshl_add_u32 v25, 0x200000, v24, -1
	v_lshrrev_b32_e32 v26, v24, v23
	v_lshlrev_b32_e64 v28, v24, 0x100000
	v_add_nc_u32_e32 v24, v24, v21
	v_and_b32_e32 v23, v25, v23
	v_bfe_u32 v27, v26, 21, 1
	v_cmp_eq_u32_e64 s17, v23, v28
	v_add_nc_u32_e32 v25, -1, v27
	v_cndmask_b32_e64 v23, 0, v25, s17
	v_lshrrev_b32_e32 v25, 23, v26
	s_mov_b32 s17, exec_lo
	v_add_nc_u32_e32 v23, v23, v26
	v_xor_b32_e32 v25, 1, v25
	v_and_b32_e32 v21, 0x1fffff, v23
	v_add_nc_u32_e32 v23, v21, v26
                                        ; implicit-def: $vgpr21
	v_cmpx_ne_u32_e64 v24, v25
	s_xor_b32 s17, exec_lo, s17
; %bb.2286:                             ;   in Loop: Header=BB6_2199 Depth=3
	v_cmp_lt_u32_e32 vcc_lo, 0xffffff, v23
	v_sub_nc_u32_e32 v21, v24, v25
	v_cndmask_b32_e64 v24, 0, 1, vcc_lo
	v_add_co_ci_u32_e64 v21, null, 0, v21, vcc_lo
	v_lshrrev_b32_e32 v23, v24, v23
; %bb.2287:                             ;   in Loop: Header=BB6_2199 Depth=3
	s_andn2_saveexec_b32 s17, s17
; %bb.2288:                             ;   in Loop: Header=BB6_2199 Depth=3
	v_bfe_u32 v21, v23, 23, 1
; %bb.2289:                             ;   in Loop: Header=BB6_2199 Depth=3
	s_or_b32 exec_lo, exec_lo, s17
	v_lshrrev_b32_e32 v23, 21, v23
	v_min_i32_e32 v24, 31, v21
	v_cmp_gt_i32_e32 vcc_lo, 32, v21
	v_and_b32_sdwa v22, v22, v117 dst_sel:DWORD dst_unused:UNUSED_PAD src0_sel:BYTE_3 src1_sel:DWORD
	v_lshlrev_b32_e32 v24, 2, v24
	v_cndmask_b32_e32 v23, 3, v23, vcc_lo
	v_and_b32_e32 v24, 0xfc, v24
	v_and_b32_e32 v25, 3, v23
	v_or_b32_e32 v21, v21, v23
	v_or3_b32 v22, v22, v24, v25
	v_cmp_ne_u32_e32 vcc_lo, 0, v21
	v_lshlrev_b32_e32 v22, 8, v22
	v_cndmask_b32_e32 v21, 0, v22, vcc_lo
.LBB6_2290:                             ;   in Loop: Header=BB6_2199 Depth=3
	s_or_b32 exec_lo, exec_lo, s75
.LBB6_2291:                             ;   in Loop: Header=BB6_2199 Depth=3
	s_or_b32 exec_lo, exec_lo, s74
	v_and_b32_sdwa v23, v9, v40 dst_sel:DWORD dst_unused:UNUSED_PAD src0_sel:WORD_1 src1_sel:DWORD
	s_mov_b32 s17, 0
	s_mov_b32 s74, exec_lo
	v_cmpx_lt_i16_e32 0x7f, v23
	s_xor_b32 s74, exec_lo, s74
	s_cbranch_execz .LBB6_2441
; %bb.2292:                             ;   in Loop: Header=BB6_2199 Depth=3
	s_mov_b32 s17, -1
	s_mov_b32 s75, exec_lo
	v_cmpx_eq_u16_e32 0x80, v23
; %bb.2293:                             ;   in Loop: Header=BB6_2199 Depth=3
	s_xor_b32 s17, exec_lo, -1
; %bb.2294:                             ;   in Loop: Header=BB6_2199 Depth=3
	s_or_b32 exec_lo, exec_lo, s75
	s_and_b32 s17, s17, exec_lo
                                        ; implicit-def: $vgpr23
	s_or_saveexec_b32 s74, s74
	v_mov_b32_e32 v22, 0x7f800001
	s_xor_b32 exec_lo, exec_lo, s74
	s_cbranch_execnz .LBB6_2442
.LBB6_2295:                             ;   in Loop: Header=BB6_2199 Depth=3
	s_or_b32 exec_lo, exec_lo, s74
	s_and_saveexec_b32 s74, s17
	s_cbranch_execz .LBB6_2297
.LBB6_2296:                             ;   in Loop: Header=BB6_2199 Depth=3
	v_bfe_u32 v22, v9, 16, 2
	v_bfe_u32 v25, v9, 18, 5
	v_lshlrev_b32_e32 v26, 8, v9
	v_ffbh_u32_e32 v23, v22
	v_cmp_eq_u32_e32 vcc_lo, 0, v25
	v_min_u32_e32 v23, 32, v23
	v_subrev_nc_u32_e32 v24, 29, v23
	v_sub_nc_u32_e32 v23, 30, v23
	v_lshlrev_b32_sdwa v24, v24, v9 dst_sel:DWORD dst_unused:UNUSED_PAD src0_sel:DWORD src1_sel:WORD_1
	v_cndmask_b32_e32 v23, v25, v23, vcc_lo
	v_and_b32_e32 v24, 3, v24
	v_lshl_add_u32 v23, v23, 23, 0x37800000
	v_cndmask_b32_e32 v22, v22, v24, vcc_lo
	v_and_b32_e32 v24, 0x80000000, v26
	v_lshlrev_b32_e32 v22, 21, v22
	v_or3_b32 v22, v24, v23, v22
.LBB6_2297:                             ;   in Loop: Header=BB6_2199 Depth=3
	s_or_b32 exec_lo, exec_lo, s74
	v_mul_f32_e32 v23, s73, v22
	v_and_b32_e32 v22, 0x7f800000, v23
	v_cmp_ne_u32_e32 vcc_lo, 0x7f800000, v22
	v_mov_b32_e32 v22, 0x80
	s_and_saveexec_b32 s74, vcc_lo
	s_cbranch_execz .LBB6_2305
; %bb.2298:                             ;   in Loop: Header=BB6_2199 Depth=3
	v_mov_b32_e32 v22, 0
	s_mov_b32 s75, exec_lo
	v_cmpx_ne_u32_e32 0, v23
	s_cbranch_execz .LBB6_2304
; %bb.2299:                             ;   in Loop: Header=BB6_2199 Depth=3
	v_bfe_u32 v22, v23, 23, 8
	v_and_b32_e32 v24, 0x7fffff, v23
	v_sub_nc_u32_e32 v25, 0x70, v22
	v_cmp_gt_u32_e32 vcc_lo, 0x71, v22
	v_or_b32_e32 v26, 0x800000, v24
	v_cndmask_b32_e32 v25, 0, v25, vcc_lo
	v_cmp_eq_u32_e32 vcc_lo, 0, v22
	v_add_nc_u32_e32 v22, 0xffffff91, v22
	v_cndmask_b32_e64 v25, v25, 0x6f, vcc_lo
	v_cndmask_b32_e32 v24, v26, v24, vcc_lo
	v_cndmask_b32_e64 v22, v22, 0xffffff92, vcc_lo
	v_lshl_add_u32 v26, 0x200000, v25, -1
	v_lshrrev_b32_e32 v27, v25, v24
	v_lshlrev_b32_e64 v29, v25, 0x100000
	v_add_nc_u32_e32 v25, v25, v22
	v_and_b32_e32 v24, v26, v24
	v_bfe_u32 v28, v27, 21, 1
	v_cmp_eq_u32_e64 s17, v24, v29
	v_add_nc_u32_e32 v26, -1, v28
	v_cndmask_b32_e64 v24, 0, v26, s17
	v_lshrrev_b32_e32 v26, 23, v27
	s_mov_b32 s17, exec_lo
	v_add_nc_u32_e32 v24, v24, v27
	v_xor_b32_e32 v26, 1, v26
	v_and_b32_e32 v22, 0x1fffff, v24
	v_add_nc_u32_e32 v24, v22, v27
                                        ; implicit-def: $vgpr22
	v_cmpx_ne_u32_e64 v25, v26
	s_xor_b32 s17, exec_lo, s17
; %bb.2300:                             ;   in Loop: Header=BB6_2199 Depth=3
	v_cmp_lt_u32_e32 vcc_lo, 0xffffff, v24
	v_sub_nc_u32_e32 v22, v25, v26
	v_cndmask_b32_e64 v25, 0, 1, vcc_lo
	v_add_co_ci_u32_e64 v22, null, 0, v22, vcc_lo
	v_lshrrev_b32_e32 v24, v25, v24
; %bb.2301:                             ;   in Loop: Header=BB6_2199 Depth=3
	s_andn2_saveexec_b32 s17, s17
; %bb.2302:                             ;   in Loop: Header=BB6_2199 Depth=3
	v_bfe_u32 v22, v24, 23, 1
; %bb.2303:                             ;   in Loop: Header=BB6_2199 Depth=3
	s_or_b32 exec_lo, exec_lo, s17
	v_lshrrev_b32_e32 v24, 21, v24
	v_min_i32_e32 v25, 31, v22
	v_cmp_gt_i32_e32 vcc_lo, 32, v22
	v_and_b32_sdwa v23, v23, v117 dst_sel:DWORD dst_unused:UNUSED_PAD src0_sel:BYTE_3 src1_sel:DWORD
	v_lshlrev_b32_e32 v25, 2, v25
	v_cndmask_b32_e32 v24, 3, v24, vcc_lo
	v_and_b32_e32 v25, 0xfc, v25
	v_and_b32_e32 v26, 3, v24
	v_or_b32_e32 v22, v22, v24
	v_or3_b32 v23, v25, v23, v26
	v_cmp_ne_u32_e32 vcc_lo, 0, v22
	v_cndmask_b32_e32 v22, 0, v23, vcc_lo
.LBB6_2304:                             ;   in Loop: Header=BB6_2199 Depth=3
	s_or_b32 exec_lo, exec_lo, s75
.LBB6_2305:                             ;   in Loop: Header=BB6_2199 Depth=3
	s_or_b32 exec_lo, exec_lo, s74
	v_cmp_gt_i16_sdwa s74, v9, v116 src0_sel:BYTE_3 src1_sel:DWORD
	s_mov_b32 s17, 0
	s_and_saveexec_b32 s75, s74
	s_xor_b32 s74, exec_lo, s75
	s_cbranch_execz .LBB6_2443
; %bb.2306:                             ;   in Loop: Header=BB6_2199 Depth=3
	v_cmp_eq_u16_sdwa s76, v9, v117 src0_sel:BYTE_3 src1_sel:DWORD
	s_mov_b32 s17, -1
	s_and_saveexec_b32 s75, s76
; %bb.2307:                             ;   in Loop: Header=BB6_2199 Depth=3
	s_xor_b32 s17, exec_lo, -1
; %bb.2308:                             ;   in Loop: Header=BB6_2199 Depth=3
	s_or_b32 exec_lo, exec_lo, s75
	s_and_b32 s17, s17, exec_lo
	s_or_saveexec_b32 s74, s74
	v_mov_b32_e32 v23, 0x7f800001
	s_xor_b32 exec_lo, exec_lo, s74
	s_cbranch_execnz .LBB6_2444
.LBB6_2309:                             ;   in Loop: Header=BB6_2199 Depth=3
	s_or_b32 exec_lo, exec_lo, s74
	s_and_saveexec_b32 s74, s17
	s_cbranch_execz .LBB6_2311
.LBB6_2310:                             ;   in Loop: Header=BB6_2199 Depth=3
	v_bfe_u32 v23, v9, 24, 2
	v_bfe_u32 v26, v9, 26, 5
	v_ffbh_u32_e32 v24, v23
	v_cmp_eq_u32_e32 vcc_lo, 0, v26
	v_min_u32_e32 v24, 32, v24
	v_subrev_nc_u32_e32 v25, 29, v24
	v_sub_nc_u32_e32 v24, 30, v24
	v_lshlrev_b32_sdwa v25, v25, v9 dst_sel:DWORD dst_unused:UNUSED_PAD src0_sel:DWORD src1_sel:BYTE_3
	v_cndmask_b32_e32 v24, v26, v24, vcc_lo
	v_and_b32_e32 v9, 0x80000000, v9
	v_and_b32_e32 v25, 3, v25
	v_lshl_add_u32 v24, v24, 23, 0x37800000
	v_cndmask_b32_e32 v23, v23, v25, vcc_lo
	v_lshlrev_b32_e32 v23, 21, v23
	v_or3_b32 v23, v9, v24, v23
.LBB6_2311:                             ;   in Loop: Header=BB6_2199 Depth=3
	s_or_b32 exec_lo, exec_lo, s74
	v_mul_f32_e32 v23, s73, v23
	v_and_b32_e32 v9, 0x7f800000, v23
	v_cmp_ne_u32_e32 vcc_lo, 0x7f800000, v9
	v_mov_b32_e32 v9, 0x8000
	s_and_saveexec_b32 s74, vcc_lo
	s_cbranch_execz .LBB6_2319
; %bb.2312:                             ;   in Loop: Header=BB6_2199 Depth=3
	v_mov_b32_e32 v9, 0
	s_mov_b32 s75, exec_lo
	v_cmpx_ne_u32_e32 0, v23
	s_cbranch_execz .LBB6_2318
; %bb.2313:                             ;   in Loop: Header=BB6_2199 Depth=3
	v_bfe_u32 v9, v23, 23, 8
	v_and_b32_e32 v24, 0x7fffff, v23
	v_sub_nc_u32_e32 v25, 0x70, v9
	v_cmp_gt_u32_e32 vcc_lo, 0x71, v9
	v_or_b32_e32 v26, 0x800000, v24
	v_cndmask_b32_e32 v25, 0, v25, vcc_lo
	v_cmp_eq_u32_e32 vcc_lo, 0, v9
	v_add_nc_u32_e32 v9, 0xffffff91, v9
	v_cndmask_b32_e64 v25, v25, 0x6f, vcc_lo
	v_cndmask_b32_e32 v24, v26, v24, vcc_lo
	v_cndmask_b32_e64 v9, v9, 0xffffff92, vcc_lo
	v_lshl_add_u32 v26, 0x200000, v25, -1
	v_lshrrev_b32_e32 v27, v25, v24
	v_lshlrev_b32_e64 v29, v25, 0x100000
	v_add_nc_u32_e32 v25, v25, v9
	v_and_b32_e32 v24, v26, v24
	v_bfe_u32 v28, v27, 21, 1
	v_cmp_eq_u32_e64 s17, v24, v29
	v_add_nc_u32_e32 v26, -1, v28
	v_cndmask_b32_e64 v24, 0, v26, s17
	v_lshrrev_b32_e32 v26, 23, v27
	s_mov_b32 s17, exec_lo
	v_add_nc_u32_e32 v24, v24, v27
	v_xor_b32_e32 v26, 1, v26
	v_and_b32_e32 v9, 0x1fffff, v24
	v_add_nc_u32_e32 v24, v9, v27
                                        ; implicit-def: $vgpr9
	v_cmpx_ne_u32_e64 v25, v26
	s_xor_b32 s17, exec_lo, s17
; %bb.2314:                             ;   in Loop: Header=BB6_2199 Depth=3
	v_cmp_lt_u32_e32 vcc_lo, 0xffffff, v24
	v_sub_nc_u32_e32 v9, v25, v26
	v_cndmask_b32_e64 v25, 0, 1, vcc_lo
	v_add_co_ci_u32_e64 v9, null, 0, v9, vcc_lo
	v_lshrrev_b32_e32 v24, v25, v24
; %bb.2315:                             ;   in Loop: Header=BB6_2199 Depth=3
	s_andn2_saveexec_b32 s17, s17
; %bb.2316:                             ;   in Loop: Header=BB6_2199 Depth=3
	v_bfe_u32 v9, v24, 23, 1
; %bb.2317:                             ;   in Loop: Header=BB6_2199 Depth=3
	s_or_b32 exec_lo, exec_lo, s17
	v_lshrrev_b32_e32 v24, 21, v24
	v_min_i32_e32 v25, 31, v9
	v_cmp_gt_i32_e32 vcc_lo, 32, v9
	v_and_b32_sdwa v23, v23, v117 dst_sel:DWORD dst_unused:UNUSED_PAD src0_sel:BYTE_3 src1_sel:DWORD
	v_lshlrev_b32_e32 v25, 2, v25
	v_cndmask_b32_e32 v24, 3, v24, vcc_lo
	v_and_b32_e32 v25, 0xfc, v25
	v_and_b32_e32 v26, 3, v24
	v_or_b32_e32 v9, v9, v24
	v_or3_b32 v23, v23, v25, v26
	v_cmp_ne_u32_e32 vcc_lo, 0, v9
	v_lshlrev_b32_e32 v23, 8, v23
	v_cndmask_b32_e32 v9, 0, v23, vcc_lo
.LBB6_2318:                             ;   in Loop: Header=BB6_2199 Depth=3
	s_or_b32 exec_lo, exec_lo, s75
.LBB6_2319:                             ;   in Loop: Header=BB6_2199 Depth=3
	s_or_b32 exec_lo, exec_lo, s74
	v_cmp_gt_i16_sdwa s74, v10, v116 src0_sel:BYTE_0 src1_sel:DWORD
	s_mov_b32 s17, 0
	s_and_saveexec_b32 s75, s74
	s_xor_b32 s74, exec_lo, s75
	s_cbranch_execz .LBB6_2445
; %bb.2320:                             ;   in Loop: Header=BB6_2199 Depth=3
	v_cmp_eq_u16_sdwa s76, v10, v117 src0_sel:BYTE_0 src1_sel:DWORD
	s_mov_b32 s17, -1
	s_and_saveexec_b32 s75, s76
; %bb.2321:                             ;   in Loop: Header=BB6_2199 Depth=3
	s_xor_b32 s17, exec_lo, -1
; %bb.2322:                             ;   in Loop: Header=BB6_2199 Depth=3
	s_or_b32 exec_lo, exec_lo, s75
	s_and_b32 s17, s17, exec_lo
	s_or_saveexec_b32 s74, s74
	v_mov_b32_e32 v23, 0x7f800001
	s_xor_b32 exec_lo, exec_lo, s74
	s_cbranch_execnz .LBB6_2446
.LBB6_2323:                             ;   in Loop: Header=BB6_2199 Depth=3
	s_or_b32 exec_lo, exec_lo, s74
	s_and_saveexec_b32 s74, s17
	s_cbranch_execz .LBB6_2325
.LBB6_2324:                             ;   in Loop: Header=BB6_2199 Depth=3
	v_and_b32_e32 v23, 3, v10
	v_bfe_u32 v26, v10, 2, 5
	v_lshlrev_b32_e32 v27, 24, v10
	v_ffbh_u32_e32 v24, v23
	v_cmp_eq_u32_e32 vcc_lo, 0, v26
	v_min_u32_e32 v24, 32, v24
	v_subrev_nc_u32_e32 v25, 29, v24
	v_sub_nc_u32_e32 v24, 30, v24
	v_lshlrev_b32_e32 v25, v25, v10
	v_cndmask_b32_e32 v24, v26, v24, vcc_lo
	v_and_b32_e32 v25, 3, v25
	v_lshl_add_u32 v24, v24, 23, 0x37800000
	v_cndmask_b32_e32 v23, v23, v25, vcc_lo
	v_and_b32_e32 v25, 0x80000000, v27
	v_lshlrev_b32_e32 v23, 21, v23
	v_or3_b32 v23, v25, v24, v23
.LBB6_2325:                             ;   in Loop: Header=BB6_2199 Depth=3
	s_or_b32 exec_lo, exec_lo, s74
	v_mul_f32_e32 v24, s73, v23
	v_and_b32_e32 v23, 0x7f800000, v24
	v_cmp_ne_u32_e32 vcc_lo, 0x7f800000, v23
	v_mov_b32_e32 v23, 0x80
	s_and_saveexec_b32 s74, vcc_lo
	s_cbranch_execz .LBB6_2333
; %bb.2326:                             ;   in Loop: Header=BB6_2199 Depth=3
	v_mov_b32_e32 v23, 0
	s_mov_b32 s75, exec_lo
	v_cmpx_ne_u32_e32 0, v24
	s_cbranch_execz .LBB6_2332
; %bb.2327:                             ;   in Loop: Header=BB6_2199 Depth=3
	v_bfe_u32 v23, v24, 23, 8
	v_and_b32_e32 v25, 0x7fffff, v24
	v_sub_nc_u32_e32 v26, 0x70, v23
	v_cmp_gt_u32_e32 vcc_lo, 0x71, v23
	v_or_b32_e32 v27, 0x800000, v25
	v_cndmask_b32_e32 v26, 0, v26, vcc_lo
	v_cmp_eq_u32_e32 vcc_lo, 0, v23
	v_add_nc_u32_e32 v23, 0xffffff91, v23
	v_cndmask_b32_e64 v26, v26, 0x6f, vcc_lo
	v_cndmask_b32_e32 v25, v27, v25, vcc_lo
	v_cndmask_b32_e64 v23, v23, 0xffffff92, vcc_lo
	v_lshl_add_u32 v27, 0x200000, v26, -1
	v_lshrrev_b32_e32 v28, v26, v25
	v_lshlrev_b32_e64 v30, v26, 0x100000
	v_add_nc_u32_e32 v26, v26, v23
	v_and_b32_e32 v25, v27, v25
	v_bfe_u32 v29, v28, 21, 1
	v_cmp_eq_u32_e64 s17, v25, v30
	v_add_nc_u32_e32 v27, -1, v29
	v_cndmask_b32_e64 v25, 0, v27, s17
	v_lshrrev_b32_e32 v27, 23, v28
	s_mov_b32 s17, exec_lo
	v_add_nc_u32_e32 v25, v25, v28
	v_xor_b32_e32 v27, 1, v27
	v_and_b32_e32 v23, 0x1fffff, v25
	v_add_nc_u32_e32 v25, v23, v28
                                        ; implicit-def: $vgpr23
	v_cmpx_ne_u32_e64 v26, v27
	s_xor_b32 s17, exec_lo, s17
; %bb.2328:                             ;   in Loop: Header=BB6_2199 Depth=3
	v_cmp_lt_u32_e32 vcc_lo, 0xffffff, v25
	v_sub_nc_u32_e32 v23, v26, v27
	v_cndmask_b32_e64 v26, 0, 1, vcc_lo
	v_add_co_ci_u32_e64 v23, null, 0, v23, vcc_lo
	v_lshrrev_b32_e32 v25, v26, v25
; %bb.2329:                             ;   in Loop: Header=BB6_2199 Depth=3
	s_andn2_saveexec_b32 s17, s17
; %bb.2330:                             ;   in Loop: Header=BB6_2199 Depth=3
	v_bfe_u32 v23, v25, 23, 1
; %bb.2331:                             ;   in Loop: Header=BB6_2199 Depth=3
	s_or_b32 exec_lo, exec_lo, s17
	v_lshrrev_b32_e32 v25, 21, v25
	v_min_i32_e32 v26, 31, v23
	v_cmp_gt_i32_e32 vcc_lo, 32, v23
	v_and_b32_sdwa v24, v24, v117 dst_sel:DWORD dst_unused:UNUSED_PAD src0_sel:BYTE_3 src1_sel:DWORD
	v_lshlrev_b32_e32 v26, 2, v26
	v_cndmask_b32_e32 v25, 3, v25, vcc_lo
	v_and_b32_e32 v26, 0xfc, v26
	v_and_b32_e32 v27, 3, v25
	v_or_b32_e32 v23, v23, v25
	v_or3_b32 v24, v26, v24, v27
	v_cmp_ne_u32_e32 vcc_lo, 0, v23
	v_cndmask_b32_e32 v23, 0, v24, vcc_lo
.LBB6_2332:                             ;   in Loop: Header=BB6_2199 Depth=3
	s_or_b32 exec_lo, exec_lo, s75
.LBB6_2333:                             ;   in Loop: Header=BB6_2199 Depth=3
	s_or_b32 exec_lo, exec_lo, s74
	v_cmp_gt_i16_sdwa s74, v10, v116 src0_sel:BYTE_1 src1_sel:DWORD
	s_mov_b32 s17, 0
	s_and_saveexec_b32 s75, s74
	s_xor_b32 s74, exec_lo, s75
	s_cbranch_execz .LBB6_2447
; %bb.2334:                             ;   in Loop: Header=BB6_2199 Depth=3
	v_cmp_eq_u16_sdwa s76, v10, v117 src0_sel:BYTE_1 src1_sel:DWORD
	s_mov_b32 s17, -1
	s_and_saveexec_b32 s75, s76
; %bb.2335:                             ;   in Loop: Header=BB6_2199 Depth=3
	s_xor_b32 s17, exec_lo, -1
; %bb.2336:                             ;   in Loop: Header=BB6_2199 Depth=3
	s_or_b32 exec_lo, exec_lo, s75
	s_and_b32 s17, s17, exec_lo
	s_or_saveexec_b32 s74, s74
	v_mov_b32_e32 v24, 0x7f800001
	s_xor_b32 exec_lo, exec_lo, s74
	s_cbranch_execnz .LBB6_2448
.LBB6_2337:                             ;   in Loop: Header=BB6_2199 Depth=3
	s_or_b32 exec_lo, exec_lo, s74
	s_and_saveexec_b32 s74, s17
	s_cbranch_execz .LBB6_2339
.LBB6_2338:                             ;   in Loop: Header=BB6_2199 Depth=3
	v_and_b32_sdwa v24, v118, v10 dst_sel:DWORD dst_unused:UNUSED_PAD src0_sel:DWORD src1_sel:BYTE_1
	v_and_b32_e32 v25, 3, v24
	v_bfe_u32 v28, v24, 2, 5
	v_ffbh_u32_e32 v26, v25
	v_cmp_eq_u32_e32 vcc_lo, 0, v28
	v_min_u32_e32 v26, 32, v26
	v_subrev_nc_u32_e32 v27, 29, v26
	v_sub_nc_u32_e32 v26, 30, v26
	v_lshlrev_b32_e32 v24, v27, v24
	v_lshlrev_b32_sdwa v27, v119, v10 dst_sel:DWORD dst_unused:UNUSED_PAD src0_sel:DWORD src1_sel:BYTE_1
	v_cndmask_b32_e32 v26, v28, v26, vcc_lo
	v_and_b32_e32 v24, 3, v24
	v_lshl_add_u32 v26, v26, 23, 0x37800000
	v_cndmask_b32_e32 v24, v25, v24, vcc_lo
	v_and_b32_e32 v25, 0x80000000, v27
	v_lshlrev_b32_e32 v24, 21, v24
	v_or3_b32 v24, v25, v26, v24
.LBB6_2339:                             ;   in Loop: Header=BB6_2199 Depth=3
	s_or_b32 exec_lo, exec_lo, s74
	v_mul_f32_e32 v25, s73, v24
	v_and_b32_e32 v24, 0x7f800000, v25
	v_cmp_ne_u32_e32 vcc_lo, 0x7f800000, v24
	v_mov_b32_e32 v24, 0x8000
	s_and_saveexec_b32 s74, vcc_lo
	s_cbranch_execz .LBB6_2347
; %bb.2340:                             ;   in Loop: Header=BB6_2199 Depth=3
	v_mov_b32_e32 v24, 0
	s_mov_b32 s75, exec_lo
	v_cmpx_ne_u32_e32 0, v25
	s_cbranch_execz .LBB6_2346
; %bb.2341:                             ;   in Loop: Header=BB6_2199 Depth=3
	v_bfe_u32 v24, v25, 23, 8
	v_and_b32_e32 v26, 0x7fffff, v25
	v_sub_nc_u32_e32 v27, 0x70, v24
	v_cmp_gt_u32_e32 vcc_lo, 0x71, v24
	v_or_b32_e32 v28, 0x800000, v26
	v_cndmask_b32_e32 v27, 0, v27, vcc_lo
	v_cmp_eq_u32_e32 vcc_lo, 0, v24
	v_add_nc_u32_e32 v24, 0xffffff91, v24
	v_cndmask_b32_e64 v27, v27, 0x6f, vcc_lo
	v_cndmask_b32_e32 v26, v28, v26, vcc_lo
	v_cndmask_b32_e64 v24, v24, 0xffffff92, vcc_lo
	v_lshl_add_u32 v28, 0x200000, v27, -1
	v_lshrrev_b32_e32 v29, v27, v26
	v_lshlrev_b32_e64 v31, v27, 0x100000
	v_add_nc_u32_e32 v27, v27, v24
	v_and_b32_e32 v26, v28, v26
	v_bfe_u32 v30, v29, 21, 1
	v_cmp_eq_u32_e64 s17, v26, v31
	v_add_nc_u32_e32 v28, -1, v30
	v_cndmask_b32_e64 v26, 0, v28, s17
	v_lshrrev_b32_e32 v28, 23, v29
	s_mov_b32 s17, exec_lo
	v_add_nc_u32_e32 v26, v26, v29
	v_xor_b32_e32 v28, 1, v28
	v_and_b32_e32 v24, 0x1fffff, v26
	v_add_nc_u32_e32 v26, v24, v29
                                        ; implicit-def: $vgpr24
	v_cmpx_ne_u32_e64 v27, v28
	s_xor_b32 s17, exec_lo, s17
; %bb.2342:                             ;   in Loop: Header=BB6_2199 Depth=3
	v_cmp_lt_u32_e32 vcc_lo, 0xffffff, v26
	v_sub_nc_u32_e32 v24, v27, v28
	v_cndmask_b32_e64 v27, 0, 1, vcc_lo
	v_add_co_ci_u32_e64 v24, null, 0, v24, vcc_lo
	v_lshrrev_b32_e32 v26, v27, v26
; %bb.2343:                             ;   in Loop: Header=BB6_2199 Depth=3
	s_andn2_saveexec_b32 s17, s17
; %bb.2344:                             ;   in Loop: Header=BB6_2199 Depth=3
	v_bfe_u32 v24, v26, 23, 1
; %bb.2345:                             ;   in Loop: Header=BB6_2199 Depth=3
	s_or_b32 exec_lo, exec_lo, s17
	v_lshrrev_b32_e32 v26, 21, v26
	v_min_i32_e32 v27, 31, v24
	v_cmp_gt_i32_e32 vcc_lo, 32, v24
	v_and_b32_sdwa v25, v25, v117 dst_sel:DWORD dst_unused:UNUSED_PAD src0_sel:BYTE_3 src1_sel:DWORD
	v_lshlrev_b32_e32 v27, 2, v27
	v_cndmask_b32_e32 v26, 3, v26, vcc_lo
	v_and_b32_e32 v27, 0xfc, v27
	v_and_b32_e32 v28, 3, v26
	v_or_b32_e32 v24, v24, v26
	v_or3_b32 v25, v25, v27, v28
	v_cmp_ne_u32_e32 vcc_lo, 0, v24
	v_lshlrev_b32_e32 v25, 8, v25
	v_cndmask_b32_e32 v24, 0, v25, vcc_lo
.LBB6_2346:                             ;   in Loop: Header=BB6_2199 Depth=3
	s_or_b32 exec_lo, exec_lo, s75
.LBB6_2347:                             ;   in Loop: Header=BB6_2199 Depth=3
	s_or_b32 exec_lo, exec_lo, s74
	v_and_b32_sdwa v26, v10, v40 dst_sel:DWORD dst_unused:UNUSED_PAD src0_sel:WORD_1 src1_sel:DWORD
	s_mov_b32 s17, 0
	s_mov_b32 s74, exec_lo
	v_cmpx_lt_i16_e32 0x7f, v26
	s_xor_b32 s74, exec_lo, s74
	s_cbranch_execz .LBB6_2449
; %bb.2348:                             ;   in Loop: Header=BB6_2199 Depth=3
	s_mov_b32 s17, -1
	s_mov_b32 s75, exec_lo
	v_cmpx_eq_u16_e32 0x80, v26
; %bb.2349:                             ;   in Loop: Header=BB6_2199 Depth=3
	s_xor_b32 s17, exec_lo, -1
; %bb.2350:                             ;   in Loop: Header=BB6_2199 Depth=3
	s_or_b32 exec_lo, exec_lo, s75
	s_and_b32 s17, s17, exec_lo
                                        ; implicit-def: $vgpr26
	s_or_saveexec_b32 s74, s74
	v_mov_b32_e32 v25, 0x7f800001
	s_xor_b32 exec_lo, exec_lo, s74
	s_cbranch_execnz .LBB6_2450
.LBB6_2351:                             ;   in Loop: Header=BB6_2199 Depth=3
	s_or_b32 exec_lo, exec_lo, s74
	s_and_saveexec_b32 s74, s17
	s_cbranch_execz .LBB6_2353
.LBB6_2352:                             ;   in Loop: Header=BB6_2199 Depth=3
	v_bfe_u32 v25, v10, 16, 2
	v_bfe_u32 v28, v10, 18, 5
	v_lshlrev_b32_e32 v29, 8, v10
	v_ffbh_u32_e32 v26, v25
	v_cmp_eq_u32_e32 vcc_lo, 0, v28
	v_min_u32_e32 v26, 32, v26
	v_subrev_nc_u32_e32 v27, 29, v26
	v_sub_nc_u32_e32 v26, 30, v26
	v_lshlrev_b32_sdwa v27, v27, v10 dst_sel:DWORD dst_unused:UNUSED_PAD src0_sel:DWORD src1_sel:WORD_1
	v_cndmask_b32_e32 v26, v28, v26, vcc_lo
	v_and_b32_e32 v27, 3, v27
	v_lshl_add_u32 v26, v26, 23, 0x37800000
	v_cndmask_b32_e32 v25, v25, v27, vcc_lo
	v_and_b32_e32 v27, 0x80000000, v29
	v_lshlrev_b32_e32 v25, 21, v25
	v_or3_b32 v25, v27, v26, v25
.LBB6_2353:                             ;   in Loop: Header=BB6_2199 Depth=3
	s_or_b32 exec_lo, exec_lo, s74
	v_mul_f32_e32 v26, s73, v25
	v_and_b32_e32 v25, 0x7f800000, v26
	v_cmp_ne_u32_e32 vcc_lo, 0x7f800000, v25
	v_mov_b32_e32 v25, 0x80
	s_and_saveexec_b32 s74, vcc_lo
	s_cbranch_execz .LBB6_2361
; %bb.2354:                             ;   in Loop: Header=BB6_2199 Depth=3
	v_mov_b32_e32 v25, 0
	s_mov_b32 s75, exec_lo
	v_cmpx_ne_u32_e32 0, v26
	s_cbranch_execz .LBB6_2360
; %bb.2355:                             ;   in Loop: Header=BB6_2199 Depth=3
	v_bfe_u32 v25, v26, 23, 8
	v_and_b32_e32 v27, 0x7fffff, v26
	v_sub_nc_u32_e32 v28, 0x70, v25
	v_cmp_gt_u32_e32 vcc_lo, 0x71, v25
	v_or_b32_e32 v29, 0x800000, v27
	v_cndmask_b32_e32 v28, 0, v28, vcc_lo
	v_cmp_eq_u32_e32 vcc_lo, 0, v25
	v_add_nc_u32_e32 v25, 0xffffff91, v25
	v_cndmask_b32_e64 v28, v28, 0x6f, vcc_lo
	v_cndmask_b32_e32 v27, v29, v27, vcc_lo
	v_cndmask_b32_e64 v25, v25, 0xffffff92, vcc_lo
	v_lshl_add_u32 v29, 0x200000, v28, -1
	v_lshrrev_b32_e32 v30, v28, v27
	v_lshlrev_b32_e64 v36, v28, 0x100000
	v_add_nc_u32_e32 v28, v28, v25
	v_and_b32_e32 v27, v29, v27
	v_bfe_u32 v31, v30, 21, 1
	v_cmp_eq_u32_e64 s17, v27, v36
	v_add_nc_u32_e32 v29, -1, v31
	v_cndmask_b32_e64 v27, 0, v29, s17
	v_lshrrev_b32_e32 v29, 23, v30
	s_mov_b32 s17, exec_lo
	v_add_nc_u32_e32 v27, v27, v30
	v_xor_b32_e32 v29, 1, v29
	v_and_b32_e32 v25, 0x1fffff, v27
	v_add_nc_u32_e32 v27, v25, v30
                                        ; implicit-def: $vgpr25
	v_cmpx_ne_u32_e64 v28, v29
	s_xor_b32 s17, exec_lo, s17
; %bb.2356:                             ;   in Loop: Header=BB6_2199 Depth=3
	v_cmp_lt_u32_e32 vcc_lo, 0xffffff, v27
	v_sub_nc_u32_e32 v25, v28, v29
	v_cndmask_b32_e64 v28, 0, 1, vcc_lo
	v_add_co_ci_u32_e64 v25, null, 0, v25, vcc_lo
	v_lshrrev_b32_e32 v27, v28, v27
; %bb.2357:                             ;   in Loop: Header=BB6_2199 Depth=3
	s_andn2_saveexec_b32 s17, s17
; %bb.2358:                             ;   in Loop: Header=BB6_2199 Depth=3
	v_bfe_u32 v25, v27, 23, 1
; %bb.2359:                             ;   in Loop: Header=BB6_2199 Depth=3
	s_or_b32 exec_lo, exec_lo, s17
	v_lshrrev_b32_e32 v27, 21, v27
	v_min_i32_e32 v28, 31, v25
	v_cmp_gt_i32_e32 vcc_lo, 32, v25
	v_and_b32_sdwa v26, v26, v117 dst_sel:DWORD dst_unused:UNUSED_PAD src0_sel:BYTE_3 src1_sel:DWORD
	v_lshlrev_b32_e32 v28, 2, v28
	v_cndmask_b32_e32 v27, 3, v27, vcc_lo
	v_and_b32_e32 v28, 0xfc, v28
	v_and_b32_e32 v29, 3, v27
	v_or_b32_e32 v25, v25, v27
	v_or3_b32 v26, v28, v26, v29
	v_cmp_ne_u32_e32 vcc_lo, 0, v25
	v_cndmask_b32_e32 v25, 0, v26, vcc_lo
.LBB6_2360:                             ;   in Loop: Header=BB6_2199 Depth=3
	s_or_b32 exec_lo, exec_lo, s75
.LBB6_2361:                             ;   in Loop: Header=BB6_2199 Depth=3
	s_or_b32 exec_lo, exec_lo, s74
	v_cmp_gt_i16_sdwa s74, v10, v116 src0_sel:BYTE_3 src1_sel:DWORD
	s_mov_b32 s17, 0
	s_and_saveexec_b32 s75, s74
	s_xor_b32 s74, exec_lo, s75
	s_cbranch_execz .LBB6_2451
; %bb.2362:                             ;   in Loop: Header=BB6_2199 Depth=3
	v_cmp_eq_u16_sdwa s76, v10, v117 src0_sel:BYTE_3 src1_sel:DWORD
	s_mov_b32 s17, -1
	s_and_saveexec_b32 s75, s76
; %bb.2363:                             ;   in Loop: Header=BB6_2199 Depth=3
	s_xor_b32 s17, exec_lo, -1
; %bb.2364:                             ;   in Loop: Header=BB6_2199 Depth=3
	s_or_b32 exec_lo, exec_lo, s75
	s_and_b32 s17, s17, exec_lo
	s_or_saveexec_b32 s74, s74
	v_mov_b32_e32 v26, 0x7f800001
	s_xor_b32 exec_lo, exec_lo, s74
	s_cbranch_execnz .LBB6_2452
.LBB6_2365:                             ;   in Loop: Header=BB6_2199 Depth=3
	s_or_b32 exec_lo, exec_lo, s74
	s_and_saveexec_b32 s74, s17
	s_cbranch_execz .LBB6_2367
.LBB6_2366:                             ;   in Loop: Header=BB6_2199 Depth=3
	v_bfe_u32 v26, v10, 24, 2
	v_bfe_u32 v29, v10, 26, 5
	v_ffbh_u32_e32 v27, v26
	v_cmp_eq_u32_e32 vcc_lo, 0, v29
	v_min_u32_e32 v27, 32, v27
	v_subrev_nc_u32_e32 v28, 29, v27
	v_sub_nc_u32_e32 v27, 30, v27
	v_lshlrev_b32_sdwa v28, v28, v10 dst_sel:DWORD dst_unused:UNUSED_PAD src0_sel:DWORD src1_sel:BYTE_3
	v_cndmask_b32_e32 v27, v29, v27, vcc_lo
	v_and_b32_e32 v10, 0x80000000, v10
	v_and_b32_e32 v28, 3, v28
	v_lshl_add_u32 v27, v27, 23, 0x37800000
	v_cndmask_b32_e32 v26, v26, v28, vcc_lo
	v_lshlrev_b32_e32 v26, 21, v26
	v_or3_b32 v26, v10, v27, v26
.LBB6_2367:                             ;   in Loop: Header=BB6_2199 Depth=3
	s_or_b32 exec_lo, exec_lo, s74
	v_mul_f32_e32 v26, s73, v26
	v_and_b32_e32 v10, 0x7f800000, v26
	v_cmp_ne_u32_e32 vcc_lo, 0x7f800000, v10
	v_mov_b32_e32 v10, 0x8000
	s_and_saveexec_b32 s74, vcc_lo
	s_cbranch_execz .LBB6_2375
; %bb.2368:                             ;   in Loop: Header=BB6_2199 Depth=3
	v_mov_b32_e32 v10, 0
	s_mov_b32 s75, exec_lo
	v_cmpx_ne_u32_e32 0, v26
	s_cbranch_execz .LBB6_2374
; %bb.2369:                             ;   in Loop: Header=BB6_2199 Depth=3
	v_bfe_u32 v10, v26, 23, 8
	v_and_b32_e32 v27, 0x7fffff, v26
	v_sub_nc_u32_e32 v28, 0x70, v10
	v_cmp_gt_u32_e32 vcc_lo, 0x71, v10
	v_or_b32_e32 v29, 0x800000, v27
	v_cndmask_b32_e32 v28, 0, v28, vcc_lo
	v_cmp_eq_u32_e32 vcc_lo, 0, v10
	v_add_nc_u32_e32 v10, 0xffffff91, v10
	v_cndmask_b32_e64 v28, v28, 0x6f, vcc_lo
	v_cndmask_b32_e32 v27, v29, v27, vcc_lo
	v_cndmask_b32_e64 v10, v10, 0xffffff92, vcc_lo
	v_lshl_add_u32 v29, 0x200000, v28, -1
	v_lshrrev_b32_e32 v30, v28, v27
	v_lshlrev_b32_e64 v36, v28, 0x100000
	v_add_nc_u32_e32 v28, v28, v10
	v_and_b32_e32 v27, v29, v27
	v_bfe_u32 v31, v30, 21, 1
	v_cmp_eq_u32_e64 s17, v27, v36
	v_add_nc_u32_e32 v29, -1, v31
	v_cndmask_b32_e64 v27, 0, v29, s17
	v_lshrrev_b32_e32 v29, 23, v30
	s_mov_b32 s17, exec_lo
	v_add_nc_u32_e32 v27, v27, v30
	v_xor_b32_e32 v29, 1, v29
	v_and_b32_e32 v10, 0x1fffff, v27
	v_add_nc_u32_e32 v27, v10, v30
                                        ; implicit-def: $vgpr10
	v_cmpx_ne_u32_e64 v28, v29
	s_xor_b32 s17, exec_lo, s17
; %bb.2370:                             ;   in Loop: Header=BB6_2199 Depth=3
	v_cmp_lt_u32_e32 vcc_lo, 0xffffff, v27
	v_sub_nc_u32_e32 v10, v28, v29
	v_cndmask_b32_e64 v28, 0, 1, vcc_lo
	v_add_co_ci_u32_e64 v10, null, 0, v10, vcc_lo
	v_lshrrev_b32_e32 v27, v28, v27
; %bb.2371:                             ;   in Loop: Header=BB6_2199 Depth=3
	s_andn2_saveexec_b32 s17, s17
; %bb.2372:                             ;   in Loop: Header=BB6_2199 Depth=3
	v_bfe_u32 v10, v27, 23, 1
; %bb.2373:                             ;   in Loop: Header=BB6_2199 Depth=3
	s_or_b32 exec_lo, exec_lo, s17
	v_lshrrev_b32_e32 v27, 21, v27
	v_min_i32_e32 v28, 31, v10
	v_cmp_gt_i32_e32 vcc_lo, 32, v10
	v_and_b32_sdwa v26, v26, v117 dst_sel:DWORD dst_unused:UNUSED_PAD src0_sel:BYTE_3 src1_sel:DWORD
	v_lshlrev_b32_e32 v28, 2, v28
	v_cndmask_b32_e32 v27, 3, v27, vcc_lo
	v_and_b32_e32 v28, 0xfc, v28
	v_and_b32_e32 v29, 3, v27
	v_or_b32_e32 v10, v10, v27
	v_or3_b32 v26, v26, v28, v29
	v_cmp_ne_u32_e32 vcc_lo, 0, v10
	v_lshlrev_b32_e32 v26, 8, v26
	v_cndmask_b32_e32 v10, 0, v26, vcc_lo
.LBB6_2374:                             ;   in Loop: Header=BB6_2199 Depth=3
	s_or_b32 exec_lo, exec_lo, s75
.LBB6_2375:                             ;   in Loop: Header=BB6_2199 Depth=3
	s_or_b32 exec_lo, exec_lo, s74
	v_cmp_gt_i16_sdwa s74, v11, v116 src0_sel:BYTE_0 src1_sel:DWORD
	s_mov_b32 s17, 0
	s_and_saveexec_b32 s75, s74
	s_xor_b32 s74, exec_lo, s75
	s_cbranch_execz .LBB6_2453
; %bb.2376:                             ;   in Loop: Header=BB6_2199 Depth=3
	v_cmp_eq_u16_sdwa s76, v11, v117 src0_sel:BYTE_0 src1_sel:DWORD
	s_mov_b32 s17, -1
	s_and_saveexec_b32 s75, s76
; %bb.2377:                             ;   in Loop: Header=BB6_2199 Depth=3
	s_xor_b32 s17, exec_lo, -1
; %bb.2378:                             ;   in Loop: Header=BB6_2199 Depth=3
	s_or_b32 exec_lo, exec_lo, s75
	s_and_b32 s17, s17, exec_lo
	s_or_saveexec_b32 s74, s74
	v_mov_b32_e32 v26, 0x7f800001
	s_xor_b32 exec_lo, exec_lo, s74
	s_cbranch_execnz .LBB6_2454
.LBB6_2379:                             ;   in Loop: Header=BB6_2199 Depth=3
	s_or_b32 exec_lo, exec_lo, s74
	s_and_saveexec_b32 s74, s17
	s_cbranch_execz .LBB6_2381
.LBB6_2380:                             ;   in Loop: Header=BB6_2199 Depth=3
	v_and_b32_e32 v26, 3, v11
	v_bfe_u32 v29, v11, 2, 5
	v_lshlrev_b32_e32 v30, 24, v11
	v_ffbh_u32_e32 v27, v26
	v_cmp_eq_u32_e32 vcc_lo, 0, v29
	v_min_u32_e32 v27, 32, v27
	v_subrev_nc_u32_e32 v28, 29, v27
	v_sub_nc_u32_e32 v27, 30, v27
	v_lshlrev_b32_e32 v28, v28, v11
	v_cndmask_b32_e32 v27, v29, v27, vcc_lo
	v_and_b32_e32 v28, 3, v28
	v_lshl_add_u32 v27, v27, 23, 0x37800000
	v_cndmask_b32_e32 v26, v26, v28, vcc_lo
	v_and_b32_e32 v28, 0x80000000, v30
	v_lshlrev_b32_e32 v26, 21, v26
	v_or3_b32 v26, v28, v27, v26
.LBB6_2381:                             ;   in Loop: Header=BB6_2199 Depth=3
	s_or_b32 exec_lo, exec_lo, s74
	v_mul_f32_e32 v27, s73, v26
	v_and_b32_e32 v26, 0x7f800000, v27
	v_cmp_ne_u32_e32 vcc_lo, 0x7f800000, v26
	v_mov_b32_e32 v26, 0x80
	s_and_saveexec_b32 s74, vcc_lo
	s_cbranch_execz .LBB6_2389
; %bb.2382:                             ;   in Loop: Header=BB6_2199 Depth=3
	v_mov_b32_e32 v26, 0
	s_mov_b32 s75, exec_lo
	v_cmpx_ne_u32_e32 0, v27
	s_cbranch_execz .LBB6_2388
; %bb.2383:                             ;   in Loop: Header=BB6_2199 Depth=3
	v_bfe_u32 v26, v27, 23, 8
	v_and_b32_e32 v28, 0x7fffff, v27
	v_sub_nc_u32_e32 v29, 0x70, v26
	v_cmp_gt_u32_e32 vcc_lo, 0x71, v26
	v_or_b32_e32 v30, 0x800000, v28
	v_cndmask_b32_e32 v29, 0, v29, vcc_lo
	v_cmp_eq_u32_e32 vcc_lo, 0, v26
	v_add_nc_u32_e32 v26, 0xffffff91, v26
	v_cndmask_b32_e64 v29, v29, 0x6f, vcc_lo
	v_cndmask_b32_e32 v28, v30, v28, vcc_lo
	v_cndmask_b32_e64 v26, v26, 0xffffff92, vcc_lo
	v_lshl_add_u32 v30, 0x200000, v29, -1
	v_lshrrev_b32_e32 v31, v29, v28
	v_lshlrev_b32_e64 v37, v29, 0x100000
	v_add_nc_u32_e32 v29, v29, v26
	v_and_b32_e32 v28, v30, v28
	v_bfe_u32 v36, v31, 21, 1
	v_cmp_eq_u32_e64 s17, v28, v37
	v_add_nc_u32_e32 v30, -1, v36
	v_cndmask_b32_e64 v28, 0, v30, s17
	v_lshrrev_b32_e32 v30, 23, v31
	s_mov_b32 s17, exec_lo
	v_add_nc_u32_e32 v28, v28, v31
	v_xor_b32_e32 v30, 1, v30
	v_and_b32_e32 v26, 0x1fffff, v28
	v_add_nc_u32_e32 v28, v26, v31
                                        ; implicit-def: $vgpr26
	v_cmpx_ne_u32_e64 v29, v30
	s_xor_b32 s17, exec_lo, s17
; %bb.2384:                             ;   in Loop: Header=BB6_2199 Depth=3
	v_cmp_lt_u32_e32 vcc_lo, 0xffffff, v28
	v_sub_nc_u32_e32 v26, v29, v30
	v_cndmask_b32_e64 v29, 0, 1, vcc_lo
	v_add_co_ci_u32_e64 v26, null, 0, v26, vcc_lo
	v_lshrrev_b32_e32 v28, v29, v28
; %bb.2385:                             ;   in Loop: Header=BB6_2199 Depth=3
	s_andn2_saveexec_b32 s17, s17
; %bb.2386:                             ;   in Loop: Header=BB6_2199 Depth=3
	v_bfe_u32 v26, v28, 23, 1
; %bb.2387:                             ;   in Loop: Header=BB6_2199 Depth=3
	s_or_b32 exec_lo, exec_lo, s17
	v_lshrrev_b32_e32 v28, 21, v28
	v_min_i32_e32 v29, 31, v26
	v_cmp_gt_i32_e32 vcc_lo, 32, v26
	v_and_b32_sdwa v27, v27, v117 dst_sel:DWORD dst_unused:UNUSED_PAD src0_sel:BYTE_3 src1_sel:DWORD
	v_lshlrev_b32_e32 v29, 2, v29
	v_cndmask_b32_e32 v28, 3, v28, vcc_lo
	v_and_b32_e32 v29, 0xfc, v29
	v_and_b32_e32 v30, 3, v28
	v_or_b32_e32 v26, v26, v28
	v_or3_b32 v27, v29, v27, v30
	v_cmp_ne_u32_e32 vcc_lo, 0, v26
	v_cndmask_b32_e32 v26, 0, v27, vcc_lo
.LBB6_2388:                             ;   in Loop: Header=BB6_2199 Depth=3
	s_or_b32 exec_lo, exec_lo, s75
.LBB6_2389:                             ;   in Loop: Header=BB6_2199 Depth=3
	s_or_b32 exec_lo, exec_lo, s74
	v_cmp_gt_i16_sdwa s74, v11, v116 src0_sel:BYTE_1 src1_sel:DWORD
	s_mov_b32 s17, 0
	s_and_saveexec_b32 s75, s74
	s_xor_b32 s74, exec_lo, s75
	s_cbranch_execz .LBB6_2455
; %bb.2390:                             ;   in Loop: Header=BB6_2199 Depth=3
	v_cmp_eq_u16_sdwa s76, v11, v117 src0_sel:BYTE_1 src1_sel:DWORD
	s_mov_b32 s17, -1
	s_and_saveexec_b32 s75, s76
; %bb.2391:                             ;   in Loop: Header=BB6_2199 Depth=3
	s_xor_b32 s17, exec_lo, -1
; %bb.2392:                             ;   in Loop: Header=BB6_2199 Depth=3
	s_or_b32 exec_lo, exec_lo, s75
	s_and_b32 s17, s17, exec_lo
	s_or_saveexec_b32 s74, s74
	v_mov_b32_e32 v27, 0x7f800001
	s_xor_b32 exec_lo, exec_lo, s74
	s_cbranch_execnz .LBB6_2456
.LBB6_2393:                             ;   in Loop: Header=BB6_2199 Depth=3
	s_or_b32 exec_lo, exec_lo, s74
	s_and_saveexec_b32 s74, s17
	s_cbranch_execz .LBB6_2395
.LBB6_2394:                             ;   in Loop: Header=BB6_2199 Depth=3
	v_and_b32_sdwa v27, v118, v11 dst_sel:DWORD dst_unused:UNUSED_PAD src0_sel:DWORD src1_sel:BYTE_1
	v_and_b32_e32 v28, 3, v27
	v_bfe_u32 v31, v27, 2, 5
	v_ffbh_u32_e32 v29, v28
	v_cmp_eq_u32_e32 vcc_lo, 0, v31
	v_min_u32_e32 v29, 32, v29
	v_subrev_nc_u32_e32 v30, 29, v29
	v_sub_nc_u32_e32 v29, 30, v29
	v_lshlrev_b32_e32 v27, v30, v27
	v_lshlrev_b32_sdwa v30, v119, v11 dst_sel:DWORD dst_unused:UNUSED_PAD src0_sel:DWORD src1_sel:BYTE_1
	v_cndmask_b32_e32 v29, v31, v29, vcc_lo
	v_and_b32_e32 v27, 3, v27
	v_lshl_add_u32 v29, v29, 23, 0x37800000
	v_cndmask_b32_e32 v27, v28, v27, vcc_lo
	v_and_b32_e32 v28, 0x80000000, v30
	v_lshlrev_b32_e32 v27, 21, v27
	v_or3_b32 v27, v28, v29, v27
.LBB6_2395:                             ;   in Loop: Header=BB6_2199 Depth=3
	s_or_b32 exec_lo, exec_lo, s74
	v_mul_f32_e32 v28, s73, v27
	v_and_b32_e32 v27, 0x7f800000, v28
	v_cmp_ne_u32_e32 vcc_lo, 0x7f800000, v27
	v_mov_b32_e32 v27, 0x8000
	s_and_saveexec_b32 s74, vcc_lo
	s_cbranch_execz .LBB6_2403
; %bb.2396:                             ;   in Loop: Header=BB6_2199 Depth=3
	v_mov_b32_e32 v27, 0
	s_mov_b32 s75, exec_lo
	v_cmpx_ne_u32_e32 0, v28
	s_cbranch_execz .LBB6_2402
; %bb.2397:                             ;   in Loop: Header=BB6_2199 Depth=3
	v_bfe_u32 v27, v28, 23, 8
	v_and_b32_e32 v29, 0x7fffff, v28
	v_sub_nc_u32_e32 v30, 0x70, v27
	v_cmp_gt_u32_e32 vcc_lo, 0x71, v27
	v_or_b32_e32 v31, 0x800000, v29
	v_cndmask_b32_e32 v30, 0, v30, vcc_lo
	v_cmp_eq_u32_e32 vcc_lo, 0, v27
	v_add_nc_u32_e32 v27, 0xffffff91, v27
	v_cndmask_b32_e64 v30, v30, 0x6f, vcc_lo
	v_cndmask_b32_e32 v29, v31, v29, vcc_lo
	v_cndmask_b32_e64 v27, v27, 0xffffff92, vcc_lo
	v_lshl_add_u32 v31, 0x200000, v30, -1
	v_lshrrev_b32_e32 v36, v30, v29
	v_lshlrev_b32_e64 v50, v30, 0x100000
	v_add_nc_u32_e32 v30, v30, v27
	v_and_b32_e32 v29, v31, v29
	v_bfe_u32 v37, v36, 21, 1
	v_cmp_eq_u32_e64 s17, v29, v50
	v_add_nc_u32_e32 v31, -1, v37
	v_cndmask_b32_e64 v29, 0, v31, s17
	v_lshrrev_b32_e32 v31, 23, v36
	s_mov_b32 s17, exec_lo
	v_add_nc_u32_e32 v29, v29, v36
	v_xor_b32_e32 v31, 1, v31
	v_and_b32_e32 v27, 0x1fffff, v29
	v_add_nc_u32_e32 v29, v27, v36
                                        ; implicit-def: $vgpr27
	v_cmpx_ne_u32_e64 v30, v31
	s_xor_b32 s17, exec_lo, s17
; %bb.2398:                             ;   in Loop: Header=BB6_2199 Depth=3
	v_cmp_lt_u32_e32 vcc_lo, 0xffffff, v29
	v_sub_nc_u32_e32 v27, v30, v31
	v_cndmask_b32_e64 v30, 0, 1, vcc_lo
	v_add_co_ci_u32_e64 v27, null, 0, v27, vcc_lo
	v_lshrrev_b32_e32 v29, v30, v29
; %bb.2399:                             ;   in Loop: Header=BB6_2199 Depth=3
	s_andn2_saveexec_b32 s17, s17
; %bb.2400:                             ;   in Loop: Header=BB6_2199 Depth=3
	v_bfe_u32 v27, v29, 23, 1
; %bb.2401:                             ;   in Loop: Header=BB6_2199 Depth=3
	s_or_b32 exec_lo, exec_lo, s17
	v_lshrrev_b32_e32 v29, 21, v29
	v_min_i32_e32 v30, 31, v27
	v_cmp_gt_i32_e32 vcc_lo, 32, v27
	v_and_b32_sdwa v28, v28, v117 dst_sel:DWORD dst_unused:UNUSED_PAD src0_sel:BYTE_3 src1_sel:DWORD
	v_lshlrev_b32_e32 v30, 2, v30
	v_cndmask_b32_e32 v29, 3, v29, vcc_lo
	v_and_b32_e32 v30, 0xfc, v30
	v_and_b32_e32 v31, 3, v29
	v_or_b32_e32 v27, v27, v29
	v_or3_b32 v28, v28, v30, v31
	v_cmp_ne_u32_e32 vcc_lo, 0, v27
	v_lshlrev_b32_e32 v28, 8, v28
	v_cndmask_b32_e32 v27, 0, v28, vcc_lo
.LBB6_2402:                             ;   in Loop: Header=BB6_2199 Depth=3
	s_or_b32 exec_lo, exec_lo, s75
.LBB6_2403:                             ;   in Loop: Header=BB6_2199 Depth=3
	s_or_b32 exec_lo, exec_lo, s74
	v_and_b32_sdwa v29, v11, v40 dst_sel:DWORD dst_unused:UNUSED_PAD src0_sel:WORD_1 src1_sel:DWORD
	s_mov_b32 s17, 0
	s_mov_b32 s74, exec_lo
	v_cmpx_lt_i16_e32 0x7f, v29
	s_xor_b32 s74, exec_lo, s74
	s_cbranch_execz .LBB6_2457
; %bb.2404:                             ;   in Loop: Header=BB6_2199 Depth=3
	s_mov_b32 s17, -1
	s_mov_b32 s75, exec_lo
	v_cmpx_eq_u16_e32 0x80, v29
; %bb.2405:                             ;   in Loop: Header=BB6_2199 Depth=3
	s_xor_b32 s17, exec_lo, -1
; %bb.2406:                             ;   in Loop: Header=BB6_2199 Depth=3
	s_or_b32 exec_lo, exec_lo, s75
	s_and_b32 s17, s17, exec_lo
                                        ; implicit-def: $vgpr29
	s_or_saveexec_b32 s74, s74
	v_mov_b32_e32 v28, 0x7f800001
	s_xor_b32 exec_lo, exec_lo, s74
	s_cbranch_execnz .LBB6_2458
.LBB6_2407:                             ;   in Loop: Header=BB6_2199 Depth=3
	s_or_b32 exec_lo, exec_lo, s74
	s_and_saveexec_b32 s74, s17
	s_cbranch_execz .LBB6_2409
.LBB6_2408:                             ;   in Loop: Header=BB6_2199 Depth=3
	v_bfe_u32 v28, v11, 16, 2
	v_bfe_u32 v31, v11, 18, 5
	v_lshlrev_b32_e32 v36, 8, v11
	v_ffbh_u32_e32 v29, v28
	v_cmp_eq_u32_e32 vcc_lo, 0, v31
	v_min_u32_e32 v29, 32, v29
	v_subrev_nc_u32_e32 v30, 29, v29
	v_sub_nc_u32_e32 v29, 30, v29
	v_lshlrev_b32_sdwa v30, v30, v11 dst_sel:DWORD dst_unused:UNUSED_PAD src0_sel:DWORD src1_sel:WORD_1
	v_cndmask_b32_e32 v29, v31, v29, vcc_lo
	v_and_b32_e32 v30, 3, v30
	v_lshl_add_u32 v29, v29, 23, 0x37800000
	v_cndmask_b32_e32 v28, v28, v30, vcc_lo
	v_and_b32_e32 v30, 0x80000000, v36
	v_lshlrev_b32_e32 v28, 21, v28
	v_or3_b32 v28, v30, v29, v28
.LBB6_2409:                             ;   in Loop: Header=BB6_2199 Depth=3
	s_or_b32 exec_lo, exec_lo, s74
	v_mul_f32_e32 v29, s73, v28
	v_and_b32_e32 v28, 0x7f800000, v29
	v_cmp_ne_u32_e32 vcc_lo, 0x7f800000, v28
	v_mov_b32_e32 v28, 0x80
	s_and_saveexec_b32 s74, vcc_lo
	s_cbranch_execz .LBB6_2417
; %bb.2410:                             ;   in Loop: Header=BB6_2199 Depth=3
	v_mov_b32_e32 v28, 0
	s_mov_b32 s75, exec_lo
	v_cmpx_ne_u32_e32 0, v29
	s_cbranch_execz .LBB6_2416
; %bb.2411:                             ;   in Loop: Header=BB6_2199 Depth=3
	v_bfe_u32 v28, v29, 23, 8
	v_and_b32_e32 v30, 0x7fffff, v29
	v_sub_nc_u32_e32 v31, 0x70, v28
	v_cmp_gt_u32_e32 vcc_lo, 0x71, v28
	v_or_b32_e32 v36, 0x800000, v30
	v_cndmask_b32_e32 v31, 0, v31, vcc_lo
	v_cmp_eq_u32_e32 vcc_lo, 0, v28
	v_add_nc_u32_e32 v28, 0xffffff91, v28
	v_cndmask_b32_e64 v31, v31, 0x6f, vcc_lo
	v_cndmask_b32_e32 v30, v36, v30, vcc_lo
	v_cndmask_b32_e64 v28, v28, 0xffffff92, vcc_lo
	v_lshl_add_u32 v36, 0x200000, v31, -1
	v_lshrrev_b32_e32 v37, v31, v30
	v_lshlrev_b32_e64 v51, v31, 0x100000
	v_add_nc_u32_e32 v31, v31, v28
	v_and_b32_e32 v30, v36, v30
	v_bfe_u32 v50, v37, 21, 1
	v_cmp_eq_u32_e64 s17, v30, v51
	v_add_nc_u32_e32 v36, -1, v50
	v_cndmask_b32_e64 v30, 0, v36, s17
	v_lshrrev_b32_e32 v36, 23, v37
	s_mov_b32 s17, exec_lo
	v_add_nc_u32_e32 v30, v30, v37
	v_xor_b32_e32 v36, 1, v36
	v_and_b32_e32 v28, 0x1fffff, v30
	v_add_nc_u32_e32 v30, v28, v37
                                        ; implicit-def: $vgpr28
	v_cmpx_ne_u32_e64 v31, v36
	s_xor_b32 s17, exec_lo, s17
; %bb.2412:                             ;   in Loop: Header=BB6_2199 Depth=3
	v_cmp_lt_u32_e32 vcc_lo, 0xffffff, v30
	v_sub_nc_u32_e32 v28, v31, v36
	v_cndmask_b32_e64 v31, 0, 1, vcc_lo
	v_add_co_ci_u32_e64 v28, null, 0, v28, vcc_lo
	v_lshrrev_b32_e32 v30, v31, v30
; %bb.2413:                             ;   in Loop: Header=BB6_2199 Depth=3
	s_andn2_saveexec_b32 s17, s17
; %bb.2414:                             ;   in Loop: Header=BB6_2199 Depth=3
	v_bfe_u32 v28, v30, 23, 1
; %bb.2415:                             ;   in Loop: Header=BB6_2199 Depth=3
	s_or_b32 exec_lo, exec_lo, s17
	v_lshrrev_b32_e32 v30, 21, v30
	v_min_i32_e32 v31, 31, v28
	v_cmp_gt_i32_e32 vcc_lo, 32, v28
	v_and_b32_sdwa v29, v29, v117 dst_sel:DWORD dst_unused:UNUSED_PAD src0_sel:BYTE_3 src1_sel:DWORD
	v_lshlrev_b32_e32 v31, 2, v31
	v_cndmask_b32_e32 v30, 3, v30, vcc_lo
	v_and_b32_e32 v31, 0xfc, v31
	v_and_b32_e32 v36, 3, v30
	v_or_b32_e32 v28, v28, v30
	v_or3_b32 v29, v31, v29, v36
	v_cmp_ne_u32_e32 vcc_lo, 0, v28
	v_cndmask_b32_e32 v28, 0, v29, vcc_lo
.LBB6_2416:                             ;   in Loop: Header=BB6_2199 Depth=3
	s_or_b32 exec_lo, exec_lo, s75
.LBB6_2417:                             ;   in Loop: Header=BB6_2199 Depth=3
	s_or_b32 exec_lo, exec_lo, s74
	v_cmp_gt_i16_sdwa s74, v11, v116 src0_sel:BYTE_3 src1_sel:DWORD
	s_mov_b32 s17, 0
	s_and_saveexec_b32 s75, s74
	s_xor_b32 s74, exec_lo, s75
	s_cbranch_execz .LBB6_2459
; %bb.2418:                             ;   in Loop: Header=BB6_2199 Depth=3
	v_cmp_eq_u16_sdwa s76, v11, v117 src0_sel:BYTE_3 src1_sel:DWORD
	s_mov_b32 s17, -1
	s_and_saveexec_b32 s75, s76
; %bb.2419:                             ;   in Loop: Header=BB6_2199 Depth=3
	s_xor_b32 s17, exec_lo, -1
; %bb.2420:                             ;   in Loop: Header=BB6_2199 Depth=3
	s_or_b32 exec_lo, exec_lo, s75
	s_and_b32 s17, s17, exec_lo
	s_or_saveexec_b32 s74, s74
	v_mov_b32_e32 v29, 0x7f800001
	s_xor_b32 exec_lo, exec_lo, s74
	s_cbranch_execnz .LBB6_2460
.LBB6_2421:                             ;   in Loop: Header=BB6_2199 Depth=3
	s_or_b32 exec_lo, exec_lo, s74
	s_and_saveexec_b32 s74, s17
	s_cbranch_execz .LBB6_2423
.LBB6_2422:                             ;   in Loop: Header=BB6_2199 Depth=3
	v_bfe_u32 v29, v11, 24, 2
	v_bfe_u32 v36, v11, 26, 5
	v_ffbh_u32_e32 v30, v29
	v_cmp_eq_u32_e32 vcc_lo, 0, v36
	v_min_u32_e32 v30, 32, v30
	v_subrev_nc_u32_e32 v31, 29, v30
	v_sub_nc_u32_e32 v30, 30, v30
	v_lshlrev_b32_sdwa v31, v31, v11 dst_sel:DWORD dst_unused:UNUSED_PAD src0_sel:DWORD src1_sel:BYTE_3
	v_cndmask_b32_e32 v30, v36, v30, vcc_lo
	v_and_b32_e32 v11, 0x80000000, v11
	v_and_b32_e32 v31, 3, v31
	v_lshl_add_u32 v30, v30, 23, 0x37800000
	v_cndmask_b32_e32 v29, v29, v31, vcc_lo
	v_lshlrev_b32_e32 v29, 21, v29
	v_or3_b32 v29, v11, v30, v29
.LBB6_2423:                             ;   in Loop: Header=BB6_2199 Depth=3
	s_or_b32 exec_lo, exec_lo, s74
	v_mul_f32_e32 v11, s73, v29
	v_and_b32_e32 v29, 0x7f800000, v11
	v_cmp_ne_u32_e32 vcc_lo, 0x7f800000, v29
	v_mov_b32_e32 v29, 0x8000
	s_and_saveexec_b32 s73, vcc_lo
	s_cbranch_execz .LBB6_2198
; %bb.2424:                             ;   in Loop: Header=BB6_2199 Depth=3
	v_mov_b32_e32 v29, 0
	s_mov_b32 s74, exec_lo
	v_cmpx_ne_u32_e32 0, v11
	s_cbranch_execz .LBB6_2197
; %bb.2425:                             ;   in Loop: Header=BB6_2199 Depth=3
	v_bfe_u32 v29, v11, 23, 8
	v_and_b32_e32 v30, 0x7fffff, v11
	v_sub_nc_u32_e32 v31, 0x70, v29
	v_cmp_gt_u32_e32 vcc_lo, 0x71, v29
	v_or_b32_e32 v36, 0x800000, v30
	v_cndmask_b32_e32 v31, 0, v31, vcc_lo
	v_cmp_eq_u32_e32 vcc_lo, 0, v29
	v_add_nc_u32_e32 v29, 0xffffff91, v29
	v_cndmask_b32_e64 v31, v31, 0x6f, vcc_lo
	v_cndmask_b32_e32 v30, v36, v30, vcc_lo
	v_cndmask_b32_e64 v29, v29, 0xffffff92, vcc_lo
	v_lshl_add_u32 v36, 0x200000, v31, -1
	v_lshrrev_b32_e32 v37, v31, v30
	v_lshlrev_b32_e64 v51, v31, 0x100000
	v_add_nc_u32_e32 v31, v31, v29
	v_and_b32_e32 v30, v36, v30
	v_bfe_u32 v50, v37, 21, 1
	v_cmp_eq_u32_e64 s17, v30, v51
	v_add_nc_u32_e32 v36, -1, v50
	v_cndmask_b32_e64 v30, 0, v36, s17
	v_lshrrev_b32_e32 v36, 23, v37
	s_mov_b32 s17, exec_lo
	v_add_nc_u32_e32 v30, v30, v37
	v_xor_b32_e32 v36, 1, v36
	v_and_b32_e32 v29, 0x1fffff, v30
	v_add_nc_u32_e32 v30, v29, v37
                                        ; implicit-def: $vgpr29
	v_cmpx_ne_u32_e64 v31, v36
	s_xor_b32 s17, exec_lo, s17
; %bb.2426:                             ;   in Loop: Header=BB6_2199 Depth=3
	v_cmp_lt_u32_e32 vcc_lo, 0xffffff, v30
	v_sub_nc_u32_e32 v29, v31, v36
	v_cndmask_b32_e64 v31, 0, 1, vcc_lo
	v_add_co_ci_u32_e64 v29, null, 0, v29, vcc_lo
	v_lshrrev_b32_e32 v30, v31, v30
; %bb.2427:                             ;   in Loop: Header=BB6_2199 Depth=3
	s_andn2_saveexec_b32 s17, s17
	s_cbranch_execz .LBB6_2196
; %bb.2428:                             ;   in Loop: Header=BB6_2199 Depth=3
	v_bfe_u32 v29, v30, 23, 1
	s_branch .LBB6_2196
.LBB6_2429:                             ;   in Loop: Header=BB6_2199 Depth=3
	s_or_saveexec_b32 s74, s74
	v_mov_b32_e32 v13, 0x7f800001
	s_xor_b32 exec_lo, exec_lo, s74
	s_cbranch_execz .LBB6_2211
.LBB6_2430:                             ;   in Loop: Header=BB6_2199 Depth=3
	v_cmp_ne_u16_sdwa s75, v8, v2 src0_sel:BYTE_0 src1_sel:DWORD
	v_mov_b32_e32 v13, 0
	s_andn2_b32 s17, s17, exec_lo
	s_and_b32 s75, s75, exec_lo
	s_or_b32 s17, s17, s75
	s_or_b32 exec_lo, exec_lo, s74
	s_and_saveexec_b32 s74, s17
	s_cbranch_execnz .LBB6_2212
	s_branch .LBB6_2213
.LBB6_2431:                             ;   in Loop: Header=BB6_2199 Depth=3
	s_or_saveexec_b32 s74, s74
	v_mov_b32_e32 v14, 0x7f800001
	s_xor_b32 exec_lo, exec_lo, s74
	s_cbranch_execz .LBB6_2225
.LBB6_2432:                             ;   in Loop: Header=BB6_2199 Depth=3
	v_cmp_ne_u16_sdwa s75, v8, v2 src0_sel:BYTE_1 src1_sel:DWORD
	v_mov_b32_e32 v14, 0
	s_andn2_b32 s17, s17, exec_lo
	s_and_b32 s75, s75, exec_lo
	s_or_b32 s17, s17, s75
	s_or_b32 exec_lo, exec_lo, s74
	s_and_saveexec_b32 s74, s17
	s_cbranch_execnz .LBB6_2226
	s_branch .LBB6_2227
.LBB6_2433:                             ;   in Loop: Header=BB6_2199 Depth=3
	s_or_saveexec_b32 s74, s74
	v_mov_b32_e32 v15, 0x7f800001
	s_xor_b32 exec_lo, exec_lo, s74
	s_cbranch_execz .LBB6_2239
.LBB6_2434:                             ;   in Loop: Header=BB6_2199 Depth=3
	v_cmp_ne_u16_e32 vcc_lo, 0, v20
	v_mov_b32_e32 v15, 0
	s_andn2_b32 s17, s17, exec_lo
	s_and_b32 s75, vcc_lo, exec_lo
	s_or_b32 s17, s17, s75
	s_or_b32 exec_lo, exec_lo, s74
	s_and_saveexec_b32 s74, s17
	s_cbranch_execnz .LBB6_2240
	s_branch .LBB6_2241
.LBB6_2435:                             ;   in Loop: Header=BB6_2199 Depth=3
	s_or_saveexec_b32 s74, s74
	v_mov_b32_e32 v20, 0x7f800001
	s_xor_b32 exec_lo, exec_lo, s74
	s_cbranch_execz .LBB6_2253
.LBB6_2436:                             ;   in Loop: Header=BB6_2199 Depth=3
	v_cmp_ne_u16_sdwa s75, v8, v2 src0_sel:BYTE_3 src1_sel:DWORD
	v_mov_b32_e32 v20, 0
	s_andn2_b32 s17, s17, exec_lo
	s_and_b32 s75, s75, exec_lo
	s_or_b32 s17, s17, s75
	s_or_b32 exec_lo, exec_lo, s74
	s_and_saveexec_b32 s74, s17
	s_cbranch_execnz .LBB6_2254
	s_branch .LBB6_2255
.LBB6_2437:                             ;   in Loop: Header=BB6_2199 Depth=3
	s_or_saveexec_b32 s74, s74
	v_mov_b32_e32 v20, 0x7f800001
	s_xor_b32 exec_lo, exec_lo, s74
	s_cbranch_execz .LBB6_2267
.LBB6_2438:                             ;   in Loop: Header=BB6_2199 Depth=3
	v_cmp_ne_u16_sdwa s75, v9, v2 src0_sel:BYTE_0 src1_sel:DWORD
	v_mov_b32_e32 v20, 0
	s_andn2_b32 s17, s17, exec_lo
	s_and_b32 s75, s75, exec_lo
	s_or_b32 s17, s17, s75
	s_or_b32 exec_lo, exec_lo, s74
	s_and_saveexec_b32 s74, s17
	s_cbranch_execnz .LBB6_2268
	s_branch .LBB6_2269
.LBB6_2439:                             ;   in Loop: Header=BB6_2199 Depth=3
	s_or_saveexec_b32 s74, s74
	v_mov_b32_e32 v21, 0x7f800001
	s_xor_b32 exec_lo, exec_lo, s74
	s_cbranch_execz .LBB6_2281
.LBB6_2440:                             ;   in Loop: Header=BB6_2199 Depth=3
	v_cmp_ne_u16_sdwa s75, v9, v2 src0_sel:BYTE_1 src1_sel:DWORD
	v_mov_b32_e32 v21, 0
	s_andn2_b32 s17, s17, exec_lo
	s_and_b32 s75, s75, exec_lo
	s_or_b32 s17, s17, s75
	s_or_b32 exec_lo, exec_lo, s74
	s_and_saveexec_b32 s74, s17
	s_cbranch_execnz .LBB6_2282
	s_branch .LBB6_2283
.LBB6_2441:                             ;   in Loop: Header=BB6_2199 Depth=3
	s_or_saveexec_b32 s74, s74
	v_mov_b32_e32 v22, 0x7f800001
	s_xor_b32 exec_lo, exec_lo, s74
	s_cbranch_execz .LBB6_2295
.LBB6_2442:                             ;   in Loop: Header=BB6_2199 Depth=3
	v_cmp_ne_u16_e32 vcc_lo, 0, v23
	v_mov_b32_e32 v22, 0
	s_andn2_b32 s17, s17, exec_lo
	s_and_b32 s75, vcc_lo, exec_lo
	s_or_b32 s17, s17, s75
	s_or_b32 exec_lo, exec_lo, s74
	s_and_saveexec_b32 s74, s17
	s_cbranch_execnz .LBB6_2296
	s_branch .LBB6_2297
.LBB6_2443:                             ;   in Loop: Header=BB6_2199 Depth=3
	s_or_saveexec_b32 s74, s74
	v_mov_b32_e32 v23, 0x7f800001
	s_xor_b32 exec_lo, exec_lo, s74
	s_cbranch_execz .LBB6_2309
.LBB6_2444:                             ;   in Loop: Header=BB6_2199 Depth=3
	v_cmp_ne_u16_sdwa s75, v9, v2 src0_sel:BYTE_3 src1_sel:DWORD
	v_mov_b32_e32 v23, 0
	s_andn2_b32 s17, s17, exec_lo
	s_and_b32 s75, s75, exec_lo
	s_or_b32 s17, s17, s75
	s_or_b32 exec_lo, exec_lo, s74
	s_and_saveexec_b32 s74, s17
	s_cbranch_execnz .LBB6_2310
	s_branch .LBB6_2311
.LBB6_2445:                             ;   in Loop: Header=BB6_2199 Depth=3
	s_or_saveexec_b32 s74, s74
	v_mov_b32_e32 v23, 0x7f800001
	s_xor_b32 exec_lo, exec_lo, s74
	s_cbranch_execz .LBB6_2323
.LBB6_2446:                             ;   in Loop: Header=BB6_2199 Depth=3
	v_cmp_ne_u16_sdwa s75, v10, v2 src0_sel:BYTE_0 src1_sel:DWORD
	v_mov_b32_e32 v23, 0
	s_andn2_b32 s17, s17, exec_lo
	s_and_b32 s75, s75, exec_lo
	s_or_b32 s17, s17, s75
	s_or_b32 exec_lo, exec_lo, s74
	s_and_saveexec_b32 s74, s17
	s_cbranch_execnz .LBB6_2324
	s_branch .LBB6_2325
.LBB6_2447:                             ;   in Loop: Header=BB6_2199 Depth=3
	s_or_saveexec_b32 s74, s74
	v_mov_b32_e32 v24, 0x7f800001
	s_xor_b32 exec_lo, exec_lo, s74
	s_cbranch_execz .LBB6_2337
.LBB6_2448:                             ;   in Loop: Header=BB6_2199 Depth=3
	v_cmp_ne_u16_sdwa s75, v10, v2 src0_sel:BYTE_1 src1_sel:DWORD
	v_mov_b32_e32 v24, 0
	s_andn2_b32 s17, s17, exec_lo
	s_and_b32 s75, s75, exec_lo
	s_or_b32 s17, s17, s75
	s_or_b32 exec_lo, exec_lo, s74
	s_and_saveexec_b32 s74, s17
	s_cbranch_execnz .LBB6_2338
	s_branch .LBB6_2339
.LBB6_2449:                             ;   in Loop: Header=BB6_2199 Depth=3
	s_or_saveexec_b32 s74, s74
	v_mov_b32_e32 v25, 0x7f800001
	s_xor_b32 exec_lo, exec_lo, s74
	s_cbranch_execz .LBB6_2351
.LBB6_2450:                             ;   in Loop: Header=BB6_2199 Depth=3
	v_cmp_ne_u16_e32 vcc_lo, 0, v26
	v_mov_b32_e32 v25, 0
	s_andn2_b32 s17, s17, exec_lo
	s_and_b32 s75, vcc_lo, exec_lo
	s_or_b32 s17, s17, s75
	s_or_b32 exec_lo, exec_lo, s74
	s_and_saveexec_b32 s74, s17
	s_cbranch_execnz .LBB6_2352
	s_branch .LBB6_2353
.LBB6_2451:                             ;   in Loop: Header=BB6_2199 Depth=3
	s_or_saveexec_b32 s74, s74
	v_mov_b32_e32 v26, 0x7f800001
	s_xor_b32 exec_lo, exec_lo, s74
	s_cbranch_execz .LBB6_2365
.LBB6_2452:                             ;   in Loop: Header=BB6_2199 Depth=3
	v_cmp_ne_u16_sdwa s75, v10, v2 src0_sel:BYTE_3 src1_sel:DWORD
	v_mov_b32_e32 v26, 0
	s_andn2_b32 s17, s17, exec_lo
	s_and_b32 s75, s75, exec_lo
	s_or_b32 s17, s17, s75
	s_or_b32 exec_lo, exec_lo, s74
	s_and_saveexec_b32 s74, s17
	s_cbranch_execnz .LBB6_2366
	s_branch .LBB6_2367
.LBB6_2453:                             ;   in Loop: Header=BB6_2199 Depth=3
	s_or_saveexec_b32 s74, s74
	v_mov_b32_e32 v26, 0x7f800001
	s_xor_b32 exec_lo, exec_lo, s74
	s_cbranch_execz .LBB6_2379
.LBB6_2454:                             ;   in Loop: Header=BB6_2199 Depth=3
	v_cmp_ne_u16_sdwa s75, v11, v2 src0_sel:BYTE_0 src1_sel:DWORD
	v_mov_b32_e32 v26, 0
	s_andn2_b32 s17, s17, exec_lo
	s_and_b32 s75, s75, exec_lo
	s_or_b32 s17, s17, s75
	s_or_b32 exec_lo, exec_lo, s74
	s_and_saveexec_b32 s74, s17
	s_cbranch_execnz .LBB6_2380
	s_branch .LBB6_2381
.LBB6_2455:                             ;   in Loop: Header=BB6_2199 Depth=3
	s_or_saveexec_b32 s74, s74
	v_mov_b32_e32 v27, 0x7f800001
	s_xor_b32 exec_lo, exec_lo, s74
	s_cbranch_execz .LBB6_2393
.LBB6_2456:                             ;   in Loop: Header=BB6_2199 Depth=3
	v_cmp_ne_u16_sdwa s75, v11, v2 src0_sel:BYTE_1 src1_sel:DWORD
	v_mov_b32_e32 v27, 0
	s_andn2_b32 s17, s17, exec_lo
	s_and_b32 s75, s75, exec_lo
	s_or_b32 s17, s17, s75
	s_or_b32 exec_lo, exec_lo, s74
	s_and_saveexec_b32 s74, s17
	s_cbranch_execnz .LBB6_2394
	s_branch .LBB6_2395
.LBB6_2457:                             ;   in Loop: Header=BB6_2199 Depth=3
	s_or_saveexec_b32 s74, s74
	v_mov_b32_e32 v28, 0x7f800001
	s_xor_b32 exec_lo, exec_lo, s74
	s_cbranch_execz .LBB6_2407
.LBB6_2458:                             ;   in Loop: Header=BB6_2199 Depth=3
	v_cmp_ne_u16_e32 vcc_lo, 0, v29
	v_mov_b32_e32 v28, 0
	s_andn2_b32 s17, s17, exec_lo
	s_and_b32 s75, vcc_lo, exec_lo
	s_or_b32 s17, s17, s75
	s_or_b32 exec_lo, exec_lo, s74
	s_and_saveexec_b32 s74, s17
	s_cbranch_execnz .LBB6_2408
	s_branch .LBB6_2409
.LBB6_2459:                             ;   in Loop: Header=BB6_2199 Depth=3
	s_or_saveexec_b32 s74, s74
	v_mov_b32_e32 v29, 0x7f800001
	s_xor_b32 exec_lo, exec_lo, s74
	s_cbranch_execz .LBB6_2421
.LBB6_2460:                             ;   in Loop: Header=BB6_2199 Depth=3
	v_cmp_ne_u16_sdwa s75, v11, v2 src0_sel:BYTE_3 src1_sel:DWORD
	v_mov_b32_e32 v29, 0
	s_andn2_b32 s17, s17, exec_lo
	s_and_b32 s75, s75, exec_lo
	s_or_b32 s17, s17, s75
	s_or_b32 exec_lo, exec_lo, s74
	s_and_saveexec_b32 s74, s17
	s_cbranch_execnz .LBB6_2422
	s_branch .LBB6_2423
.LBB6_2461:                             ;   in Loop: Header=BB6_57 Depth=2
	s_or_b32 exec_lo, exec_lo, s62
.LBB6_2462:                             ;   in Loop: Header=BB6_57 Depth=2
	s_or_b32 exec_lo, exec_lo, s61
	buffer_load_dword v6, off, s[0:3], s33 offset:452 ; 4-byte Folded Reload
	v_cmp_lt_i32_e32 vcc_lo, 0, v5
	v_cndmask_b32_e32 v8, 0, v103, vcc_lo
	v_sub_nc_u32_e32 v5, v8, v5
	v_lshl_add_u32 v3, v5, 5, v3
	s_waitcnt vmcnt(0)
	v_and_b32_e32 v6, 15, v6
	v_sub_nc_u32_e32 v7, v1, v6
	v_cndmask_b32_e64 v1, v1, v6, s16
	v_cndmask_b32_e64 v6, 0, v7, s16
	v_cmp_ne_u32_e32 vcc_lo, 0, v1
	v_add3_u32 v0, v0, v4, v6
	s_and_b32 s16, vcc_lo, exec_lo
.LBB6_2463:                             ;   in Loop: Header=BB6_57 Depth=2
	s_or_b32 exec_lo, exec_lo, s23
	s_and_saveexec_b32 s17, s16
	s_cbranch_execz .LBB6_3016
.LBB6_2464:                             ;   in Loop: Header=BB6_57 Depth=2
	s_waitcnt vmcnt(0)
	v_ashrrev_i32_e32 v4, 31, v3
	v_ashrrev_i32_e32 v5, 31, v1
	s_mov_b32 s23, exec_lo
	v_lshrrev_b32_e32 v4, 27, v4
	v_lshrrev_b32_e32 v5, 22, v5
	v_add_nc_u32_e32 v7, v3, v4
	v_add_nc_u32_e32 v5, v1, v5
	v_ashrrev_i32_e32 v4, 5, v7
	v_ashrrev_i32_e32 v6, 10, v5
	v_sub_nc_u32_e32 v5, v6, v4
	v_cmpx_lt_i32_e32 0, v5
	s_cbranch_execz .LBB6_2988
; %bb.2465:                             ;   in Loop: Header=BB6_57 Depth=2
	v_and_b32_e32 v7, 0xffffffe0, v7
	v_lshlrev_b32_e32 v8, 10, v4
	s_mov_b32 s61, 0
	v_sub_nc_u32_e32 v7, v3, v7
	v_add3_u32 v7, v0, v7, v8
	v_ashrrev_i32_e32 v10, 31, v7
	s_branch .LBB6_2469
.LBB6_2466:                             ;   in Loop: Header=BB6_2469 Depth=3
	s_or_b32 exec_lo, exec_lo, s16
	v_lshrrev_b32_e32 v11, 21, v11
	v_cmp_gt_i32_e32 vcc_lo, 32, v9
	v_min_i32_e32 v82, 31, v9
	v_and_b32_sdwa v8, v8, v117 dst_sel:DWORD dst_unused:UNUSED_PAD src0_sel:BYTE_3 src1_sel:DWORD
	v_cndmask_b32_e32 v11, 3, v11, vcc_lo
	v_lshlrev_b32_e32 v82, 2, v82
	v_and_b32_e32 v83, 3, v11
	v_or_b32_e32 v9, v9, v11
	v_or3_b32 v8, v82, v8, v83
	v_cmp_ne_u32_e32 vcc_lo, 0, v9
	v_cndmask_b32_e32 v9, 0, v8, vcc_lo
.LBB6_2467:                             ;   in Loop: Header=BB6_2469 Depth=3
	s_or_b32 exec_lo, exec_lo, s63
.LBB6_2468:                             ;   in Loop: Header=BB6_2469 Depth=3
	s_or_b32 exec_lo, exec_lo, s62
	v_sub_nc_u32_e32 v5, v5, v103
	v_add_co_u32 v82, vcc_lo, v7, v18
	v_add_co_ci_u32_e64 v83, null, v10, v19, vcc_lo
	v_add_co_u32 v16, vcc_lo, v16, v46
	v_add_co_ci_u32_e64 v17, null, 0, v17, vcc_lo
	v_cmp_gt_i32_e32 vcc_lo, 1, v5
	v_add_co_u32 v18, s16, v18, v46
	v_add_co_ci_u32_e64 v19, null, 0, v19, s16
	s_or_b32 s61, vcc_lo, s61
	flat_store_byte v[82:83], v12 glc slc
	flat_store_byte v[82:83], v13 offset:32 glc slc
	flat_store_byte v[82:83], v14 offset:64 glc slc
	flat_store_byte v[82:83], v15 offset:96 glc slc
	flat_store_byte v[82:83], v20 offset:128 glc slc
	flat_store_byte v[82:83], v21 offset:160 glc slc
	flat_store_byte v[82:83], v22 offset:192 glc slc
	flat_store_byte v[82:83], v23 offset:224 glc slc
	flat_store_byte v[82:83], v24 offset:256 glc slc
	flat_store_byte v[82:83], v25 offset:288 glc slc
	flat_store_byte v[82:83], v26 offset:320 glc slc
	flat_store_byte v[82:83], v27 offset:352 glc slc
	flat_store_byte v[82:83], v28 offset:384 glc slc
	flat_store_byte v[82:83], v29 offset:416 glc slc
	flat_store_byte v[82:83], v30 offset:448 glc slc
	flat_store_byte v[82:83], v31 offset:480 glc slc
	flat_store_byte v[82:83], v36 offset:512 glc slc
	flat_store_byte v[82:83], v37 offset:544 glc slc
	flat_store_byte v[82:83], v50 offset:576 glc slc
	flat_store_byte v[82:83], v51 offset:608 glc slc
	flat_store_byte v[82:83], v52 offset:640 glc slc
	flat_store_byte v[82:83], v53 offset:672 glc slc
	flat_store_byte v[82:83], v54 offset:704 glc slc
	flat_store_byte v[82:83], v55 offset:736 glc slc
	flat_store_byte v[82:83], v66 offset:768 glc slc
	flat_store_byte v[82:83], v67 offset:800 glc slc
	flat_store_byte v[82:83], v68 offset:832 glc slc
	flat_store_byte v[82:83], v69 offset:864 glc slc
	flat_store_byte v[82:83], v70 offset:896 glc slc
	flat_store_byte v[82:83], v80 offset:928 glc slc
	flat_store_byte v[82:83], v81 offset:960 glc slc
	flat_store_byte v[82:83], v9 offset:992 glc slc
	s_andn2_b32 exec_lo, exec_lo, s61
	s_cbranch_execz .LBB6_2987
.LBB6_2469:                             ;   Parent Loop BB6_47 Depth=1
                                        ;     Parent Loop BB6_57 Depth=2
                                        ; =>    This Inner Loop Header: Depth=3
	s_trap 2
	ds_read_b64 v[8:9], v0
	s_waitcnt lgkmcnt(0)
	v_readfirstlane_b32 s16, v8
	s_and_b32 s62, s16, 0xff
	s_cmpk_lt_i32 s62, 0x80
	s_cbranch_scc1 .LBB6_2473
; %bb.2470:                             ;   in Loop: Header=BB6_2469 Depth=3
	s_and_b32 s63, 0xffff, s62
	s_cmpk_eq_i32 s63, 0x80
	s_mov_b32 s63, -1
	s_cbranch_scc0 .LBB6_2472
; %bb.2471:                             ;   in Loop: Header=BB6_2469 Depth=3
	s_mov_b32 s63, 0
.LBB6_2472:                             ;   in Loop: Header=BB6_2469 Depth=3
	s_mov_b32 s72, 0x7f800001
	s_branch .LBB6_2475
.LBB6_2473:                             ;   in Loop: Header=BB6_2469 Depth=3
	s_mov_b32 s63, 0
	s_mov_b32 s72, 0x7f800001
	s_cbranch_execz .LBB6_2475
; %bb.2474:                             ;   in Loop: Header=BB6_2469 Depth=3
	s_and_b32 s62, 0xffff, s62
	s_mov_b32 s72, 0
	s_cmp_lg_u32 s62, 0
	s_cselect_b32 s63, -1, 0
.LBB6_2475:                             ;   in Loop: Header=BB6_2469 Depth=3
	v_mov_b32_e32 v11, s72
	s_andn2_b32 vcc_lo, exec_lo, s63
	s_cbranch_vccnz .LBB6_2477
; %bb.2476:                             ;   in Loop: Header=BB6_2469 Depth=3
	s_and_b32 s62, s16, 3
	s_bfe_u32 s72, s16, 0x50002
	s_flbit_i32_b32 s63, s62
	v_lshlrev_b32_e32 v8, 24, v8
	s_min_u32 s63, s63, 32
	s_sub_i32 s73, s63, 29
	s_sub_i32 s63, 30, s63
	s_lshl_b32 s16, s16, s73
	v_and_b32_e32 v8, 0x80000000, v8
	s_and_b32 s16, s16, 3
	s_cmp_eq_u32 s72, 0
	s_cselect_b32 s63, s63, s72
	s_cselect_b32 s16, s16, s62
	s_lshl_b32 s62, s63, 23
	s_lshl_b32 s16, s16, 21
	s_add_i32 s62, s62, 0x37800000
	v_or_b32_e32 v8, s62, v8
	v_or_b32_e32 v11, s16, v8
.LBB6_2477:                             ;   in Loop: Header=BB6_2469 Depth=3
	v_add_co_u32 v8, vcc_lo, v7, v16
	v_add_co_ci_u32_e64 v9, null, v10, v17, vcc_lo
	s_mov_b32 s16, 0
	s_mov_b32 s62, exec_lo
	flat_load_ubyte v12, v[8:9] slc
	s_waitcnt vmcnt(0) lgkmcnt(0)
	v_cmpx_lt_i16_e32 0x7f, v12
	s_xor_b32 s62, exec_lo, s62
	s_cbranch_execz .LBB6_2923
; %bb.2478:                             ;   in Loop: Header=BB6_2469 Depth=3
	s_mov_b32 s16, -1
	s_mov_b32 s63, exec_lo
	v_cmpx_eq_u16_e32 0x80, v12
; %bb.2479:                             ;   in Loop: Header=BB6_2469 Depth=3
	s_xor_b32 s16, exec_lo, -1
; %bb.2480:                             ;   in Loop: Header=BB6_2469 Depth=3
	s_or_b32 exec_lo, exec_lo, s63
	s_and_b32 s16, s16, exec_lo
	s_or_saveexec_b32 s62, s62
	v_mov_b32_e32 v13, 0x7f800001
	s_xor_b32 exec_lo, exec_lo, s62
	s_cbranch_execnz .LBB6_2924
.LBB6_2481:                             ;   in Loop: Header=BB6_2469 Depth=3
	s_or_b32 exec_lo, exec_lo, s62
	s_and_saveexec_b32 s62, s16
	s_cbranch_execz .LBB6_2483
.LBB6_2482:                             ;   in Loop: Header=BB6_2469 Depth=3
	v_and_b32_e32 v13, 0xffff, v12
	v_lshlrev_b32_e32 v12, 24, v12
	v_and_b32_e32 v14, 3, v13
	v_bfe_u32 v21, v13, 2, 5
	v_and_b32_e32 v12, 0x80000000, v12
	v_ffbh_u32_e32 v15, v14
	v_cmp_eq_u32_e32 vcc_lo, 0, v21
	v_min_u32_e32 v15, 32, v15
	v_subrev_nc_u32_e32 v20, 29, v15
	v_sub_nc_u32_e32 v15, 30, v15
	v_lshlrev_b32_e32 v13, v20, v13
	v_cndmask_b32_e32 v15, v21, v15, vcc_lo
	v_and_b32_e32 v13, 3, v13
	v_cndmask_b32_e32 v13, v14, v13, vcc_lo
	v_lshl_add_u32 v14, v15, 23, 0x37800000
	v_lshlrev_b32_e32 v13, 21, v13
	v_or3_b32 v13, v12, v14, v13
.LBB6_2483:                             ;   in Loop: Header=BB6_2469 Depth=3
	s_or_b32 exec_lo, exec_lo, s62
	v_mul_f32_e32 v13, v11, v13
	v_and_b32_e32 v12, 0x7f800000, v13
	v_cmp_ne_u32_e32 vcc_lo, 0x7f800000, v12
	v_mov_b32_e32 v12, 0x80
	s_and_saveexec_b32 s62, vcc_lo
	s_cbranch_execz .LBB6_2491
; %bb.2484:                             ;   in Loop: Header=BB6_2469 Depth=3
	v_mov_b32_e32 v12, 0
	s_mov_b32 s63, exec_lo
	v_cmpx_ne_u32_e32 0, v13
	s_cbranch_execz .LBB6_2490
; %bb.2485:                             ;   in Loop: Header=BB6_2469 Depth=3
	v_bfe_u32 v12, v13, 23, 8
	v_and_b32_e32 v14, 0x7fffff, v13
	v_sub_nc_u32_e32 v15, 0x70, v12
	v_cmp_gt_u32_e32 vcc_lo, 0x71, v12
	v_or_b32_e32 v20, 0x800000, v14
	v_cndmask_b32_e32 v15, 0, v15, vcc_lo
	v_cmp_eq_u32_e32 vcc_lo, 0, v12
	v_add_nc_u32_e32 v12, 0xffffff91, v12
	v_cndmask_b32_e64 v15, v15, 0x6f, vcc_lo
	v_cndmask_b32_e32 v14, v20, v14, vcc_lo
	v_cndmask_b32_e64 v12, v12, 0xffffff92, vcc_lo
	v_lshl_add_u32 v20, 0x200000, v15, -1
	v_lshrrev_b32_e32 v21, v15, v14
	v_lshlrev_b32_e64 v23, v15, 0x100000
	v_add_nc_u32_e32 v15, v15, v12
	v_and_b32_e32 v14, v20, v14
	v_bfe_u32 v22, v21, 21, 1
	v_cmp_eq_u32_e64 s16, v14, v23
	v_add_nc_u32_e32 v20, -1, v22
	v_cndmask_b32_e64 v14, 0, v20, s16
	v_lshrrev_b32_e32 v20, 23, v21
	s_mov_b32 s16, exec_lo
	v_add_nc_u32_e32 v14, v14, v21
	v_xor_b32_e32 v20, 1, v20
	v_and_b32_e32 v12, 0x1fffff, v14
	v_add_nc_u32_e32 v14, v12, v21
                                        ; implicit-def: $vgpr12
	v_cmpx_ne_u32_e64 v15, v20
	s_xor_b32 s16, exec_lo, s16
; %bb.2486:                             ;   in Loop: Header=BB6_2469 Depth=3
	v_cmp_lt_u32_e32 vcc_lo, 0xffffff, v14
	v_sub_nc_u32_e32 v12, v15, v20
	v_cndmask_b32_e64 v15, 0, 1, vcc_lo
	v_add_co_ci_u32_e64 v12, null, 0, v12, vcc_lo
	v_lshrrev_b32_e32 v14, v15, v14
; %bb.2487:                             ;   in Loop: Header=BB6_2469 Depth=3
	s_andn2_saveexec_b32 s16, s16
; %bb.2488:                             ;   in Loop: Header=BB6_2469 Depth=3
	v_bfe_u32 v12, v14, 23, 1
; %bb.2489:                             ;   in Loop: Header=BB6_2469 Depth=3
	s_or_b32 exec_lo, exec_lo, s16
	v_lshrrev_b32_e32 v14, 21, v14
	v_cmp_gt_i32_e32 vcc_lo, 32, v12
	v_min_i32_e32 v15, 31, v12
	v_and_b32_sdwa v13, v13, v117 dst_sel:DWORD dst_unused:UNUSED_PAD src0_sel:BYTE_3 src1_sel:DWORD
	v_cndmask_b32_e32 v14, 3, v14, vcc_lo
	v_lshlrev_b32_e32 v15, 2, v15
	v_and_b32_e32 v20, 3, v14
	v_or_b32_e32 v12, v12, v14
	v_or3_b32 v13, v15, v13, v20
	v_cmp_ne_u32_e32 vcc_lo, 0, v12
	v_cndmask_b32_e32 v12, 0, v13, vcc_lo
.LBB6_2490:                             ;   in Loop: Header=BB6_2469 Depth=3
	s_or_b32 exec_lo, exec_lo, s63
.LBB6_2491:                             ;   in Loop: Header=BB6_2469 Depth=3
	s_or_b32 exec_lo, exec_lo, s62
	flat_load_ubyte v13, v[8:9] offset:32 slc
	s_mov_b32 s16, 0
	s_mov_b32 s62, exec_lo
	s_waitcnt vmcnt(0) lgkmcnt(0)
	v_cmpx_lt_i16_e32 0x7f, v13
	s_xor_b32 s62, exec_lo, s62
	s_cbranch_execz .LBB6_2925
; %bb.2492:                             ;   in Loop: Header=BB6_2469 Depth=3
	s_mov_b32 s16, -1
	s_mov_b32 s63, exec_lo
	v_cmpx_eq_u16_e32 0x80, v13
; %bb.2493:                             ;   in Loop: Header=BB6_2469 Depth=3
	s_xor_b32 s16, exec_lo, -1
; %bb.2494:                             ;   in Loop: Header=BB6_2469 Depth=3
	s_or_b32 exec_lo, exec_lo, s63
	s_and_b32 s16, s16, exec_lo
	s_or_saveexec_b32 s62, s62
	v_mov_b32_e32 v14, 0x7f800001
	s_xor_b32 exec_lo, exec_lo, s62
	s_cbranch_execnz .LBB6_2926
.LBB6_2495:                             ;   in Loop: Header=BB6_2469 Depth=3
	s_or_b32 exec_lo, exec_lo, s62
	s_and_saveexec_b32 s62, s16
	s_cbranch_execz .LBB6_2497
.LBB6_2496:                             ;   in Loop: Header=BB6_2469 Depth=3
	v_and_b32_e32 v14, 0xffff, v13
	v_lshlrev_b32_e32 v13, 24, v13
	v_and_b32_e32 v15, 3, v14
	v_bfe_u32 v22, v14, 2, 5
	v_and_b32_e32 v13, 0x80000000, v13
	v_ffbh_u32_e32 v20, v15
	v_cmp_eq_u32_e32 vcc_lo, 0, v22
	v_min_u32_e32 v20, 32, v20
	v_subrev_nc_u32_e32 v21, 29, v20
	v_sub_nc_u32_e32 v20, 30, v20
	v_lshlrev_b32_e32 v14, v21, v14
	v_cndmask_b32_e32 v20, v22, v20, vcc_lo
	v_and_b32_e32 v14, 3, v14
	v_cndmask_b32_e32 v14, v15, v14, vcc_lo
	v_lshl_add_u32 v15, v20, 23, 0x37800000
	v_lshlrev_b32_e32 v14, 21, v14
	v_or3_b32 v14, v13, v15, v14
.LBB6_2497:                             ;   in Loop: Header=BB6_2469 Depth=3
	s_or_b32 exec_lo, exec_lo, s62
	v_mul_f32_e32 v14, v11, v14
	v_and_b32_e32 v13, 0x7f800000, v14
	v_cmp_ne_u32_e32 vcc_lo, 0x7f800000, v13
	v_mov_b32_e32 v13, 0x80
	s_and_saveexec_b32 s62, vcc_lo
	s_cbranch_execz .LBB6_2505
; %bb.2498:                             ;   in Loop: Header=BB6_2469 Depth=3
	v_mov_b32_e32 v13, 0
	s_mov_b32 s63, exec_lo
	v_cmpx_ne_u32_e32 0, v14
	s_cbranch_execz .LBB6_2504
; %bb.2499:                             ;   in Loop: Header=BB6_2469 Depth=3
	v_bfe_u32 v13, v14, 23, 8
	v_and_b32_e32 v15, 0x7fffff, v14
	v_sub_nc_u32_e32 v20, 0x70, v13
	v_cmp_gt_u32_e32 vcc_lo, 0x71, v13
	v_or_b32_e32 v21, 0x800000, v15
	v_cndmask_b32_e32 v20, 0, v20, vcc_lo
	v_cmp_eq_u32_e32 vcc_lo, 0, v13
	v_add_nc_u32_e32 v13, 0xffffff91, v13
	v_cndmask_b32_e64 v20, v20, 0x6f, vcc_lo
	v_cndmask_b32_e32 v15, v21, v15, vcc_lo
	v_cndmask_b32_e64 v13, v13, 0xffffff92, vcc_lo
	v_lshl_add_u32 v21, 0x200000, v20, -1
	v_lshrrev_b32_e32 v22, v20, v15
	v_lshlrev_b32_e64 v24, v20, 0x100000
	v_add_nc_u32_e32 v20, v20, v13
	v_and_b32_e32 v15, v21, v15
	v_bfe_u32 v23, v22, 21, 1
	v_cmp_eq_u32_e64 s16, v15, v24
	v_add_nc_u32_e32 v21, -1, v23
	v_cndmask_b32_e64 v15, 0, v21, s16
	v_lshrrev_b32_e32 v21, 23, v22
	s_mov_b32 s16, exec_lo
	v_add_nc_u32_e32 v15, v15, v22
	v_xor_b32_e32 v21, 1, v21
	v_and_b32_e32 v13, 0x1fffff, v15
	v_add_nc_u32_e32 v15, v13, v22
                                        ; implicit-def: $vgpr13
	v_cmpx_ne_u32_e64 v20, v21
	s_xor_b32 s16, exec_lo, s16
; %bb.2500:                             ;   in Loop: Header=BB6_2469 Depth=3
	v_cmp_lt_u32_e32 vcc_lo, 0xffffff, v15
	v_sub_nc_u32_e32 v13, v20, v21
	v_cndmask_b32_e64 v20, 0, 1, vcc_lo
	v_add_co_ci_u32_e64 v13, null, 0, v13, vcc_lo
	v_lshrrev_b32_e32 v15, v20, v15
; %bb.2501:                             ;   in Loop: Header=BB6_2469 Depth=3
	s_andn2_saveexec_b32 s16, s16
; %bb.2502:                             ;   in Loop: Header=BB6_2469 Depth=3
	v_bfe_u32 v13, v15, 23, 1
; %bb.2503:                             ;   in Loop: Header=BB6_2469 Depth=3
	s_or_b32 exec_lo, exec_lo, s16
	v_lshrrev_b32_e32 v15, 21, v15
	v_cmp_gt_i32_e32 vcc_lo, 32, v13
	v_min_i32_e32 v20, 31, v13
	v_and_b32_sdwa v14, v14, v117 dst_sel:DWORD dst_unused:UNUSED_PAD src0_sel:BYTE_3 src1_sel:DWORD
	v_cndmask_b32_e32 v15, 3, v15, vcc_lo
	v_lshlrev_b32_e32 v20, 2, v20
	v_and_b32_e32 v21, 3, v15
	v_or_b32_e32 v13, v13, v15
	v_or3_b32 v14, v20, v14, v21
	v_cmp_ne_u32_e32 vcc_lo, 0, v13
	v_cndmask_b32_e32 v13, 0, v14, vcc_lo
.LBB6_2504:                             ;   in Loop: Header=BB6_2469 Depth=3
	s_or_b32 exec_lo, exec_lo, s63
.LBB6_2505:                             ;   in Loop: Header=BB6_2469 Depth=3
	s_or_b32 exec_lo, exec_lo, s62
	flat_load_ubyte v14, v[8:9] offset:64 slc
	s_mov_b32 s16, 0
	s_mov_b32 s62, exec_lo
	s_waitcnt vmcnt(0) lgkmcnt(0)
	v_cmpx_lt_i16_e32 0x7f, v14
	s_xor_b32 s62, exec_lo, s62
	s_cbranch_execz .LBB6_2927
; %bb.2506:                             ;   in Loop: Header=BB6_2469 Depth=3
	s_mov_b32 s16, -1
	s_mov_b32 s63, exec_lo
	v_cmpx_eq_u16_e32 0x80, v14
; %bb.2507:                             ;   in Loop: Header=BB6_2469 Depth=3
	s_xor_b32 s16, exec_lo, -1
; %bb.2508:                             ;   in Loop: Header=BB6_2469 Depth=3
	s_or_b32 exec_lo, exec_lo, s63
	s_and_b32 s16, s16, exec_lo
	s_or_saveexec_b32 s62, s62
	v_mov_b32_e32 v15, 0x7f800001
	s_xor_b32 exec_lo, exec_lo, s62
	s_cbranch_execnz .LBB6_2928
.LBB6_2509:                             ;   in Loop: Header=BB6_2469 Depth=3
	s_or_b32 exec_lo, exec_lo, s62
	s_and_saveexec_b32 s62, s16
	s_cbranch_execz .LBB6_2511
.LBB6_2510:                             ;   in Loop: Header=BB6_2469 Depth=3
	v_and_b32_e32 v15, 0xffff, v14
	v_lshlrev_b32_e32 v14, 24, v14
	v_and_b32_e32 v20, 3, v15
	v_bfe_u32 v23, v15, 2, 5
	v_and_b32_e32 v14, 0x80000000, v14
	v_ffbh_u32_e32 v21, v20
	v_cmp_eq_u32_e32 vcc_lo, 0, v23
	v_min_u32_e32 v21, 32, v21
	v_subrev_nc_u32_e32 v22, 29, v21
	v_sub_nc_u32_e32 v21, 30, v21
	v_lshlrev_b32_e32 v15, v22, v15
	v_cndmask_b32_e32 v21, v23, v21, vcc_lo
	v_and_b32_e32 v15, 3, v15
	v_cndmask_b32_e32 v15, v20, v15, vcc_lo
	v_lshl_add_u32 v20, v21, 23, 0x37800000
	v_lshlrev_b32_e32 v15, 21, v15
	v_or3_b32 v15, v14, v20, v15
.LBB6_2511:                             ;   in Loop: Header=BB6_2469 Depth=3
	s_or_b32 exec_lo, exec_lo, s62
	v_mul_f32_e32 v15, v11, v15
	v_and_b32_e32 v14, 0x7f800000, v15
	v_cmp_ne_u32_e32 vcc_lo, 0x7f800000, v14
	v_mov_b32_e32 v14, 0x80
	s_and_saveexec_b32 s62, vcc_lo
	s_cbranch_execz .LBB6_2519
; %bb.2512:                             ;   in Loop: Header=BB6_2469 Depth=3
	v_mov_b32_e32 v14, 0
	s_mov_b32 s63, exec_lo
	v_cmpx_ne_u32_e32 0, v15
	s_cbranch_execz .LBB6_2518
; %bb.2513:                             ;   in Loop: Header=BB6_2469 Depth=3
	v_bfe_u32 v14, v15, 23, 8
	v_and_b32_e32 v20, 0x7fffff, v15
	v_sub_nc_u32_e32 v21, 0x70, v14
	v_cmp_gt_u32_e32 vcc_lo, 0x71, v14
	v_or_b32_e32 v22, 0x800000, v20
	v_cndmask_b32_e32 v21, 0, v21, vcc_lo
	v_cmp_eq_u32_e32 vcc_lo, 0, v14
	v_add_nc_u32_e32 v14, 0xffffff91, v14
	v_cndmask_b32_e64 v21, v21, 0x6f, vcc_lo
	v_cndmask_b32_e32 v20, v22, v20, vcc_lo
	v_cndmask_b32_e64 v14, v14, 0xffffff92, vcc_lo
	v_lshl_add_u32 v22, 0x200000, v21, -1
	v_lshrrev_b32_e32 v23, v21, v20
	v_lshlrev_b32_e64 v25, v21, 0x100000
	v_add_nc_u32_e32 v21, v21, v14
	v_and_b32_e32 v20, v22, v20
	v_bfe_u32 v24, v23, 21, 1
	v_cmp_eq_u32_e64 s16, v20, v25
	v_add_nc_u32_e32 v22, -1, v24
	v_cndmask_b32_e64 v20, 0, v22, s16
	v_lshrrev_b32_e32 v22, 23, v23
	s_mov_b32 s16, exec_lo
	v_add_nc_u32_e32 v20, v20, v23
	v_xor_b32_e32 v22, 1, v22
	v_and_b32_e32 v14, 0x1fffff, v20
	v_add_nc_u32_e32 v20, v14, v23
                                        ; implicit-def: $vgpr14
	v_cmpx_ne_u32_e64 v21, v22
	s_xor_b32 s16, exec_lo, s16
; %bb.2514:                             ;   in Loop: Header=BB6_2469 Depth=3
	v_cmp_lt_u32_e32 vcc_lo, 0xffffff, v20
	v_sub_nc_u32_e32 v14, v21, v22
	v_cndmask_b32_e64 v21, 0, 1, vcc_lo
	v_add_co_ci_u32_e64 v14, null, 0, v14, vcc_lo
	v_lshrrev_b32_e32 v20, v21, v20
; %bb.2515:                             ;   in Loop: Header=BB6_2469 Depth=3
	s_andn2_saveexec_b32 s16, s16
; %bb.2516:                             ;   in Loop: Header=BB6_2469 Depth=3
	v_bfe_u32 v14, v20, 23, 1
; %bb.2517:                             ;   in Loop: Header=BB6_2469 Depth=3
	s_or_b32 exec_lo, exec_lo, s16
	v_lshrrev_b32_e32 v20, 21, v20
	v_cmp_gt_i32_e32 vcc_lo, 32, v14
	v_min_i32_e32 v21, 31, v14
	v_and_b32_sdwa v15, v15, v117 dst_sel:DWORD dst_unused:UNUSED_PAD src0_sel:BYTE_3 src1_sel:DWORD
	v_cndmask_b32_e32 v20, 3, v20, vcc_lo
	v_lshlrev_b32_e32 v21, 2, v21
	v_and_b32_e32 v22, 3, v20
	v_or_b32_e32 v14, v14, v20
	v_or3_b32 v15, v21, v15, v22
	v_cmp_ne_u32_e32 vcc_lo, 0, v14
	v_cndmask_b32_e32 v14, 0, v15, vcc_lo
.LBB6_2518:                             ;   in Loop: Header=BB6_2469 Depth=3
	s_or_b32 exec_lo, exec_lo, s63
.LBB6_2519:                             ;   in Loop: Header=BB6_2469 Depth=3
	s_or_b32 exec_lo, exec_lo, s62
	flat_load_ubyte v15, v[8:9] offset:96 slc
	s_mov_b32 s16, 0
	s_mov_b32 s62, exec_lo
	s_waitcnt vmcnt(0) lgkmcnt(0)
	v_cmpx_lt_i16_e32 0x7f, v15
	s_xor_b32 s62, exec_lo, s62
	s_cbranch_execz .LBB6_2929
; %bb.2520:                             ;   in Loop: Header=BB6_2469 Depth=3
	s_mov_b32 s16, -1
	s_mov_b32 s63, exec_lo
	v_cmpx_eq_u16_e32 0x80, v15
; %bb.2521:                             ;   in Loop: Header=BB6_2469 Depth=3
	s_xor_b32 s16, exec_lo, -1
; %bb.2522:                             ;   in Loop: Header=BB6_2469 Depth=3
	s_or_b32 exec_lo, exec_lo, s63
	s_and_b32 s16, s16, exec_lo
	s_or_saveexec_b32 s62, s62
	v_mov_b32_e32 v20, 0x7f800001
	s_xor_b32 exec_lo, exec_lo, s62
	s_cbranch_execnz .LBB6_2930
.LBB6_2523:                             ;   in Loop: Header=BB6_2469 Depth=3
	s_or_b32 exec_lo, exec_lo, s62
	s_and_saveexec_b32 s62, s16
	s_cbranch_execz .LBB6_2525
.LBB6_2524:                             ;   in Loop: Header=BB6_2469 Depth=3
	v_and_b32_e32 v20, 0xffff, v15
	v_lshlrev_b32_e32 v15, 24, v15
	v_and_b32_e32 v21, 3, v20
	v_bfe_u32 v24, v20, 2, 5
	v_and_b32_e32 v15, 0x80000000, v15
	v_ffbh_u32_e32 v22, v21
	v_cmp_eq_u32_e32 vcc_lo, 0, v24
	v_min_u32_e32 v22, 32, v22
	v_subrev_nc_u32_e32 v23, 29, v22
	v_sub_nc_u32_e32 v22, 30, v22
	v_lshlrev_b32_e32 v20, v23, v20
	v_cndmask_b32_e32 v22, v24, v22, vcc_lo
	v_and_b32_e32 v20, 3, v20
	v_cndmask_b32_e32 v20, v21, v20, vcc_lo
	v_lshl_add_u32 v21, v22, 23, 0x37800000
	v_lshlrev_b32_e32 v20, 21, v20
	v_or3_b32 v20, v15, v21, v20
.LBB6_2525:                             ;   in Loop: Header=BB6_2469 Depth=3
	s_or_b32 exec_lo, exec_lo, s62
	v_mul_f32_e32 v20, v11, v20
	v_and_b32_e32 v15, 0x7f800000, v20
	v_cmp_ne_u32_e32 vcc_lo, 0x7f800000, v15
	v_mov_b32_e32 v15, 0x80
	s_and_saveexec_b32 s62, vcc_lo
	s_cbranch_execz .LBB6_2533
; %bb.2526:                             ;   in Loop: Header=BB6_2469 Depth=3
	v_mov_b32_e32 v15, 0
	s_mov_b32 s63, exec_lo
	v_cmpx_ne_u32_e32 0, v20
	s_cbranch_execz .LBB6_2532
; %bb.2527:                             ;   in Loop: Header=BB6_2469 Depth=3
	v_bfe_u32 v15, v20, 23, 8
	v_and_b32_e32 v21, 0x7fffff, v20
	v_sub_nc_u32_e32 v22, 0x70, v15
	v_cmp_gt_u32_e32 vcc_lo, 0x71, v15
	v_or_b32_e32 v23, 0x800000, v21
	v_cndmask_b32_e32 v22, 0, v22, vcc_lo
	v_cmp_eq_u32_e32 vcc_lo, 0, v15
	v_add_nc_u32_e32 v15, 0xffffff91, v15
	v_cndmask_b32_e64 v22, v22, 0x6f, vcc_lo
	v_cndmask_b32_e32 v21, v23, v21, vcc_lo
	v_cndmask_b32_e64 v15, v15, 0xffffff92, vcc_lo
	v_lshl_add_u32 v23, 0x200000, v22, -1
	v_lshrrev_b32_e32 v24, v22, v21
	v_lshlrev_b32_e64 v26, v22, 0x100000
	v_add_nc_u32_e32 v22, v22, v15
	v_and_b32_e32 v21, v23, v21
	v_bfe_u32 v25, v24, 21, 1
	v_cmp_eq_u32_e64 s16, v21, v26
	v_add_nc_u32_e32 v23, -1, v25
	v_cndmask_b32_e64 v21, 0, v23, s16
	v_lshrrev_b32_e32 v23, 23, v24
	s_mov_b32 s16, exec_lo
	v_add_nc_u32_e32 v21, v21, v24
	v_xor_b32_e32 v23, 1, v23
	v_and_b32_e32 v15, 0x1fffff, v21
	v_add_nc_u32_e32 v21, v15, v24
                                        ; implicit-def: $vgpr15
	v_cmpx_ne_u32_e64 v22, v23
	s_xor_b32 s16, exec_lo, s16
; %bb.2528:                             ;   in Loop: Header=BB6_2469 Depth=3
	v_cmp_lt_u32_e32 vcc_lo, 0xffffff, v21
	v_sub_nc_u32_e32 v15, v22, v23
	v_cndmask_b32_e64 v22, 0, 1, vcc_lo
	v_add_co_ci_u32_e64 v15, null, 0, v15, vcc_lo
	v_lshrrev_b32_e32 v21, v22, v21
; %bb.2529:                             ;   in Loop: Header=BB6_2469 Depth=3
	s_andn2_saveexec_b32 s16, s16
; %bb.2530:                             ;   in Loop: Header=BB6_2469 Depth=3
	v_bfe_u32 v15, v21, 23, 1
; %bb.2531:                             ;   in Loop: Header=BB6_2469 Depth=3
	s_or_b32 exec_lo, exec_lo, s16
	v_lshrrev_b32_e32 v21, 21, v21
	v_cmp_gt_i32_e32 vcc_lo, 32, v15
	v_min_i32_e32 v22, 31, v15
	v_and_b32_sdwa v20, v20, v117 dst_sel:DWORD dst_unused:UNUSED_PAD src0_sel:BYTE_3 src1_sel:DWORD
	v_cndmask_b32_e32 v21, 3, v21, vcc_lo
	v_lshlrev_b32_e32 v22, 2, v22
	v_and_b32_e32 v23, 3, v21
	v_or_b32_e32 v15, v15, v21
	v_or3_b32 v20, v22, v20, v23
	v_cmp_ne_u32_e32 vcc_lo, 0, v15
	v_cndmask_b32_e32 v15, 0, v20, vcc_lo
.LBB6_2532:                             ;   in Loop: Header=BB6_2469 Depth=3
	s_or_b32 exec_lo, exec_lo, s63
.LBB6_2533:                             ;   in Loop: Header=BB6_2469 Depth=3
	s_or_b32 exec_lo, exec_lo, s62
	flat_load_ubyte v20, v[8:9] offset:128 slc
	s_mov_b32 s16, 0
	s_mov_b32 s62, exec_lo
	s_waitcnt vmcnt(0) lgkmcnt(0)
	v_cmpx_lt_i16_e32 0x7f, v20
	s_xor_b32 s62, exec_lo, s62
	s_cbranch_execz .LBB6_2931
; %bb.2534:                             ;   in Loop: Header=BB6_2469 Depth=3
	s_mov_b32 s16, -1
	s_mov_b32 s63, exec_lo
	v_cmpx_eq_u16_e32 0x80, v20
; %bb.2535:                             ;   in Loop: Header=BB6_2469 Depth=3
	s_xor_b32 s16, exec_lo, -1
; %bb.2536:                             ;   in Loop: Header=BB6_2469 Depth=3
	s_or_b32 exec_lo, exec_lo, s63
	s_and_b32 s16, s16, exec_lo
	s_or_saveexec_b32 s62, s62
	v_mov_b32_e32 v21, 0x7f800001
	s_xor_b32 exec_lo, exec_lo, s62
	s_cbranch_execnz .LBB6_2932
.LBB6_2537:                             ;   in Loop: Header=BB6_2469 Depth=3
	s_or_b32 exec_lo, exec_lo, s62
	s_and_saveexec_b32 s62, s16
	s_cbranch_execz .LBB6_2539
.LBB6_2538:                             ;   in Loop: Header=BB6_2469 Depth=3
	v_and_b32_e32 v21, 0xffff, v20
	v_lshlrev_b32_e32 v20, 24, v20
	v_and_b32_e32 v22, 3, v21
	v_bfe_u32 v25, v21, 2, 5
	v_and_b32_e32 v20, 0x80000000, v20
	v_ffbh_u32_e32 v23, v22
	v_cmp_eq_u32_e32 vcc_lo, 0, v25
	v_min_u32_e32 v23, 32, v23
	v_subrev_nc_u32_e32 v24, 29, v23
	v_sub_nc_u32_e32 v23, 30, v23
	v_lshlrev_b32_e32 v21, v24, v21
	v_cndmask_b32_e32 v23, v25, v23, vcc_lo
	v_and_b32_e32 v21, 3, v21
	v_cndmask_b32_e32 v21, v22, v21, vcc_lo
	v_lshl_add_u32 v22, v23, 23, 0x37800000
	v_lshlrev_b32_e32 v21, 21, v21
	v_or3_b32 v21, v20, v22, v21
.LBB6_2539:                             ;   in Loop: Header=BB6_2469 Depth=3
	s_or_b32 exec_lo, exec_lo, s62
	v_mul_f32_e32 v21, v11, v21
	v_and_b32_e32 v20, 0x7f800000, v21
	v_cmp_ne_u32_e32 vcc_lo, 0x7f800000, v20
	v_mov_b32_e32 v20, 0x80
	s_and_saveexec_b32 s62, vcc_lo
	s_cbranch_execz .LBB6_2547
; %bb.2540:                             ;   in Loop: Header=BB6_2469 Depth=3
	v_mov_b32_e32 v20, 0
	s_mov_b32 s63, exec_lo
	v_cmpx_ne_u32_e32 0, v21
	s_cbranch_execz .LBB6_2546
; %bb.2541:                             ;   in Loop: Header=BB6_2469 Depth=3
	v_bfe_u32 v20, v21, 23, 8
	v_and_b32_e32 v22, 0x7fffff, v21
	v_sub_nc_u32_e32 v23, 0x70, v20
	v_cmp_gt_u32_e32 vcc_lo, 0x71, v20
	v_or_b32_e32 v24, 0x800000, v22
	v_cndmask_b32_e32 v23, 0, v23, vcc_lo
	v_cmp_eq_u32_e32 vcc_lo, 0, v20
	v_add_nc_u32_e32 v20, 0xffffff91, v20
	v_cndmask_b32_e64 v23, v23, 0x6f, vcc_lo
	v_cndmask_b32_e32 v22, v24, v22, vcc_lo
	v_cndmask_b32_e64 v20, v20, 0xffffff92, vcc_lo
	v_lshl_add_u32 v24, 0x200000, v23, -1
	v_lshrrev_b32_e32 v25, v23, v22
	v_lshlrev_b32_e64 v27, v23, 0x100000
	v_add_nc_u32_e32 v23, v23, v20
	v_and_b32_e32 v22, v24, v22
	v_bfe_u32 v26, v25, 21, 1
	v_cmp_eq_u32_e64 s16, v22, v27
	v_add_nc_u32_e32 v24, -1, v26
	v_cndmask_b32_e64 v22, 0, v24, s16
	v_lshrrev_b32_e32 v24, 23, v25
	s_mov_b32 s16, exec_lo
	v_add_nc_u32_e32 v22, v22, v25
	v_xor_b32_e32 v24, 1, v24
	v_and_b32_e32 v20, 0x1fffff, v22
	v_add_nc_u32_e32 v22, v20, v25
                                        ; implicit-def: $vgpr20
	v_cmpx_ne_u32_e64 v23, v24
	s_xor_b32 s16, exec_lo, s16
; %bb.2542:                             ;   in Loop: Header=BB6_2469 Depth=3
	v_cmp_lt_u32_e32 vcc_lo, 0xffffff, v22
	v_sub_nc_u32_e32 v20, v23, v24
	v_cndmask_b32_e64 v23, 0, 1, vcc_lo
	v_add_co_ci_u32_e64 v20, null, 0, v20, vcc_lo
	v_lshrrev_b32_e32 v22, v23, v22
; %bb.2543:                             ;   in Loop: Header=BB6_2469 Depth=3
	s_andn2_saveexec_b32 s16, s16
; %bb.2544:                             ;   in Loop: Header=BB6_2469 Depth=3
	v_bfe_u32 v20, v22, 23, 1
; %bb.2545:                             ;   in Loop: Header=BB6_2469 Depth=3
	s_or_b32 exec_lo, exec_lo, s16
	v_lshrrev_b32_e32 v22, 21, v22
	v_cmp_gt_i32_e32 vcc_lo, 32, v20
	v_min_i32_e32 v23, 31, v20
	v_and_b32_sdwa v21, v21, v117 dst_sel:DWORD dst_unused:UNUSED_PAD src0_sel:BYTE_3 src1_sel:DWORD
	v_cndmask_b32_e32 v22, 3, v22, vcc_lo
	v_lshlrev_b32_e32 v23, 2, v23
	v_and_b32_e32 v24, 3, v22
	v_or_b32_e32 v20, v20, v22
	v_or3_b32 v21, v23, v21, v24
	v_cmp_ne_u32_e32 vcc_lo, 0, v20
	v_cndmask_b32_e32 v20, 0, v21, vcc_lo
.LBB6_2546:                             ;   in Loop: Header=BB6_2469 Depth=3
	s_or_b32 exec_lo, exec_lo, s63
.LBB6_2547:                             ;   in Loop: Header=BB6_2469 Depth=3
	s_or_b32 exec_lo, exec_lo, s62
	flat_load_ubyte v21, v[8:9] offset:160 slc
	s_mov_b32 s16, 0
	s_mov_b32 s62, exec_lo
	s_waitcnt vmcnt(0) lgkmcnt(0)
	v_cmpx_lt_i16_e32 0x7f, v21
	s_xor_b32 s62, exec_lo, s62
	s_cbranch_execz .LBB6_2933
; %bb.2548:                             ;   in Loop: Header=BB6_2469 Depth=3
	s_mov_b32 s16, -1
	s_mov_b32 s63, exec_lo
	v_cmpx_eq_u16_e32 0x80, v21
; %bb.2549:                             ;   in Loop: Header=BB6_2469 Depth=3
	s_xor_b32 s16, exec_lo, -1
; %bb.2550:                             ;   in Loop: Header=BB6_2469 Depth=3
	s_or_b32 exec_lo, exec_lo, s63
	s_and_b32 s16, s16, exec_lo
	s_or_saveexec_b32 s62, s62
	v_mov_b32_e32 v22, 0x7f800001
	s_xor_b32 exec_lo, exec_lo, s62
	s_cbranch_execnz .LBB6_2934
.LBB6_2551:                             ;   in Loop: Header=BB6_2469 Depth=3
	s_or_b32 exec_lo, exec_lo, s62
	s_and_saveexec_b32 s62, s16
	s_cbranch_execz .LBB6_2553
.LBB6_2552:                             ;   in Loop: Header=BB6_2469 Depth=3
	v_and_b32_e32 v22, 0xffff, v21
	v_lshlrev_b32_e32 v21, 24, v21
	v_and_b32_e32 v23, 3, v22
	v_bfe_u32 v26, v22, 2, 5
	v_and_b32_e32 v21, 0x80000000, v21
	v_ffbh_u32_e32 v24, v23
	v_cmp_eq_u32_e32 vcc_lo, 0, v26
	v_min_u32_e32 v24, 32, v24
	v_subrev_nc_u32_e32 v25, 29, v24
	v_sub_nc_u32_e32 v24, 30, v24
	v_lshlrev_b32_e32 v22, v25, v22
	v_cndmask_b32_e32 v24, v26, v24, vcc_lo
	v_and_b32_e32 v22, 3, v22
	v_cndmask_b32_e32 v22, v23, v22, vcc_lo
	v_lshl_add_u32 v23, v24, 23, 0x37800000
	v_lshlrev_b32_e32 v22, 21, v22
	v_or3_b32 v22, v21, v23, v22
.LBB6_2553:                             ;   in Loop: Header=BB6_2469 Depth=3
	s_or_b32 exec_lo, exec_lo, s62
	v_mul_f32_e32 v22, v11, v22
	v_and_b32_e32 v21, 0x7f800000, v22
	v_cmp_ne_u32_e32 vcc_lo, 0x7f800000, v21
	v_mov_b32_e32 v21, 0x80
	s_and_saveexec_b32 s62, vcc_lo
	s_cbranch_execz .LBB6_2561
; %bb.2554:                             ;   in Loop: Header=BB6_2469 Depth=3
	v_mov_b32_e32 v21, 0
	s_mov_b32 s63, exec_lo
	v_cmpx_ne_u32_e32 0, v22
	s_cbranch_execz .LBB6_2560
; %bb.2555:                             ;   in Loop: Header=BB6_2469 Depth=3
	v_bfe_u32 v21, v22, 23, 8
	v_and_b32_e32 v23, 0x7fffff, v22
	v_sub_nc_u32_e32 v24, 0x70, v21
	v_cmp_gt_u32_e32 vcc_lo, 0x71, v21
	v_or_b32_e32 v25, 0x800000, v23
	v_cndmask_b32_e32 v24, 0, v24, vcc_lo
	v_cmp_eq_u32_e32 vcc_lo, 0, v21
	v_add_nc_u32_e32 v21, 0xffffff91, v21
	v_cndmask_b32_e64 v24, v24, 0x6f, vcc_lo
	v_cndmask_b32_e32 v23, v25, v23, vcc_lo
	v_cndmask_b32_e64 v21, v21, 0xffffff92, vcc_lo
	v_lshl_add_u32 v25, 0x200000, v24, -1
	v_lshrrev_b32_e32 v26, v24, v23
	v_lshlrev_b32_e64 v28, v24, 0x100000
	v_add_nc_u32_e32 v24, v24, v21
	v_and_b32_e32 v23, v25, v23
	v_bfe_u32 v27, v26, 21, 1
	v_cmp_eq_u32_e64 s16, v23, v28
	v_add_nc_u32_e32 v25, -1, v27
	v_cndmask_b32_e64 v23, 0, v25, s16
	v_lshrrev_b32_e32 v25, 23, v26
	s_mov_b32 s16, exec_lo
	v_add_nc_u32_e32 v23, v23, v26
	v_xor_b32_e32 v25, 1, v25
	v_and_b32_e32 v21, 0x1fffff, v23
	v_add_nc_u32_e32 v23, v21, v26
                                        ; implicit-def: $vgpr21
	v_cmpx_ne_u32_e64 v24, v25
	s_xor_b32 s16, exec_lo, s16
; %bb.2556:                             ;   in Loop: Header=BB6_2469 Depth=3
	v_cmp_lt_u32_e32 vcc_lo, 0xffffff, v23
	v_sub_nc_u32_e32 v21, v24, v25
	v_cndmask_b32_e64 v24, 0, 1, vcc_lo
	v_add_co_ci_u32_e64 v21, null, 0, v21, vcc_lo
	v_lshrrev_b32_e32 v23, v24, v23
; %bb.2557:                             ;   in Loop: Header=BB6_2469 Depth=3
	s_andn2_saveexec_b32 s16, s16
; %bb.2558:                             ;   in Loop: Header=BB6_2469 Depth=3
	v_bfe_u32 v21, v23, 23, 1
; %bb.2559:                             ;   in Loop: Header=BB6_2469 Depth=3
	s_or_b32 exec_lo, exec_lo, s16
	v_lshrrev_b32_e32 v23, 21, v23
	v_cmp_gt_i32_e32 vcc_lo, 32, v21
	v_min_i32_e32 v24, 31, v21
	v_and_b32_sdwa v22, v22, v117 dst_sel:DWORD dst_unused:UNUSED_PAD src0_sel:BYTE_3 src1_sel:DWORD
	v_cndmask_b32_e32 v23, 3, v23, vcc_lo
	v_lshlrev_b32_e32 v24, 2, v24
	v_and_b32_e32 v25, 3, v23
	v_or_b32_e32 v21, v21, v23
	v_or3_b32 v22, v24, v22, v25
	v_cmp_ne_u32_e32 vcc_lo, 0, v21
	v_cndmask_b32_e32 v21, 0, v22, vcc_lo
.LBB6_2560:                             ;   in Loop: Header=BB6_2469 Depth=3
	s_or_b32 exec_lo, exec_lo, s63
.LBB6_2561:                             ;   in Loop: Header=BB6_2469 Depth=3
	s_or_b32 exec_lo, exec_lo, s62
	flat_load_ubyte v22, v[8:9] offset:192 slc
	s_mov_b32 s16, 0
	s_mov_b32 s62, exec_lo
	s_waitcnt vmcnt(0) lgkmcnt(0)
	v_cmpx_lt_i16_e32 0x7f, v22
	s_xor_b32 s62, exec_lo, s62
	s_cbranch_execz .LBB6_2935
; %bb.2562:                             ;   in Loop: Header=BB6_2469 Depth=3
	s_mov_b32 s16, -1
	s_mov_b32 s63, exec_lo
	v_cmpx_eq_u16_e32 0x80, v22
; %bb.2563:                             ;   in Loop: Header=BB6_2469 Depth=3
	s_xor_b32 s16, exec_lo, -1
; %bb.2564:                             ;   in Loop: Header=BB6_2469 Depth=3
	s_or_b32 exec_lo, exec_lo, s63
	s_and_b32 s16, s16, exec_lo
	s_or_saveexec_b32 s62, s62
	v_mov_b32_e32 v23, 0x7f800001
	s_xor_b32 exec_lo, exec_lo, s62
	s_cbranch_execnz .LBB6_2936
.LBB6_2565:                             ;   in Loop: Header=BB6_2469 Depth=3
	s_or_b32 exec_lo, exec_lo, s62
	s_and_saveexec_b32 s62, s16
	s_cbranch_execz .LBB6_2567
.LBB6_2566:                             ;   in Loop: Header=BB6_2469 Depth=3
	v_and_b32_e32 v23, 0xffff, v22
	v_lshlrev_b32_e32 v22, 24, v22
	v_and_b32_e32 v24, 3, v23
	v_bfe_u32 v27, v23, 2, 5
	v_and_b32_e32 v22, 0x80000000, v22
	v_ffbh_u32_e32 v25, v24
	v_cmp_eq_u32_e32 vcc_lo, 0, v27
	v_min_u32_e32 v25, 32, v25
	v_subrev_nc_u32_e32 v26, 29, v25
	v_sub_nc_u32_e32 v25, 30, v25
	v_lshlrev_b32_e32 v23, v26, v23
	v_cndmask_b32_e32 v25, v27, v25, vcc_lo
	v_and_b32_e32 v23, 3, v23
	v_cndmask_b32_e32 v23, v24, v23, vcc_lo
	v_lshl_add_u32 v24, v25, 23, 0x37800000
	v_lshlrev_b32_e32 v23, 21, v23
	v_or3_b32 v23, v22, v24, v23
.LBB6_2567:                             ;   in Loop: Header=BB6_2469 Depth=3
	s_or_b32 exec_lo, exec_lo, s62
	v_mul_f32_e32 v23, v11, v23
	v_and_b32_e32 v22, 0x7f800000, v23
	v_cmp_ne_u32_e32 vcc_lo, 0x7f800000, v22
	v_mov_b32_e32 v22, 0x80
	s_and_saveexec_b32 s62, vcc_lo
	s_cbranch_execz .LBB6_2575
; %bb.2568:                             ;   in Loop: Header=BB6_2469 Depth=3
	v_mov_b32_e32 v22, 0
	s_mov_b32 s63, exec_lo
	v_cmpx_ne_u32_e32 0, v23
	s_cbranch_execz .LBB6_2574
; %bb.2569:                             ;   in Loop: Header=BB6_2469 Depth=3
	v_bfe_u32 v22, v23, 23, 8
	v_and_b32_e32 v24, 0x7fffff, v23
	v_sub_nc_u32_e32 v25, 0x70, v22
	v_cmp_gt_u32_e32 vcc_lo, 0x71, v22
	v_or_b32_e32 v26, 0x800000, v24
	v_cndmask_b32_e32 v25, 0, v25, vcc_lo
	v_cmp_eq_u32_e32 vcc_lo, 0, v22
	v_add_nc_u32_e32 v22, 0xffffff91, v22
	v_cndmask_b32_e64 v25, v25, 0x6f, vcc_lo
	v_cndmask_b32_e32 v24, v26, v24, vcc_lo
	v_cndmask_b32_e64 v22, v22, 0xffffff92, vcc_lo
	v_lshl_add_u32 v26, 0x200000, v25, -1
	v_lshrrev_b32_e32 v27, v25, v24
	v_lshlrev_b32_e64 v29, v25, 0x100000
	v_add_nc_u32_e32 v25, v25, v22
	v_and_b32_e32 v24, v26, v24
	v_bfe_u32 v28, v27, 21, 1
	v_cmp_eq_u32_e64 s16, v24, v29
	v_add_nc_u32_e32 v26, -1, v28
	v_cndmask_b32_e64 v24, 0, v26, s16
	v_lshrrev_b32_e32 v26, 23, v27
	s_mov_b32 s16, exec_lo
	v_add_nc_u32_e32 v24, v24, v27
	v_xor_b32_e32 v26, 1, v26
	v_and_b32_e32 v22, 0x1fffff, v24
	v_add_nc_u32_e32 v24, v22, v27
                                        ; implicit-def: $vgpr22
	v_cmpx_ne_u32_e64 v25, v26
	s_xor_b32 s16, exec_lo, s16
; %bb.2570:                             ;   in Loop: Header=BB6_2469 Depth=3
	v_cmp_lt_u32_e32 vcc_lo, 0xffffff, v24
	v_sub_nc_u32_e32 v22, v25, v26
	v_cndmask_b32_e64 v25, 0, 1, vcc_lo
	v_add_co_ci_u32_e64 v22, null, 0, v22, vcc_lo
	v_lshrrev_b32_e32 v24, v25, v24
; %bb.2571:                             ;   in Loop: Header=BB6_2469 Depth=3
	s_andn2_saveexec_b32 s16, s16
; %bb.2572:                             ;   in Loop: Header=BB6_2469 Depth=3
	v_bfe_u32 v22, v24, 23, 1
; %bb.2573:                             ;   in Loop: Header=BB6_2469 Depth=3
	s_or_b32 exec_lo, exec_lo, s16
	v_lshrrev_b32_e32 v24, 21, v24
	v_cmp_gt_i32_e32 vcc_lo, 32, v22
	v_min_i32_e32 v25, 31, v22
	v_and_b32_sdwa v23, v23, v117 dst_sel:DWORD dst_unused:UNUSED_PAD src0_sel:BYTE_3 src1_sel:DWORD
	v_cndmask_b32_e32 v24, 3, v24, vcc_lo
	v_lshlrev_b32_e32 v25, 2, v25
	v_and_b32_e32 v26, 3, v24
	v_or_b32_e32 v22, v22, v24
	v_or3_b32 v23, v25, v23, v26
	v_cmp_ne_u32_e32 vcc_lo, 0, v22
	v_cndmask_b32_e32 v22, 0, v23, vcc_lo
.LBB6_2574:                             ;   in Loop: Header=BB6_2469 Depth=3
	s_or_b32 exec_lo, exec_lo, s63
.LBB6_2575:                             ;   in Loop: Header=BB6_2469 Depth=3
	s_or_b32 exec_lo, exec_lo, s62
	flat_load_ubyte v23, v[8:9] offset:224 slc
	s_mov_b32 s16, 0
	s_mov_b32 s62, exec_lo
	s_waitcnt vmcnt(0) lgkmcnt(0)
	v_cmpx_lt_i16_e32 0x7f, v23
	s_xor_b32 s62, exec_lo, s62
	s_cbranch_execz .LBB6_2937
; %bb.2576:                             ;   in Loop: Header=BB6_2469 Depth=3
	s_mov_b32 s16, -1
	s_mov_b32 s63, exec_lo
	v_cmpx_eq_u16_e32 0x80, v23
; %bb.2577:                             ;   in Loop: Header=BB6_2469 Depth=3
	s_xor_b32 s16, exec_lo, -1
; %bb.2578:                             ;   in Loop: Header=BB6_2469 Depth=3
	s_or_b32 exec_lo, exec_lo, s63
	s_and_b32 s16, s16, exec_lo
	s_or_saveexec_b32 s62, s62
	v_mov_b32_e32 v24, 0x7f800001
	s_xor_b32 exec_lo, exec_lo, s62
	s_cbranch_execnz .LBB6_2938
.LBB6_2579:                             ;   in Loop: Header=BB6_2469 Depth=3
	s_or_b32 exec_lo, exec_lo, s62
	s_and_saveexec_b32 s62, s16
	s_cbranch_execz .LBB6_2581
.LBB6_2580:                             ;   in Loop: Header=BB6_2469 Depth=3
	v_and_b32_e32 v24, 0xffff, v23
	v_lshlrev_b32_e32 v23, 24, v23
	v_and_b32_e32 v25, 3, v24
	v_bfe_u32 v28, v24, 2, 5
	v_and_b32_e32 v23, 0x80000000, v23
	v_ffbh_u32_e32 v26, v25
	v_cmp_eq_u32_e32 vcc_lo, 0, v28
	v_min_u32_e32 v26, 32, v26
	v_subrev_nc_u32_e32 v27, 29, v26
	v_sub_nc_u32_e32 v26, 30, v26
	v_lshlrev_b32_e32 v24, v27, v24
	v_cndmask_b32_e32 v26, v28, v26, vcc_lo
	v_and_b32_e32 v24, 3, v24
	v_cndmask_b32_e32 v24, v25, v24, vcc_lo
	v_lshl_add_u32 v25, v26, 23, 0x37800000
	v_lshlrev_b32_e32 v24, 21, v24
	v_or3_b32 v24, v23, v25, v24
.LBB6_2581:                             ;   in Loop: Header=BB6_2469 Depth=3
	s_or_b32 exec_lo, exec_lo, s62
	v_mul_f32_e32 v24, v11, v24
	v_and_b32_e32 v23, 0x7f800000, v24
	v_cmp_ne_u32_e32 vcc_lo, 0x7f800000, v23
	v_mov_b32_e32 v23, 0x80
	s_and_saveexec_b32 s62, vcc_lo
	s_cbranch_execz .LBB6_2589
; %bb.2582:                             ;   in Loop: Header=BB6_2469 Depth=3
	v_mov_b32_e32 v23, 0
	s_mov_b32 s63, exec_lo
	v_cmpx_ne_u32_e32 0, v24
	s_cbranch_execz .LBB6_2588
; %bb.2583:                             ;   in Loop: Header=BB6_2469 Depth=3
	v_bfe_u32 v23, v24, 23, 8
	v_and_b32_e32 v25, 0x7fffff, v24
	v_sub_nc_u32_e32 v26, 0x70, v23
	v_cmp_gt_u32_e32 vcc_lo, 0x71, v23
	v_or_b32_e32 v27, 0x800000, v25
	v_cndmask_b32_e32 v26, 0, v26, vcc_lo
	v_cmp_eq_u32_e32 vcc_lo, 0, v23
	v_add_nc_u32_e32 v23, 0xffffff91, v23
	v_cndmask_b32_e64 v26, v26, 0x6f, vcc_lo
	v_cndmask_b32_e32 v25, v27, v25, vcc_lo
	v_cndmask_b32_e64 v23, v23, 0xffffff92, vcc_lo
	v_lshl_add_u32 v27, 0x200000, v26, -1
	v_lshrrev_b32_e32 v28, v26, v25
	v_lshlrev_b32_e64 v30, v26, 0x100000
	v_add_nc_u32_e32 v26, v26, v23
	v_and_b32_e32 v25, v27, v25
	v_bfe_u32 v29, v28, 21, 1
	v_cmp_eq_u32_e64 s16, v25, v30
	v_add_nc_u32_e32 v27, -1, v29
	v_cndmask_b32_e64 v25, 0, v27, s16
	v_lshrrev_b32_e32 v27, 23, v28
	s_mov_b32 s16, exec_lo
	v_add_nc_u32_e32 v25, v25, v28
	v_xor_b32_e32 v27, 1, v27
	v_and_b32_e32 v23, 0x1fffff, v25
	v_add_nc_u32_e32 v25, v23, v28
                                        ; implicit-def: $vgpr23
	v_cmpx_ne_u32_e64 v26, v27
	s_xor_b32 s16, exec_lo, s16
; %bb.2584:                             ;   in Loop: Header=BB6_2469 Depth=3
	v_cmp_lt_u32_e32 vcc_lo, 0xffffff, v25
	v_sub_nc_u32_e32 v23, v26, v27
	v_cndmask_b32_e64 v26, 0, 1, vcc_lo
	v_add_co_ci_u32_e64 v23, null, 0, v23, vcc_lo
	v_lshrrev_b32_e32 v25, v26, v25
; %bb.2585:                             ;   in Loop: Header=BB6_2469 Depth=3
	s_andn2_saveexec_b32 s16, s16
; %bb.2586:                             ;   in Loop: Header=BB6_2469 Depth=3
	v_bfe_u32 v23, v25, 23, 1
; %bb.2587:                             ;   in Loop: Header=BB6_2469 Depth=3
	s_or_b32 exec_lo, exec_lo, s16
	v_lshrrev_b32_e32 v25, 21, v25
	v_cmp_gt_i32_e32 vcc_lo, 32, v23
	v_min_i32_e32 v26, 31, v23
	v_and_b32_sdwa v24, v24, v117 dst_sel:DWORD dst_unused:UNUSED_PAD src0_sel:BYTE_3 src1_sel:DWORD
	v_cndmask_b32_e32 v25, 3, v25, vcc_lo
	v_lshlrev_b32_e32 v26, 2, v26
	v_and_b32_e32 v27, 3, v25
	v_or_b32_e32 v23, v23, v25
	v_or3_b32 v24, v26, v24, v27
	v_cmp_ne_u32_e32 vcc_lo, 0, v23
	v_cndmask_b32_e32 v23, 0, v24, vcc_lo
.LBB6_2588:                             ;   in Loop: Header=BB6_2469 Depth=3
	s_or_b32 exec_lo, exec_lo, s63
.LBB6_2589:                             ;   in Loop: Header=BB6_2469 Depth=3
	s_or_b32 exec_lo, exec_lo, s62
	flat_load_ubyte v24, v[8:9] offset:256 slc
	s_mov_b32 s16, 0
	s_mov_b32 s62, exec_lo
	s_waitcnt vmcnt(0) lgkmcnt(0)
	v_cmpx_lt_i16_e32 0x7f, v24
	s_xor_b32 s62, exec_lo, s62
	s_cbranch_execz .LBB6_2939
; %bb.2590:                             ;   in Loop: Header=BB6_2469 Depth=3
	s_mov_b32 s16, -1
	s_mov_b32 s63, exec_lo
	v_cmpx_eq_u16_e32 0x80, v24
; %bb.2591:                             ;   in Loop: Header=BB6_2469 Depth=3
	s_xor_b32 s16, exec_lo, -1
; %bb.2592:                             ;   in Loop: Header=BB6_2469 Depth=3
	s_or_b32 exec_lo, exec_lo, s63
	s_and_b32 s16, s16, exec_lo
	s_or_saveexec_b32 s62, s62
	v_mov_b32_e32 v25, 0x7f800001
	s_xor_b32 exec_lo, exec_lo, s62
	s_cbranch_execnz .LBB6_2940
.LBB6_2593:                             ;   in Loop: Header=BB6_2469 Depth=3
	s_or_b32 exec_lo, exec_lo, s62
	s_and_saveexec_b32 s62, s16
	s_cbranch_execz .LBB6_2595
.LBB6_2594:                             ;   in Loop: Header=BB6_2469 Depth=3
	v_and_b32_e32 v25, 0xffff, v24
	v_lshlrev_b32_e32 v24, 24, v24
	v_and_b32_e32 v26, 3, v25
	v_bfe_u32 v29, v25, 2, 5
	v_and_b32_e32 v24, 0x80000000, v24
	v_ffbh_u32_e32 v27, v26
	v_cmp_eq_u32_e32 vcc_lo, 0, v29
	v_min_u32_e32 v27, 32, v27
	v_subrev_nc_u32_e32 v28, 29, v27
	v_sub_nc_u32_e32 v27, 30, v27
	v_lshlrev_b32_e32 v25, v28, v25
	v_cndmask_b32_e32 v27, v29, v27, vcc_lo
	v_and_b32_e32 v25, 3, v25
	v_cndmask_b32_e32 v25, v26, v25, vcc_lo
	v_lshl_add_u32 v26, v27, 23, 0x37800000
	v_lshlrev_b32_e32 v25, 21, v25
	v_or3_b32 v25, v24, v26, v25
.LBB6_2595:                             ;   in Loop: Header=BB6_2469 Depth=3
	s_or_b32 exec_lo, exec_lo, s62
	v_mul_f32_e32 v25, v11, v25
	v_and_b32_e32 v24, 0x7f800000, v25
	v_cmp_ne_u32_e32 vcc_lo, 0x7f800000, v24
	v_mov_b32_e32 v24, 0x80
	s_and_saveexec_b32 s62, vcc_lo
	s_cbranch_execz .LBB6_2603
; %bb.2596:                             ;   in Loop: Header=BB6_2469 Depth=3
	v_mov_b32_e32 v24, 0
	s_mov_b32 s63, exec_lo
	v_cmpx_ne_u32_e32 0, v25
	s_cbranch_execz .LBB6_2602
; %bb.2597:                             ;   in Loop: Header=BB6_2469 Depth=3
	v_bfe_u32 v24, v25, 23, 8
	v_and_b32_e32 v26, 0x7fffff, v25
	v_sub_nc_u32_e32 v27, 0x70, v24
	v_cmp_gt_u32_e32 vcc_lo, 0x71, v24
	v_or_b32_e32 v28, 0x800000, v26
	v_cndmask_b32_e32 v27, 0, v27, vcc_lo
	v_cmp_eq_u32_e32 vcc_lo, 0, v24
	v_add_nc_u32_e32 v24, 0xffffff91, v24
	v_cndmask_b32_e64 v27, v27, 0x6f, vcc_lo
	v_cndmask_b32_e32 v26, v28, v26, vcc_lo
	v_cndmask_b32_e64 v24, v24, 0xffffff92, vcc_lo
	v_lshl_add_u32 v28, 0x200000, v27, -1
	v_lshrrev_b32_e32 v29, v27, v26
	v_lshlrev_b32_e64 v31, v27, 0x100000
	v_add_nc_u32_e32 v27, v27, v24
	v_and_b32_e32 v26, v28, v26
	v_bfe_u32 v30, v29, 21, 1
	v_cmp_eq_u32_e64 s16, v26, v31
	v_add_nc_u32_e32 v28, -1, v30
	v_cndmask_b32_e64 v26, 0, v28, s16
	v_lshrrev_b32_e32 v28, 23, v29
	s_mov_b32 s16, exec_lo
	v_add_nc_u32_e32 v26, v26, v29
	v_xor_b32_e32 v28, 1, v28
	v_and_b32_e32 v24, 0x1fffff, v26
	v_add_nc_u32_e32 v26, v24, v29
                                        ; implicit-def: $vgpr24
	v_cmpx_ne_u32_e64 v27, v28
	s_xor_b32 s16, exec_lo, s16
; %bb.2598:                             ;   in Loop: Header=BB6_2469 Depth=3
	v_cmp_lt_u32_e32 vcc_lo, 0xffffff, v26
	v_sub_nc_u32_e32 v24, v27, v28
	v_cndmask_b32_e64 v27, 0, 1, vcc_lo
	v_add_co_ci_u32_e64 v24, null, 0, v24, vcc_lo
	v_lshrrev_b32_e32 v26, v27, v26
; %bb.2599:                             ;   in Loop: Header=BB6_2469 Depth=3
	s_andn2_saveexec_b32 s16, s16
; %bb.2600:                             ;   in Loop: Header=BB6_2469 Depth=3
	v_bfe_u32 v24, v26, 23, 1
; %bb.2601:                             ;   in Loop: Header=BB6_2469 Depth=3
	s_or_b32 exec_lo, exec_lo, s16
	v_lshrrev_b32_e32 v26, 21, v26
	v_cmp_gt_i32_e32 vcc_lo, 32, v24
	v_min_i32_e32 v27, 31, v24
	v_and_b32_sdwa v25, v25, v117 dst_sel:DWORD dst_unused:UNUSED_PAD src0_sel:BYTE_3 src1_sel:DWORD
	v_cndmask_b32_e32 v26, 3, v26, vcc_lo
	v_lshlrev_b32_e32 v27, 2, v27
	v_and_b32_e32 v28, 3, v26
	v_or_b32_e32 v24, v24, v26
	v_or3_b32 v25, v27, v25, v28
	v_cmp_ne_u32_e32 vcc_lo, 0, v24
	v_cndmask_b32_e32 v24, 0, v25, vcc_lo
.LBB6_2602:                             ;   in Loop: Header=BB6_2469 Depth=3
	s_or_b32 exec_lo, exec_lo, s63
.LBB6_2603:                             ;   in Loop: Header=BB6_2469 Depth=3
	s_or_b32 exec_lo, exec_lo, s62
	flat_load_ubyte v25, v[8:9] offset:288 slc
	s_mov_b32 s16, 0
	s_mov_b32 s62, exec_lo
	s_waitcnt vmcnt(0) lgkmcnt(0)
	v_cmpx_lt_i16_e32 0x7f, v25
	s_xor_b32 s62, exec_lo, s62
	s_cbranch_execz .LBB6_2941
; %bb.2604:                             ;   in Loop: Header=BB6_2469 Depth=3
	s_mov_b32 s16, -1
	s_mov_b32 s63, exec_lo
	v_cmpx_eq_u16_e32 0x80, v25
; %bb.2605:                             ;   in Loop: Header=BB6_2469 Depth=3
	s_xor_b32 s16, exec_lo, -1
; %bb.2606:                             ;   in Loop: Header=BB6_2469 Depth=3
	s_or_b32 exec_lo, exec_lo, s63
	s_and_b32 s16, s16, exec_lo
	s_or_saveexec_b32 s62, s62
	v_mov_b32_e32 v26, 0x7f800001
	s_xor_b32 exec_lo, exec_lo, s62
	s_cbranch_execnz .LBB6_2942
.LBB6_2607:                             ;   in Loop: Header=BB6_2469 Depth=3
	s_or_b32 exec_lo, exec_lo, s62
	s_and_saveexec_b32 s62, s16
	s_cbranch_execz .LBB6_2609
.LBB6_2608:                             ;   in Loop: Header=BB6_2469 Depth=3
	v_and_b32_e32 v26, 0xffff, v25
	v_lshlrev_b32_e32 v25, 24, v25
	v_and_b32_e32 v27, 3, v26
	v_bfe_u32 v30, v26, 2, 5
	v_and_b32_e32 v25, 0x80000000, v25
	v_ffbh_u32_e32 v28, v27
	v_cmp_eq_u32_e32 vcc_lo, 0, v30
	v_min_u32_e32 v28, 32, v28
	v_subrev_nc_u32_e32 v29, 29, v28
	v_sub_nc_u32_e32 v28, 30, v28
	v_lshlrev_b32_e32 v26, v29, v26
	v_cndmask_b32_e32 v28, v30, v28, vcc_lo
	v_and_b32_e32 v26, 3, v26
	v_cndmask_b32_e32 v26, v27, v26, vcc_lo
	v_lshl_add_u32 v27, v28, 23, 0x37800000
	v_lshlrev_b32_e32 v26, 21, v26
	v_or3_b32 v26, v25, v27, v26
.LBB6_2609:                             ;   in Loop: Header=BB6_2469 Depth=3
	s_or_b32 exec_lo, exec_lo, s62
	v_mul_f32_e32 v26, v11, v26
	v_and_b32_e32 v25, 0x7f800000, v26
	v_cmp_ne_u32_e32 vcc_lo, 0x7f800000, v25
	v_mov_b32_e32 v25, 0x80
	s_and_saveexec_b32 s62, vcc_lo
	s_cbranch_execz .LBB6_2617
; %bb.2610:                             ;   in Loop: Header=BB6_2469 Depth=3
	v_mov_b32_e32 v25, 0
	s_mov_b32 s63, exec_lo
	v_cmpx_ne_u32_e32 0, v26
	s_cbranch_execz .LBB6_2616
; %bb.2611:                             ;   in Loop: Header=BB6_2469 Depth=3
	v_bfe_u32 v25, v26, 23, 8
	v_and_b32_e32 v27, 0x7fffff, v26
	v_sub_nc_u32_e32 v28, 0x70, v25
	v_cmp_gt_u32_e32 vcc_lo, 0x71, v25
	v_or_b32_e32 v29, 0x800000, v27
	v_cndmask_b32_e32 v28, 0, v28, vcc_lo
	v_cmp_eq_u32_e32 vcc_lo, 0, v25
	v_add_nc_u32_e32 v25, 0xffffff91, v25
	v_cndmask_b32_e64 v28, v28, 0x6f, vcc_lo
	v_cndmask_b32_e32 v27, v29, v27, vcc_lo
	v_cndmask_b32_e64 v25, v25, 0xffffff92, vcc_lo
	v_lshl_add_u32 v29, 0x200000, v28, -1
	v_lshrrev_b32_e32 v30, v28, v27
	v_lshlrev_b32_e64 v36, v28, 0x100000
	v_add_nc_u32_e32 v28, v28, v25
	v_and_b32_e32 v27, v29, v27
	v_bfe_u32 v31, v30, 21, 1
	v_cmp_eq_u32_e64 s16, v27, v36
	v_add_nc_u32_e32 v29, -1, v31
	v_cndmask_b32_e64 v27, 0, v29, s16
	v_lshrrev_b32_e32 v29, 23, v30
	s_mov_b32 s16, exec_lo
	v_add_nc_u32_e32 v27, v27, v30
	v_xor_b32_e32 v29, 1, v29
	v_and_b32_e32 v25, 0x1fffff, v27
	v_add_nc_u32_e32 v27, v25, v30
                                        ; implicit-def: $vgpr25
	v_cmpx_ne_u32_e64 v28, v29
	s_xor_b32 s16, exec_lo, s16
; %bb.2612:                             ;   in Loop: Header=BB6_2469 Depth=3
	v_cmp_lt_u32_e32 vcc_lo, 0xffffff, v27
	v_sub_nc_u32_e32 v25, v28, v29
	v_cndmask_b32_e64 v28, 0, 1, vcc_lo
	v_add_co_ci_u32_e64 v25, null, 0, v25, vcc_lo
	v_lshrrev_b32_e32 v27, v28, v27
; %bb.2613:                             ;   in Loop: Header=BB6_2469 Depth=3
	s_andn2_saveexec_b32 s16, s16
; %bb.2614:                             ;   in Loop: Header=BB6_2469 Depth=3
	v_bfe_u32 v25, v27, 23, 1
; %bb.2615:                             ;   in Loop: Header=BB6_2469 Depth=3
	s_or_b32 exec_lo, exec_lo, s16
	v_lshrrev_b32_e32 v27, 21, v27
	v_cmp_gt_i32_e32 vcc_lo, 32, v25
	v_min_i32_e32 v28, 31, v25
	v_and_b32_sdwa v26, v26, v117 dst_sel:DWORD dst_unused:UNUSED_PAD src0_sel:BYTE_3 src1_sel:DWORD
	v_cndmask_b32_e32 v27, 3, v27, vcc_lo
	v_lshlrev_b32_e32 v28, 2, v28
	v_and_b32_e32 v29, 3, v27
	v_or_b32_e32 v25, v25, v27
	v_or3_b32 v26, v28, v26, v29
	v_cmp_ne_u32_e32 vcc_lo, 0, v25
	v_cndmask_b32_e32 v25, 0, v26, vcc_lo
.LBB6_2616:                             ;   in Loop: Header=BB6_2469 Depth=3
	s_or_b32 exec_lo, exec_lo, s63
.LBB6_2617:                             ;   in Loop: Header=BB6_2469 Depth=3
	s_or_b32 exec_lo, exec_lo, s62
	flat_load_ubyte v26, v[8:9] offset:320 slc
	s_mov_b32 s16, 0
	s_mov_b32 s62, exec_lo
	s_waitcnt vmcnt(0) lgkmcnt(0)
	v_cmpx_lt_i16_e32 0x7f, v26
	s_xor_b32 s62, exec_lo, s62
	s_cbranch_execz .LBB6_2943
; %bb.2618:                             ;   in Loop: Header=BB6_2469 Depth=3
	s_mov_b32 s16, -1
	s_mov_b32 s63, exec_lo
	v_cmpx_eq_u16_e32 0x80, v26
; %bb.2619:                             ;   in Loop: Header=BB6_2469 Depth=3
	s_xor_b32 s16, exec_lo, -1
; %bb.2620:                             ;   in Loop: Header=BB6_2469 Depth=3
	s_or_b32 exec_lo, exec_lo, s63
	s_and_b32 s16, s16, exec_lo
	s_or_saveexec_b32 s62, s62
	v_mov_b32_e32 v27, 0x7f800001
	s_xor_b32 exec_lo, exec_lo, s62
	s_cbranch_execnz .LBB6_2944
.LBB6_2621:                             ;   in Loop: Header=BB6_2469 Depth=3
	s_or_b32 exec_lo, exec_lo, s62
	s_and_saveexec_b32 s62, s16
	s_cbranch_execz .LBB6_2623
.LBB6_2622:                             ;   in Loop: Header=BB6_2469 Depth=3
	v_and_b32_e32 v27, 0xffff, v26
	v_lshlrev_b32_e32 v26, 24, v26
	v_and_b32_e32 v28, 3, v27
	v_bfe_u32 v31, v27, 2, 5
	v_and_b32_e32 v26, 0x80000000, v26
	v_ffbh_u32_e32 v29, v28
	v_cmp_eq_u32_e32 vcc_lo, 0, v31
	v_min_u32_e32 v29, 32, v29
	v_subrev_nc_u32_e32 v30, 29, v29
	v_sub_nc_u32_e32 v29, 30, v29
	v_lshlrev_b32_e32 v27, v30, v27
	v_cndmask_b32_e32 v29, v31, v29, vcc_lo
	v_and_b32_e32 v27, 3, v27
	v_cndmask_b32_e32 v27, v28, v27, vcc_lo
	v_lshl_add_u32 v28, v29, 23, 0x37800000
	v_lshlrev_b32_e32 v27, 21, v27
	v_or3_b32 v27, v26, v28, v27
.LBB6_2623:                             ;   in Loop: Header=BB6_2469 Depth=3
	s_or_b32 exec_lo, exec_lo, s62
	v_mul_f32_e32 v27, v11, v27
	v_and_b32_e32 v26, 0x7f800000, v27
	v_cmp_ne_u32_e32 vcc_lo, 0x7f800000, v26
	v_mov_b32_e32 v26, 0x80
	s_and_saveexec_b32 s62, vcc_lo
	s_cbranch_execz .LBB6_2631
; %bb.2624:                             ;   in Loop: Header=BB6_2469 Depth=3
	v_mov_b32_e32 v26, 0
	s_mov_b32 s63, exec_lo
	v_cmpx_ne_u32_e32 0, v27
	s_cbranch_execz .LBB6_2630
; %bb.2625:                             ;   in Loop: Header=BB6_2469 Depth=3
	v_bfe_u32 v26, v27, 23, 8
	v_and_b32_e32 v28, 0x7fffff, v27
	v_sub_nc_u32_e32 v29, 0x70, v26
	v_cmp_gt_u32_e32 vcc_lo, 0x71, v26
	v_or_b32_e32 v30, 0x800000, v28
	v_cndmask_b32_e32 v29, 0, v29, vcc_lo
	v_cmp_eq_u32_e32 vcc_lo, 0, v26
	v_add_nc_u32_e32 v26, 0xffffff91, v26
	v_cndmask_b32_e64 v29, v29, 0x6f, vcc_lo
	v_cndmask_b32_e32 v28, v30, v28, vcc_lo
	v_cndmask_b32_e64 v26, v26, 0xffffff92, vcc_lo
	v_lshl_add_u32 v30, 0x200000, v29, -1
	v_lshrrev_b32_e32 v31, v29, v28
	v_lshlrev_b32_e64 v37, v29, 0x100000
	v_add_nc_u32_e32 v29, v29, v26
	v_and_b32_e32 v28, v30, v28
	v_bfe_u32 v36, v31, 21, 1
	v_cmp_eq_u32_e64 s16, v28, v37
	v_add_nc_u32_e32 v30, -1, v36
	v_cndmask_b32_e64 v28, 0, v30, s16
	v_lshrrev_b32_e32 v30, 23, v31
	s_mov_b32 s16, exec_lo
	v_add_nc_u32_e32 v28, v28, v31
	v_xor_b32_e32 v30, 1, v30
	v_and_b32_e32 v26, 0x1fffff, v28
	v_add_nc_u32_e32 v28, v26, v31
                                        ; implicit-def: $vgpr26
	v_cmpx_ne_u32_e64 v29, v30
	s_xor_b32 s16, exec_lo, s16
; %bb.2626:                             ;   in Loop: Header=BB6_2469 Depth=3
	v_cmp_lt_u32_e32 vcc_lo, 0xffffff, v28
	v_sub_nc_u32_e32 v26, v29, v30
	v_cndmask_b32_e64 v29, 0, 1, vcc_lo
	v_add_co_ci_u32_e64 v26, null, 0, v26, vcc_lo
	v_lshrrev_b32_e32 v28, v29, v28
; %bb.2627:                             ;   in Loop: Header=BB6_2469 Depth=3
	s_andn2_saveexec_b32 s16, s16
; %bb.2628:                             ;   in Loop: Header=BB6_2469 Depth=3
	v_bfe_u32 v26, v28, 23, 1
; %bb.2629:                             ;   in Loop: Header=BB6_2469 Depth=3
	s_or_b32 exec_lo, exec_lo, s16
	v_lshrrev_b32_e32 v28, 21, v28
	v_cmp_gt_i32_e32 vcc_lo, 32, v26
	v_min_i32_e32 v29, 31, v26
	v_and_b32_sdwa v27, v27, v117 dst_sel:DWORD dst_unused:UNUSED_PAD src0_sel:BYTE_3 src1_sel:DWORD
	v_cndmask_b32_e32 v28, 3, v28, vcc_lo
	v_lshlrev_b32_e32 v29, 2, v29
	v_and_b32_e32 v30, 3, v28
	v_or_b32_e32 v26, v26, v28
	v_or3_b32 v27, v29, v27, v30
	v_cmp_ne_u32_e32 vcc_lo, 0, v26
	v_cndmask_b32_e32 v26, 0, v27, vcc_lo
.LBB6_2630:                             ;   in Loop: Header=BB6_2469 Depth=3
	s_or_b32 exec_lo, exec_lo, s63
.LBB6_2631:                             ;   in Loop: Header=BB6_2469 Depth=3
	s_or_b32 exec_lo, exec_lo, s62
	flat_load_ubyte v27, v[8:9] offset:352 slc
	s_mov_b32 s16, 0
	s_mov_b32 s62, exec_lo
	s_waitcnt vmcnt(0) lgkmcnt(0)
	v_cmpx_lt_i16_e32 0x7f, v27
	s_xor_b32 s62, exec_lo, s62
	s_cbranch_execz .LBB6_2945
; %bb.2632:                             ;   in Loop: Header=BB6_2469 Depth=3
	s_mov_b32 s16, -1
	s_mov_b32 s63, exec_lo
	v_cmpx_eq_u16_e32 0x80, v27
; %bb.2633:                             ;   in Loop: Header=BB6_2469 Depth=3
	s_xor_b32 s16, exec_lo, -1
; %bb.2634:                             ;   in Loop: Header=BB6_2469 Depth=3
	s_or_b32 exec_lo, exec_lo, s63
	s_and_b32 s16, s16, exec_lo
	s_or_saveexec_b32 s62, s62
	v_mov_b32_e32 v28, 0x7f800001
	s_xor_b32 exec_lo, exec_lo, s62
	s_cbranch_execnz .LBB6_2946
.LBB6_2635:                             ;   in Loop: Header=BB6_2469 Depth=3
	s_or_b32 exec_lo, exec_lo, s62
	s_and_saveexec_b32 s62, s16
	s_cbranch_execz .LBB6_2637
.LBB6_2636:                             ;   in Loop: Header=BB6_2469 Depth=3
	v_and_b32_e32 v28, 0xffff, v27
	v_lshlrev_b32_e32 v27, 24, v27
	v_and_b32_e32 v29, 3, v28
	v_bfe_u32 v36, v28, 2, 5
	v_and_b32_e32 v27, 0x80000000, v27
	v_ffbh_u32_e32 v30, v29
	v_cmp_eq_u32_e32 vcc_lo, 0, v36
	v_min_u32_e32 v30, 32, v30
	v_subrev_nc_u32_e32 v31, 29, v30
	v_sub_nc_u32_e32 v30, 30, v30
	v_lshlrev_b32_e32 v28, v31, v28
	v_cndmask_b32_e32 v30, v36, v30, vcc_lo
	v_and_b32_e32 v28, 3, v28
	v_cndmask_b32_e32 v28, v29, v28, vcc_lo
	v_lshl_add_u32 v29, v30, 23, 0x37800000
	v_lshlrev_b32_e32 v28, 21, v28
	v_or3_b32 v28, v27, v29, v28
.LBB6_2637:                             ;   in Loop: Header=BB6_2469 Depth=3
	s_or_b32 exec_lo, exec_lo, s62
	v_mul_f32_e32 v28, v11, v28
	v_and_b32_e32 v27, 0x7f800000, v28
	v_cmp_ne_u32_e32 vcc_lo, 0x7f800000, v27
	v_mov_b32_e32 v27, 0x80
	s_and_saveexec_b32 s62, vcc_lo
	s_cbranch_execz .LBB6_2645
; %bb.2638:                             ;   in Loop: Header=BB6_2469 Depth=3
	v_mov_b32_e32 v27, 0
	s_mov_b32 s63, exec_lo
	v_cmpx_ne_u32_e32 0, v28
	s_cbranch_execz .LBB6_2644
; %bb.2639:                             ;   in Loop: Header=BB6_2469 Depth=3
	v_bfe_u32 v27, v28, 23, 8
	v_and_b32_e32 v29, 0x7fffff, v28
	v_sub_nc_u32_e32 v30, 0x70, v27
	v_cmp_gt_u32_e32 vcc_lo, 0x71, v27
	v_or_b32_e32 v31, 0x800000, v29
	v_cndmask_b32_e32 v30, 0, v30, vcc_lo
	v_cmp_eq_u32_e32 vcc_lo, 0, v27
	v_add_nc_u32_e32 v27, 0xffffff91, v27
	v_cndmask_b32_e64 v30, v30, 0x6f, vcc_lo
	v_cndmask_b32_e32 v29, v31, v29, vcc_lo
	v_cndmask_b32_e64 v27, v27, 0xffffff92, vcc_lo
	v_lshl_add_u32 v31, 0x200000, v30, -1
	v_lshrrev_b32_e32 v36, v30, v29
	v_lshlrev_b32_e64 v50, v30, 0x100000
	v_add_nc_u32_e32 v30, v30, v27
	v_and_b32_e32 v29, v31, v29
	v_bfe_u32 v37, v36, 21, 1
	v_cmp_eq_u32_e64 s16, v29, v50
	v_add_nc_u32_e32 v31, -1, v37
	v_cndmask_b32_e64 v29, 0, v31, s16
	v_lshrrev_b32_e32 v31, 23, v36
	s_mov_b32 s16, exec_lo
	v_add_nc_u32_e32 v29, v29, v36
	v_xor_b32_e32 v31, 1, v31
	v_and_b32_e32 v27, 0x1fffff, v29
	v_add_nc_u32_e32 v29, v27, v36
                                        ; implicit-def: $vgpr27
	v_cmpx_ne_u32_e64 v30, v31
	s_xor_b32 s16, exec_lo, s16
; %bb.2640:                             ;   in Loop: Header=BB6_2469 Depth=3
	v_cmp_lt_u32_e32 vcc_lo, 0xffffff, v29
	v_sub_nc_u32_e32 v27, v30, v31
	v_cndmask_b32_e64 v30, 0, 1, vcc_lo
	v_add_co_ci_u32_e64 v27, null, 0, v27, vcc_lo
	v_lshrrev_b32_e32 v29, v30, v29
; %bb.2641:                             ;   in Loop: Header=BB6_2469 Depth=3
	s_andn2_saveexec_b32 s16, s16
; %bb.2642:                             ;   in Loop: Header=BB6_2469 Depth=3
	v_bfe_u32 v27, v29, 23, 1
; %bb.2643:                             ;   in Loop: Header=BB6_2469 Depth=3
	s_or_b32 exec_lo, exec_lo, s16
	v_lshrrev_b32_e32 v29, 21, v29
	v_cmp_gt_i32_e32 vcc_lo, 32, v27
	v_min_i32_e32 v30, 31, v27
	v_and_b32_sdwa v28, v28, v117 dst_sel:DWORD dst_unused:UNUSED_PAD src0_sel:BYTE_3 src1_sel:DWORD
	v_cndmask_b32_e32 v29, 3, v29, vcc_lo
	v_lshlrev_b32_e32 v30, 2, v30
	v_and_b32_e32 v31, 3, v29
	v_or_b32_e32 v27, v27, v29
	v_or3_b32 v28, v30, v28, v31
	v_cmp_ne_u32_e32 vcc_lo, 0, v27
	v_cndmask_b32_e32 v27, 0, v28, vcc_lo
.LBB6_2644:                             ;   in Loop: Header=BB6_2469 Depth=3
	s_or_b32 exec_lo, exec_lo, s63
.LBB6_2645:                             ;   in Loop: Header=BB6_2469 Depth=3
	s_or_b32 exec_lo, exec_lo, s62
	flat_load_ubyte v28, v[8:9] offset:384 slc
	s_mov_b32 s16, 0
	s_mov_b32 s62, exec_lo
	s_waitcnt vmcnt(0) lgkmcnt(0)
	v_cmpx_lt_i16_e32 0x7f, v28
	s_xor_b32 s62, exec_lo, s62
	s_cbranch_execz .LBB6_2947
; %bb.2646:                             ;   in Loop: Header=BB6_2469 Depth=3
	s_mov_b32 s16, -1
	s_mov_b32 s63, exec_lo
	v_cmpx_eq_u16_e32 0x80, v28
; %bb.2647:                             ;   in Loop: Header=BB6_2469 Depth=3
	s_xor_b32 s16, exec_lo, -1
; %bb.2648:                             ;   in Loop: Header=BB6_2469 Depth=3
	s_or_b32 exec_lo, exec_lo, s63
	s_and_b32 s16, s16, exec_lo
	s_or_saveexec_b32 s62, s62
	v_mov_b32_e32 v29, 0x7f800001
	s_xor_b32 exec_lo, exec_lo, s62
	s_cbranch_execnz .LBB6_2948
.LBB6_2649:                             ;   in Loop: Header=BB6_2469 Depth=3
	s_or_b32 exec_lo, exec_lo, s62
	s_and_saveexec_b32 s62, s16
	s_cbranch_execz .LBB6_2651
.LBB6_2650:                             ;   in Loop: Header=BB6_2469 Depth=3
	v_and_b32_e32 v29, 0xffff, v28
	v_lshlrev_b32_e32 v28, 24, v28
	v_and_b32_e32 v30, 3, v29
	v_bfe_u32 v37, v29, 2, 5
	v_and_b32_e32 v28, 0x80000000, v28
	v_ffbh_u32_e32 v31, v30
	v_cmp_eq_u32_e32 vcc_lo, 0, v37
	v_min_u32_e32 v31, 32, v31
	v_subrev_nc_u32_e32 v36, 29, v31
	v_sub_nc_u32_e32 v31, 30, v31
	v_lshlrev_b32_e32 v29, v36, v29
	v_cndmask_b32_e32 v31, v37, v31, vcc_lo
	v_and_b32_e32 v29, 3, v29
	v_cndmask_b32_e32 v29, v30, v29, vcc_lo
	v_lshl_add_u32 v30, v31, 23, 0x37800000
	v_lshlrev_b32_e32 v29, 21, v29
	v_or3_b32 v29, v28, v30, v29
.LBB6_2651:                             ;   in Loop: Header=BB6_2469 Depth=3
	s_or_b32 exec_lo, exec_lo, s62
	v_mul_f32_e32 v29, v11, v29
	v_and_b32_e32 v28, 0x7f800000, v29
	v_cmp_ne_u32_e32 vcc_lo, 0x7f800000, v28
	v_mov_b32_e32 v28, 0x80
	s_and_saveexec_b32 s62, vcc_lo
	s_cbranch_execz .LBB6_2659
; %bb.2652:                             ;   in Loop: Header=BB6_2469 Depth=3
	v_mov_b32_e32 v28, 0
	s_mov_b32 s63, exec_lo
	v_cmpx_ne_u32_e32 0, v29
	s_cbranch_execz .LBB6_2658
; %bb.2653:                             ;   in Loop: Header=BB6_2469 Depth=3
	v_bfe_u32 v28, v29, 23, 8
	v_and_b32_e32 v30, 0x7fffff, v29
	v_sub_nc_u32_e32 v31, 0x70, v28
	v_cmp_gt_u32_e32 vcc_lo, 0x71, v28
	v_or_b32_e32 v36, 0x800000, v30
	v_cndmask_b32_e32 v31, 0, v31, vcc_lo
	v_cmp_eq_u32_e32 vcc_lo, 0, v28
	v_add_nc_u32_e32 v28, 0xffffff91, v28
	v_cndmask_b32_e64 v31, v31, 0x6f, vcc_lo
	v_cndmask_b32_e32 v30, v36, v30, vcc_lo
	v_cndmask_b32_e64 v28, v28, 0xffffff92, vcc_lo
	v_lshl_add_u32 v36, 0x200000, v31, -1
	v_lshrrev_b32_e32 v37, v31, v30
	v_lshlrev_b32_e64 v51, v31, 0x100000
	v_add_nc_u32_e32 v31, v31, v28
	v_and_b32_e32 v30, v36, v30
	v_bfe_u32 v50, v37, 21, 1
	v_cmp_eq_u32_e64 s16, v30, v51
	v_add_nc_u32_e32 v36, -1, v50
	v_cndmask_b32_e64 v30, 0, v36, s16
	v_lshrrev_b32_e32 v36, 23, v37
	s_mov_b32 s16, exec_lo
	v_add_nc_u32_e32 v30, v30, v37
	v_xor_b32_e32 v36, 1, v36
	v_and_b32_e32 v28, 0x1fffff, v30
	v_add_nc_u32_e32 v30, v28, v37
                                        ; implicit-def: $vgpr28
	v_cmpx_ne_u32_e64 v31, v36
	s_xor_b32 s16, exec_lo, s16
; %bb.2654:                             ;   in Loop: Header=BB6_2469 Depth=3
	v_cmp_lt_u32_e32 vcc_lo, 0xffffff, v30
	v_sub_nc_u32_e32 v28, v31, v36
	v_cndmask_b32_e64 v31, 0, 1, vcc_lo
	v_add_co_ci_u32_e64 v28, null, 0, v28, vcc_lo
	v_lshrrev_b32_e32 v30, v31, v30
; %bb.2655:                             ;   in Loop: Header=BB6_2469 Depth=3
	s_andn2_saveexec_b32 s16, s16
; %bb.2656:                             ;   in Loop: Header=BB6_2469 Depth=3
	v_bfe_u32 v28, v30, 23, 1
; %bb.2657:                             ;   in Loop: Header=BB6_2469 Depth=3
	s_or_b32 exec_lo, exec_lo, s16
	v_lshrrev_b32_e32 v30, 21, v30
	v_cmp_gt_i32_e32 vcc_lo, 32, v28
	v_min_i32_e32 v31, 31, v28
	v_and_b32_sdwa v29, v29, v117 dst_sel:DWORD dst_unused:UNUSED_PAD src0_sel:BYTE_3 src1_sel:DWORD
	v_cndmask_b32_e32 v30, 3, v30, vcc_lo
	v_lshlrev_b32_e32 v31, 2, v31
	v_and_b32_e32 v36, 3, v30
	v_or_b32_e32 v28, v28, v30
	v_or3_b32 v29, v31, v29, v36
	v_cmp_ne_u32_e32 vcc_lo, 0, v28
	v_cndmask_b32_e32 v28, 0, v29, vcc_lo
.LBB6_2658:                             ;   in Loop: Header=BB6_2469 Depth=3
	s_or_b32 exec_lo, exec_lo, s63
.LBB6_2659:                             ;   in Loop: Header=BB6_2469 Depth=3
	s_or_b32 exec_lo, exec_lo, s62
	flat_load_ubyte v29, v[8:9] offset:416 slc
	s_mov_b32 s16, 0
	s_mov_b32 s62, exec_lo
	s_waitcnt vmcnt(0) lgkmcnt(0)
	v_cmpx_lt_i16_e32 0x7f, v29
	s_xor_b32 s62, exec_lo, s62
	s_cbranch_execz .LBB6_2949
; %bb.2660:                             ;   in Loop: Header=BB6_2469 Depth=3
	s_mov_b32 s16, -1
	s_mov_b32 s63, exec_lo
	v_cmpx_eq_u16_e32 0x80, v29
; %bb.2661:                             ;   in Loop: Header=BB6_2469 Depth=3
	s_xor_b32 s16, exec_lo, -1
; %bb.2662:                             ;   in Loop: Header=BB6_2469 Depth=3
	s_or_b32 exec_lo, exec_lo, s63
	s_and_b32 s16, s16, exec_lo
	s_or_saveexec_b32 s62, s62
	v_mov_b32_e32 v30, 0x7f800001
	s_xor_b32 exec_lo, exec_lo, s62
	s_cbranch_execnz .LBB6_2950
.LBB6_2663:                             ;   in Loop: Header=BB6_2469 Depth=3
	s_or_b32 exec_lo, exec_lo, s62
	s_and_saveexec_b32 s62, s16
	s_cbranch_execz .LBB6_2665
.LBB6_2664:                             ;   in Loop: Header=BB6_2469 Depth=3
	v_and_b32_e32 v30, 0xffff, v29
	v_lshlrev_b32_e32 v29, 24, v29
	v_and_b32_e32 v31, 3, v30
	v_bfe_u32 v50, v30, 2, 5
	v_and_b32_e32 v29, 0x80000000, v29
	v_ffbh_u32_e32 v36, v31
	v_cmp_eq_u32_e32 vcc_lo, 0, v50
	v_min_u32_e32 v36, 32, v36
	v_subrev_nc_u32_e32 v37, 29, v36
	v_sub_nc_u32_e32 v36, 30, v36
	v_lshlrev_b32_e32 v30, v37, v30
	v_cndmask_b32_e32 v36, v50, v36, vcc_lo
	v_and_b32_e32 v30, 3, v30
	v_cndmask_b32_e32 v30, v31, v30, vcc_lo
	v_lshl_add_u32 v31, v36, 23, 0x37800000
	v_lshlrev_b32_e32 v30, 21, v30
	v_or3_b32 v30, v29, v31, v30
.LBB6_2665:                             ;   in Loop: Header=BB6_2469 Depth=3
	s_or_b32 exec_lo, exec_lo, s62
	v_mul_f32_e32 v30, v11, v30
	v_and_b32_e32 v29, 0x7f800000, v30
	v_cmp_ne_u32_e32 vcc_lo, 0x7f800000, v29
	v_mov_b32_e32 v29, 0x80
	s_and_saveexec_b32 s62, vcc_lo
	s_cbranch_execz .LBB6_2673
; %bb.2666:                             ;   in Loop: Header=BB6_2469 Depth=3
	v_mov_b32_e32 v29, 0
	s_mov_b32 s63, exec_lo
	v_cmpx_ne_u32_e32 0, v30
	s_cbranch_execz .LBB6_2672
; %bb.2667:                             ;   in Loop: Header=BB6_2469 Depth=3
	v_bfe_u32 v29, v30, 23, 8
	v_and_b32_e32 v31, 0x7fffff, v30
	v_sub_nc_u32_e32 v36, 0x70, v29
	v_cmp_gt_u32_e32 vcc_lo, 0x71, v29
	v_or_b32_e32 v37, 0x800000, v31
	v_cndmask_b32_e32 v36, 0, v36, vcc_lo
	v_cmp_eq_u32_e32 vcc_lo, 0, v29
	v_add_nc_u32_e32 v29, 0xffffff91, v29
	v_cndmask_b32_e64 v36, v36, 0x6f, vcc_lo
	v_cndmask_b32_e32 v31, v37, v31, vcc_lo
	v_cndmask_b32_e64 v29, v29, 0xffffff92, vcc_lo
	v_lshl_add_u32 v37, 0x200000, v36, -1
	v_lshrrev_b32_e32 v50, v36, v31
	v_lshlrev_b32_e64 v52, v36, 0x100000
	v_add_nc_u32_e32 v36, v36, v29
	v_and_b32_e32 v31, v37, v31
	v_bfe_u32 v51, v50, 21, 1
	v_cmp_eq_u32_e64 s16, v31, v52
	v_add_nc_u32_e32 v37, -1, v51
	v_cndmask_b32_e64 v31, 0, v37, s16
	v_lshrrev_b32_e32 v37, 23, v50
	s_mov_b32 s16, exec_lo
	v_add_nc_u32_e32 v31, v31, v50
	v_xor_b32_e32 v37, 1, v37
	v_and_b32_e32 v29, 0x1fffff, v31
	v_add_nc_u32_e32 v31, v29, v50
                                        ; implicit-def: $vgpr29
	v_cmpx_ne_u32_e64 v36, v37
	s_xor_b32 s16, exec_lo, s16
; %bb.2668:                             ;   in Loop: Header=BB6_2469 Depth=3
	v_cmp_lt_u32_e32 vcc_lo, 0xffffff, v31
	v_sub_nc_u32_e32 v29, v36, v37
	v_cndmask_b32_e64 v36, 0, 1, vcc_lo
	v_add_co_ci_u32_e64 v29, null, 0, v29, vcc_lo
	v_lshrrev_b32_e32 v31, v36, v31
; %bb.2669:                             ;   in Loop: Header=BB6_2469 Depth=3
	s_andn2_saveexec_b32 s16, s16
; %bb.2670:                             ;   in Loop: Header=BB6_2469 Depth=3
	v_bfe_u32 v29, v31, 23, 1
; %bb.2671:                             ;   in Loop: Header=BB6_2469 Depth=3
	s_or_b32 exec_lo, exec_lo, s16
	v_lshrrev_b32_e32 v31, 21, v31
	v_cmp_gt_i32_e32 vcc_lo, 32, v29
	v_min_i32_e32 v36, 31, v29
	v_and_b32_sdwa v30, v30, v117 dst_sel:DWORD dst_unused:UNUSED_PAD src0_sel:BYTE_3 src1_sel:DWORD
	v_cndmask_b32_e32 v31, 3, v31, vcc_lo
	v_lshlrev_b32_e32 v36, 2, v36
	v_and_b32_e32 v37, 3, v31
	v_or_b32_e32 v29, v29, v31
	v_or3_b32 v30, v36, v30, v37
	v_cmp_ne_u32_e32 vcc_lo, 0, v29
	v_cndmask_b32_e32 v29, 0, v30, vcc_lo
.LBB6_2672:                             ;   in Loop: Header=BB6_2469 Depth=3
	s_or_b32 exec_lo, exec_lo, s63
.LBB6_2673:                             ;   in Loop: Header=BB6_2469 Depth=3
	s_or_b32 exec_lo, exec_lo, s62
	flat_load_ubyte v30, v[8:9] offset:448 slc
	s_mov_b32 s16, 0
	s_mov_b32 s62, exec_lo
	s_waitcnt vmcnt(0) lgkmcnt(0)
	v_cmpx_lt_i16_e32 0x7f, v30
	s_xor_b32 s62, exec_lo, s62
	s_cbranch_execz .LBB6_2951
; %bb.2674:                             ;   in Loop: Header=BB6_2469 Depth=3
	s_mov_b32 s16, -1
	s_mov_b32 s63, exec_lo
	v_cmpx_eq_u16_e32 0x80, v30
; %bb.2675:                             ;   in Loop: Header=BB6_2469 Depth=3
	s_xor_b32 s16, exec_lo, -1
; %bb.2676:                             ;   in Loop: Header=BB6_2469 Depth=3
	s_or_b32 exec_lo, exec_lo, s63
	s_and_b32 s16, s16, exec_lo
	s_or_saveexec_b32 s62, s62
	v_mov_b32_e32 v31, 0x7f800001
	s_xor_b32 exec_lo, exec_lo, s62
	s_cbranch_execnz .LBB6_2952
.LBB6_2677:                             ;   in Loop: Header=BB6_2469 Depth=3
	s_or_b32 exec_lo, exec_lo, s62
	s_and_saveexec_b32 s62, s16
	s_cbranch_execz .LBB6_2679
.LBB6_2678:                             ;   in Loop: Header=BB6_2469 Depth=3
	v_and_b32_e32 v31, 0xffff, v30
	v_lshlrev_b32_e32 v30, 24, v30
	v_and_b32_e32 v36, 3, v31
	v_bfe_u32 v51, v31, 2, 5
	v_and_b32_e32 v30, 0x80000000, v30
	v_ffbh_u32_e32 v37, v36
	v_cmp_eq_u32_e32 vcc_lo, 0, v51
	v_min_u32_e32 v37, 32, v37
	v_subrev_nc_u32_e32 v50, 29, v37
	v_sub_nc_u32_e32 v37, 30, v37
	v_lshlrev_b32_e32 v31, v50, v31
	v_cndmask_b32_e32 v37, v51, v37, vcc_lo
	v_and_b32_e32 v31, 3, v31
	v_cndmask_b32_e32 v31, v36, v31, vcc_lo
	v_lshl_add_u32 v36, v37, 23, 0x37800000
	v_lshlrev_b32_e32 v31, 21, v31
	v_or3_b32 v31, v30, v36, v31
.LBB6_2679:                             ;   in Loop: Header=BB6_2469 Depth=3
	s_or_b32 exec_lo, exec_lo, s62
	v_mul_f32_e32 v31, v11, v31
	v_and_b32_e32 v30, 0x7f800000, v31
	v_cmp_ne_u32_e32 vcc_lo, 0x7f800000, v30
	v_mov_b32_e32 v30, 0x80
	s_and_saveexec_b32 s62, vcc_lo
	s_cbranch_execz .LBB6_2687
; %bb.2680:                             ;   in Loop: Header=BB6_2469 Depth=3
	v_mov_b32_e32 v30, 0
	s_mov_b32 s63, exec_lo
	v_cmpx_ne_u32_e32 0, v31
	s_cbranch_execz .LBB6_2686
; %bb.2681:                             ;   in Loop: Header=BB6_2469 Depth=3
	v_bfe_u32 v30, v31, 23, 8
	v_and_b32_e32 v36, 0x7fffff, v31
	v_sub_nc_u32_e32 v37, 0x70, v30
	v_cmp_gt_u32_e32 vcc_lo, 0x71, v30
	v_or_b32_e32 v50, 0x800000, v36
	v_cndmask_b32_e32 v37, 0, v37, vcc_lo
	v_cmp_eq_u32_e32 vcc_lo, 0, v30
	v_add_nc_u32_e32 v30, 0xffffff91, v30
	v_cndmask_b32_e64 v37, v37, 0x6f, vcc_lo
	v_cndmask_b32_e32 v36, v50, v36, vcc_lo
	v_cndmask_b32_e64 v30, v30, 0xffffff92, vcc_lo
	v_lshl_add_u32 v50, 0x200000, v37, -1
	v_lshrrev_b32_e32 v51, v37, v36
	v_lshlrev_b32_e64 v53, v37, 0x100000
	v_add_nc_u32_e32 v37, v37, v30
	v_and_b32_e32 v36, v50, v36
	v_bfe_u32 v52, v51, 21, 1
	v_cmp_eq_u32_e64 s16, v36, v53
	v_add_nc_u32_e32 v50, -1, v52
	v_cndmask_b32_e64 v36, 0, v50, s16
	v_lshrrev_b32_e32 v50, 23, v51
	s_mov_b32 s16, exec_lo
	v_add_nc_u32_e32 v36, v36, v51
	v_xor_b32_e32 v50, 1, v50
	v_and_b32_e32 v30, 0x1fffff, v36
	v_add_nc_u32_e32 v36, v30, v51
                                        ; implicit-def: $vgpr30
	v_cmpx_ne_u32_e64 v37, v50
	s_xor_b32 s16, exec_lo, s16
; %bb.2682:                             ;   in Loop: Header=BB6_2469 Depth=3
	v_cmp_lt_u32_e32 vcc_lo, 0xffffff, v36
	v_sub_nc_u32_e32 v30, v37, v50
	v_cndmask_b32_e64 v37, 0, 1, vcc_lo
	v_add_co_ci_u32_e64 v30, null, 0, v30, vcc_lo
	v_lshrrev_b32_e32 v36, v37, v36
; %bb.2683:                             ;   in Loop: Header=BB6_2469 Depth=3
	s_andn2_saveexec_b32 s16, s16
; %bb.2684:                             ;   in Loop: Header=BB6_2469 Depth=3
	v_bfe_u32 v30, v36, 23, 1
; %bb.2685:                             ;   in Loop: Header=BB6_2469 Depth=3
	s_or_b32 exec_lo, exec_lo, s16
	v_lshrrev_b32_e32 v36, 21, v36
	v_cmp_gt_i32_e32 vcc_lo, 32, v30
	v_min_i32_e32 v37, 31, v30
	v_and_b32_sdwa v31, v31, v117 dst_sel:DWORD dst_unused:UNUSED_PAD src0_sel:BYTE_3 src1_sel:DWORD
	v_cndmask_b32_e32 v36, 3, v36, vcc_lo
	v_lshlrev_b32_e32 v37, 2, v37
	v_and_b32_e32 v50, 3, v36
	v_or_b32_e32 v30, v30, v36
	v_or3_b32 v31, v37, v31, v50
	v_cmp_ne_u32_e32 vcc_lo, 0, v30
	v_cndmask_b32_e32 v30, 0, v31, vcc_lo
.LBB6_2686:                             ;   in Loop: Header=BB6_2469 Depth=3
	s_or_b32 exec_lo, exec_lo, s63
.LBB6_2687:                             ;   in Loop: Header=BB6_2469 Depth=3
	s_or_b32 exec_lo, exec_lo, s62
	flat_load_ubyte v31, v[8:9] offset:480 slc
	s_mov_b32 s16, 0
	s_mov_b32 s62, exec_lo
	s_waitcnt vmcnt(0) lgkmcnt(0)
	v_cmpx_lt_i16_e32 0x7f, v31
	s_xor_b32 s62, exec_lo, s62
	s_cbranch_execz .LBB6_2953
; %bb.2688:                             ;   in Loop: Header=BB6_2469 Depth=3
	s_mov_b32 s16, -1
	s_mov_b32 s63, exec_lo
	v_cmpx_eq_u16_e32 0x80, v31
; %bb.2689:                             ;   in Loop: Header=BB6_2469 Depth=3
	s_xor_b32 s16, exec_lo, -1
; %bb.2690:                             ;   in Loop: Header=BB6_2469 Depth=3
	s_or_b32 exec_lo, exec_lo, s63
	s_and_b32 s16, s16, exec_lo
	s_or_saveexec_b32 s62, s62
	v_mov_b32_e32 v36, 0x7f800001
	s_xor_b32 exec_lo, exec_lo, s62
	s_cbranch_execnz .LBB6_2954
.LBB6_2691:                             ;   in Loop: Header=BB6_2469 Depth=3
	s_or_b32 exec_lo, exec_lo, s62
	s_and_saveexec_b32 s62, s16
	s_cbranch_execz .LBB6_2693
.LBB6_2692:                             ;   in Loop: Header=BB6_2469 Depth=3
	v_and_b32_e32 v36, 0xffff, v31
	v_lshlrev_b32_e32 v31, 24, v31
	v_and_b32_e32 v37, 3, v36
	v_bfe_u32 v52, v36, 2, 5
	v_and_b32_e32 v31, 0x80000000, v31
	v_ffbh_u32_e32 v50, v37
	v_cmp_eq_u32_e32 vcc_lo, 0, v52
	v_min_u32_e32 v50, 32, v50
	v_subrev_nc_u32_e32 v51, 29, v50
	v_sub_nc_u32_e32 v50, 30, v50
	v_lshlrev_b32_e32 v36, v51, v36
	v_cndmask_b32_e32 v50, v52, v50, vcc_lo
	v_and_b32_e32 v36, 3, v36
	v_cndmask_b32_e32 v36, v37, v36, vcc_lo
	v_lshl_add_u32 v37, v50, 23, 0x37800000
	v_lshlrev_b32_e32 v36, 21, v36
	v_or3_b32 v36, v31, v37, v36
.LBB6_2693:                             ;   in Loop: Header=BB6_2469 Depth=3
	s_or_b32 exec_lo, exec_lo, s62
	v_mul_f32_e32 v36, v11, v36
	v_and_b32_e32 v31, 0x7f800000, v36
	v_cmp_ne_u32_e32 vcc_lo, 0x7f800000, v31
	v_mov_b32_e32 v31, 0x80
	s_and_saveexec_b32 s62, vcc_lo
	s_cbranch_execz .LBB6_2701
; %bb.2694:                             ;   in Loop: Header=BB6_2469 Depth=3
	v_mov_b32_e32 v31, 0
	s_mov_b32 s63, exec_lo
	v_cmpx_ne_u32_e32 0, v36
	s_cbranch_execz .LBB6_2700
; %bb.2695:                             ;   in Loop: Header=BB6_2469 Depth=3
	v_bfe_u32 v31, v36, 23, 8
	v_and_b32_e32 v37, 0x7fffff, v36
	v_sub_nc_u32_e32 v50, 0x70, v31
	v_cmp_gt_u32_e32 vcc_lo, 0x71, v31
	v_or_b32_e32 v51, 0x800000, v37
	v_cndmask_b32_e32 v50, 0, v50, vcc_lo
	v_cmp_eq_u32_e32 vcc_lo, 0, v31
	v_add_nc_u32_e32 v31, 0xffffff91, v31
	v_cndmask_b32_e64 v50, v50, 0x6f, vcc_lo
	v_cndmask_b32_e32 v37, v51, v37, vcc_lo
	v_cndmask_b32_e64 v31, v31, 0xffffff92, vcc_lo
	v_lshl_add_u32 v51, 0x200000, v50, -1
	v_lshrrev_b32_e32 v52, v50, v37
	v_lshlrev_b32_e64 v54, v50, 0x100000
	v_add_nc_u32_e32 v50, v50, v31
	v_and_b32_e32 v37, v51, v37
	v_bfe_u32 v53, v52, 21, 1
	v_cmp_eq_u32_e64 s16, v37, v54
	v_add_nc_u32_e32 v51, -1, v53
	v_cndmask_b32_e64 v37, 0, v51, s16
	v_lshrrev_b32_e32 v51, 23, v52
	s_mov_b32 s16, exec_lo
	v_add_nc_u32_e32 v37, v37, v52
	v_xor_b32_e32 v51, 1, v51
	v_and_b32_e32 v31, 0x1fffff, v37
	v_add_nc_u32_e32 v37, v31, v52
                                        ; implicit-def: $vgpr31
	v_cmpx_ne_u32_e64 v50, v51
	s_xor_b32 s16, exec_lo, s16
; %bb.2696:                             ;   in Loop: Header=BB6_2469 Depth=3
	v_cmp_lt_u32_e32 vcc_lo, 0xffffff, v37
	v_sub_nc_u32_e32 v31, v50, v51
	v_cndmask_b32_e64 v50, 0, 1, vcc_lo
	v_add_co_ci_u32_e64 v31, null, 0, v31, vcc_lo
	v_lshrrev_b32_e32 v37, v50, v37
; %bb.2697:                             ;   in Loop: Header=BB6_2469 Depth=3
	s_andn2_saveexec_b32 s16, s16
; %bb.2698:                             ;   in Loop: Header=BB6_2469 Depth=3
	v_bfe_u32 v31, v37, 23, 1
; %bb.2699:                             ;   in Loop: Header=BB6_2469 Depth=3
	s_or_b32 exec_lo, exec_lo, s16
	v_lshrrev_b32_e32 v37, 21, v37
	v_cmp_gt_i32_e32 vcc_lo, 32, v31
	v_min_i32_e32 v50, 31, v31
	v_and_b32_sdwa v36, v36, v117 dst_sel:DWORD dst_unused:UNUSED_PAD src0_sel:BYTE_3 src1_sel:DWORD
	v_cndmask_b32_e32 v37, 3, v37, vcc_lo
	v_lshlrev_b32_e32 v50, 2, v50
	v_and_b32_e32 v51, 3, v37
	v_or_b32_e32 v31, v31, v37
	v_or3_b32 v36, v50, v36, v51
	v_cmp_ne_u32_e32 vcc_lo, 0, v31
	v_cndmask_b32_e32 v31, 0, v36, vcc_lo
.LBB6_2700:                             ;   in Loop: Header=BB6_2469 Depth=3
	s_or_b32 exec_lo, exec_lo, s63
.LBB6_2701:                             ;   in Loop: Header=BB6_2469 Depth=3
	s_or_b32 exec_lo, exec_lo, s62
	flat_load_ubyte v36, v[8:9] offset:512 slc
	s_mov_b32 s16, 0
	s_mov_b32 s62, exec_lo
	s_waitcnt vmcnt(0) lgkmcnt(0)
	v_cmpx_lt_i16_e32 0x7f, v36
	s_xor_b32 s62, exec_lo, s62
	s_cbranch_execz .LBB6_2955
; %bb.2702:                             ;   in Loop: Header=BB6_2469 Depth=3
	s_mov_b32 s16, -1
	s_mov_b32 s63, exec_lo
	v_cmpx_eq_u16_e32 0x80, v36
; %bb.2703:                             ;   in Loop: Header=BB6_2469 Depth=3
	s_xor_b32 s16, exec_lo, -1
; %bb.2704:                             ;   in Loop: Header=BB6_2469 Depth=3
	s_or_b32 exec_lo, exec_lo, s63
	s_and_b32 s16, s16, exec_lo
	s_or_saveexec_b32 s62, s62
	v_mov_b32_e32 v37, 0x7f800001
	s_xor_b32 exec_lo, exec_lo, s62
	s_cbranch_execnz .LBB6_2956
.LBB6_2705:                             ;   in Loop: Header=BB6_2469 Depth=3
	s_or_b32 exec_lo, exec_lo, s62
	s_and_saveexec_b32 s62, s16
	s_cbranch_execz .LBB6_2707
.LBB6_2706:                             ;   in Loop: Header=BB6_2469 Depth=3
	v_and_b32_e32 v37, 0xffff, v36
	v_lshlrev_b32_e32 v36, 24, v36
	v_and_b32_e32 v50, 3, v37
	v_bfe_u32 v53, v37, 2, 5
	v_and_b32_e32 v36, 0x80000000, v36
	v_ffbh_u32_e32 v51, v50
	v_cmp_eq_u32_e32 vcc_lo, 0, v53
	v_min_u32_e32 v51, 32, v51
	v_subrev_nc_u32_e32 v52, 29, v51
	v_sub_nc_u32_e32 v51, 30, v51
	v_lshlrev_b32_e32 v37, v52, v37
	v_cndmask_b32_e32 v51, v53, v51, vcc_lo
	v_and_b32_e32 v37, 3, v37
	v_cndmask_b32_e32 v37, v50, v37, vcc_lo
	v_lshl_add_u32 v50, v51, 23, 0x37800000
	v_lshlrev_b32_e32 v37, 21, v37
	v_or3_b32 v37, v36, v50, v37
.LBB6_2707:                             ;   in Loop: Header=BB6_2469 Depth=3
	s_or_b32 exec_lo, exec_lo, s62
	v_mul_f32_e32 v37, v11, v37
	v_and_b32_e32 v36, 0x7f800000, v37
	v_cmp_ne_u32_e32 vcc_lo, 0x7f800000, v36
	v_mov_b32_e32 v36, 0x80
	s_and_saveexec_b32 s62, vcc_lo
	s_cbranch_execz .LBB6_2715
; %bb.2708:                             ;   in Loop: Header=BB6_2469 Depth=3
	v_mov_b32_e32 v36, 0
	s_mov_b32 s63, exec_lo
	v_cmpx_ne_u32_e32 0, v37
	s_cbranch_execz .LBB6_2714
; %bb.2709:                             ;   in Loop: Header=BB6_2469 Depth=3
	v_bfe_u32 v36, v37, 23, 8
	v_and_b32_e32 v50, 0x7fffff, v37
	v_sub_nc_u32_e32 v51, 0x70, v36
	v_cmp_gt_u32_e32 vcc_lo, 0x71, v36
	v_or_b32_e32 v52, 0x800000, v50
	v_cndmask_b32_e32 v51, 0, v51, vcc_lo
	v_cmp_eq_u32_e32 vcc_lo, 0, v36
	v_add_nc_u32_e32 v36, 0xffffff91, v36
	v_cndmask_b32_e64 v51, v51, 0x6f, vcc_lo
	v_cndmask_b32_e32 v50, v52, v50, vcc_lo
	v_cndmask_b32_e64 v36, v36, 0xffffff92, vcc_lo
	v_lshl_add_u32 v52, 0x200000, v51, -1
	v_lshrrev_b32_e32 v53, v51, v50
	v_lshlrev_b32_e64 v55, v51, 0x100000
	v_add_nc_u32_e32 v51, v51, v36
	v_and_b32_e32 v50, v52, v50
	v_bfe_u32 v54, v53, 21, 1
	v_cmp_eq_u32_e64 s16, v50, v55
	v_add_nc_u32_e32 v52, -1, v54
	v_cndmask_b32_e64 v50, 0, v52, s16
	v_lshrrev_b32_e32 v52, 23, v53
	s_mov_b32 s16, exec_lo
	v_add_nc_u32_e32 v50, v50, v53
	v_xor_b32_e32 v52, 1, v52
	v_and_b32_e32 v36, 0x1fffff, v50
	v_add_nc_u32_e32 v50, v36, v53
                                        ; implicit-def: $vgpr36
	v_cmpx_ne_u32_e64 v51, v52
	s_xor_b32 s16, exec_lo, s16
; %bb.2710:                             ;   in Loop: Header=BB6_2469 Depth=3
	v_cmp_lt_u32_e32 vcc_lo, 0xffffff, v50
	v_sub_nc_u32_e32 v36, v51, v52
	v_cndmask_b32_e64 v51, 0, 1, vcc_lo
	v_add_co_ci_u32_e64 v36, null, 0, v36, vcc_lo
	v_lshrrev_b32_e32 v50, v51, v50
; %bb.2711:                             ;   in Loop: Header=BB6_2469 Depth=3
	s_andn2_saveexec_b32 s16, s16
; %bb.2712:                             ;   in Loop: Header=BB6_2469 Depth=3
	v_bfe_u32 v36, v50, 23, 1
; %bb.2713:                             ;   in Loop: Header=BB6_2469 Depth=3
	s_or_b32 exec_lo, exec_lo, s16
	v_lshrrev_b32_e32 v50, 21, v50
	v_cmp_gt_i32_e32 vcc_lo, 32, v36
	v_min_i32_e32 v51, 31, v36
	v_and_b32_sdwa v37, v37, v117 dst_sel:DWORD dst_unused:UNUSED_PAD src0_sel:BYTE_3 src1_sel:DWORD
	v_cndmask_b32_e32 v50, 3, v50, vcc_lo
	v_lshlrev_b32_e32 v51, 2, v51
	v_and_b32_e32 v52, 3, v50
	v_or_b32_e32 v36, v36, v50
	v_or3_b32 v37, v51, v37, v52
	v_cmp_ne_u32_e32 vcc_lo, 0, v36
	v_cndmask_b32_e32 v36, 0, v37, vcc_lo
.LBB6_2714:                             ;   in Loop: Header=BB6_2469 Depth=3
	s_or_b32 exec_lo, exec_lo, s63
.LBB6_2715:                             ;   in Loop: Header=BB6_2469 Depth=3
	s_or_b32 exec_lo, exec_lo, s62
	flat_load_ubyte v37, v[8:9] offset:544 slc
	s_mov_b32 s16, 0
	s_mov_b32 s62, exec_lo
	s_waitcnt vmcnt(0) lgkmcnt(0)
	v_cmpx_lt_i16_e32 0x7f, v37
	s_xor_b32 s62, exec_lo, s62
	s_cbranch_execz .LBB6_2957
; %bb.2716:                             ;   in Loop: Header=BB6_2469 Depth=3
	s_mov_b32 s16, -1
	s_mov_b32 s63, exec_lo
	v_cmpx_eq_u16_e32 0x80, v37
; %bb.2717:                             ;   in Loop: Header=BB6_2469 Depth=3
	s_xor_b32 s16, exec_lo, -1
; %bb.2718:                             ;   in Loop: Header=BB6_2469 Depth=3
	s_or_b32 exec_lo, exec_lo, s63
	s_and_b32 s16, s16, exec_lo
	s_or_saveexec_b32 s62, s62
	v_mov_b32_e32 v50, 0x7f800001
	s_xor_b32 exec_lo, exec_lo, s62
	s_cbranch_execnz .LBB6_2958
.LBB6_2719:                             ;   in Loop: Header=BB6_2469 Depth=3
	s_or_b32 exec_lo, exec_lo, s62
	s_and_saveexec_b32 s62, s16
	s_cbranch_execz .LBB6_2721
.LBB6_2720:                             ;   in Loop: Header=BB6_2469 Depth=3
	v_and_b32_e32 v50, 0xffff, v37
	v_lshlrev_b32_e32 v37, 24, v37
	v_and_b32_e32 v51, 3, v50
	v_bfe_u32 v54, v50, 2, 5
	v_and_b32_e32 v37, 0x80000000, v37
	v_ffbh_u32_e32 v52, v51
	v_cmp_eq_u32_e32 vcc_lo, 0, v54
	v_min_u32_e32 v52, 32, v52
	v_subrev_nc_u32_e32 v53, 29, v52
	v_sub_nc_u32_e32 v52, 30, v52
	v_lshlrev_b32_e32 v50, v53, v50
	v_cndmask_b32_e32 v52, v54, v52, vcc_lo
	v_and_b32_e32 v50, 3, v50
	v_cndmask_b32_e32 v50, v51, v50, vcc_lo
	v_lshl_add_u32 v51, v52, 23, 0x37800000
	v_lshlrev_b32_e32 v50, 21, v50
	v_or3_b32 v50, v37, v51, v50
.LBB6_2721:                             ;   in Loop: Header=BB6_2469 Depth=3
	s_or_b32 exec_lo, exec_lo, s62
	v_mul_f32_e32 v50, v11, v50
	v_and_b32_e32 v37, 0x7f800000, v50
	v_cmp_ne_u32_e32 vcc_lo, 0x7f800000, v37
	v_mov_b32_e32 v37, 0x80
	s_and_saveexec_b32 s62, vcc_lo
	s_cbranch_execz .LBB6_2729
; %bb.2722:                             ;   in Loop: Header=BB6_2469 Depth=3
	v_mov_b32_e32 v37, 0
	s_mov_b32 s63, exec_lo
	v_cmpx_ne_u32_e32 0, v50
	s_cbranch_execz .LBB6_2728
; %bb.2723:                             ;   in Loop: Header=BB6_2469 Depth=3
	v_bfe_u32 v37, v50, 23, 8
	v_and_b32_e32 v51, 0x7fffff, v50
	v_sub_nc_u32_e32 v52, 0x70, v37
	v_cmp_gt_u32_e32 vcc_lo, 0x71, v37
	v_or_b32_e32 v53, 0x800000, v51
	v_cndmask_b32_e32 v52, 0, v52, vcc_lo
	v_cmp_eq_u32_e32 vcc_lo, 0, v37
	v_add_nc_u32_e32 v37, 0xffffff91, v37
	v_cndmask_b32_e64 v52, v52, 0x6f, vcc_lo
	v_cndmask_b32_e32 v51, v53, v51, vcc_lo
	v_cndmask_b32_e64 v37, v37, 0xffffff92, vcc_lo
	v_lshl_add_u32 v53, 0x200000, v52, -1
	v_lshrrev_b32_e32 v54, v52, v51
	v_lshlrev_b32_e64 v66, v52, 0x100000
	v_add_nc_u32_e32 v52, v52, v37
	v_and_b32_e32 v51, v53, v51
	v_bfe_u32 v55, v54, 21, 1
	v_cmp_eq_u32_e64 s16, v51, v66
	v_add_nc_u32_e32 v53, -1, v55
	v_cndmask_b32_e64 v51, 0, v53, s16
	v_lshrrev_b32_e32 v53, 23, v54
	s_mov_b32 s16, exec_lo
	v_add_nc_u32_e32 v51, v51, v54
	v_xor_b32_e32 v53, 1, v53
	v_and_b32_e32 v37, 0x1fffff, v51
	v_add_nc_u32_e32 v51, v37, v54
                                        ; implicit-def: $vgpr37
	v_cmpx_ne_u32_e64 v52, v53
	s_xor_b32 s16, exec_lo, s16
; %bb.2724:                             ;   in Loop: Header=BB6_2469 Depth=3
	v_cmp_lt_u32_e32 vcc_lo, 0xffffff, v51
	v_sub_nc_u32_e32 v37, v52, v53
	v_cndmask_b32_e64 v52, 0, 1, vcc_lo
	v_add_co_ci_u32_e64 v37, null, 0, v37, vcc_lo
	v_lshrrev_b32_e32 v51, v52, v51
; %bb.2725:                             ;   in Loop: Header=BB6_2469 Depth=3
	s_andn2_saveexec_b32 s16, s16
; %bb.2726:                             ;   in Loop: Header=BB6_2469 Depth=3
	v_bfe_u32 v37, v51, 23, 1
; %bb.2727:                             ;   in Loop: Header=BB6_2469 Depth=3
	s_or_b32 exec_lo, exec_lo, s16
	v_lshrrev_b32_e32 v51, 21, v51
	v_cmp_gt_i32_e32 vcc_lo, 32, v37
	v_min_i32_e32 v52, 31, v37
	v_and_b32_sdwa v50, v50, v117 dst_sel:DWORD dst_unused:UNUSED_PAD src0_sel:BYTE_3 src1_sel:DWORD
	v_cndmask_b32_e32 v51, 3, v51, vcc_lo
	v_lshlrev_b32_e32 v52, 2, v52
	v_and_b32_e32 v53, 3, v51
	v_or_b32_e32 v37, v37, v51
	v_or3_b32 v50, v52, v50, v53
	v_cmp_ne_u32_e32 vcc_lo, 0, v37
	v_cndmask_b32_e32 v37, 0, v50, vcc_lo
.LBB6_2728:                             ;   in Loop: Header=BB6_2469 Depth=3
	s_or_b32 exec_lo, exec_lo, s63
.LBB6_2729:                             ;   in Loop: Header=BB6_2469 Depth=3
	s_or_b32 exec_lo, exec_lo, s62
	flat_load_ubyte v50, v[8:9] offset:576 slc
	s_mov_b32 s16, 0
	s_mov_b32 s62, exec_lo
	s_waitcnt vmcnt(0) lgkmcnt(0)
	v_cmpx_lt_i16_e32 0x7f, v50
	s_xor_b32 s62, exec_lo, s62
	s_cbranch_execz .LBB6_2959
; %bb.2730:                             ;   in Loop: Header=BB6_2469 Depth=3
	s_mov_b32 s16, -1
	s_mov_b32 s63, exec_lo
	v_cmpx_eq_u16_e32 0x80, v50
; %bb.2731:                             ;   in Loop: Header=BB6_2469 Depth=3
	s_xor_b32 s16, exec_lo, -1
; %bb.2732:                             ;   in Loop: Header=BB6_2469 Depth=3
	s_or_b32 exec_lo, exec_lo, s63
	s_and_b32 s16, s16, exec_lo
	s_or_saveexec_b32 s62, s62
	v_mov_b32_e32 v51, 0x7f800001
	s_xor_b32 exec_lo, exec_lo, s62
	s_cbranch_execnz .LBB6_2960
.LBB6_2733:                             ;   in Loop: Header=BB6_2469 Depth=3
	s_or_b32 exec_lo, exec_lo, s62
	s_and_saveexec_b32 s62, s16
	s_cbranch_execz .LBB6_2735
.LBB6_2734:                             ;   in Loop: Header=BB6_2469 Depth=3
	v_and_b32_e32 v51, 0xffff, v50
	v_lshlrev_b32_e32 v50, 24, v50
	v_and_b32_e32 v52, 3, v51
	v_bfe_u32 v55, v51, 2, 5
	v_and_b32_e32 v50, 0x80000000, v50
	v_ffbh_u32_e32 v53, v52
	v_cmp_eq_u32_e32 vcc_lo, 0, v55
	v_min_u32_e32 v53, 32, v53
	v_subrev_nc_u32_e32 v54, 29, v53
	v_sub_nc_u32_e32 v53, 30, v53
	v_lshlrev_b32_e32 v51, v54, v51
	v_cndmask_b32_e32 v53, v55, v53, vcc_lo
	v_and_b32_e32 v51, 3, v51
	v_cndmask_b32_e32 v51, v52, v51, vcc_lo
	v_lshl_add_u32 v52, v53, 23, 0x37800000
	v_lshlrev_b32_e32 v51, 21, v51
	v_or3_b32 v51, v50, v52, v51
.LBB6_2735:                             ;   in Loop: Header=BB6_2469 Depth=3
	s_or_b32 exec_lo, exec_lo, s62
	v_mul_f32_e32 v51, v11, v51
	v_and_b32_e32 v50, 0x7f800000, v51
	v_cmp_ne_u32_e32 vcc_lo, 0x7f800000, v50
	v_mov_b32_e32 v50, 0x80
	s_and_saveexec_b32 s62, vcc_lo
	s_cbranch_execz .LBB6_2743
; %bb.2736:                             ;   in Loop: Header=BB6_2469 Depth=3
	v_mov_b32_e32 v50, 0
	s_mov_b32 s63, exec_lo
	v_cmpx_ne_u32_e32 0, v51
	s_cbranch_execz .LBB6_2742
; %bb.2737:                             ;   in Loop: Header=BB6_2469 Depth=3
	v_bfe_u32 v50, v51, 23, 8
	v_and_b32_e32 v52, 0x7fffff, v51
	v_sub_nc_u32_e32 v53, 0x70, v50
	v_cmp_gt_u32_e32 vcc_lo, 0x71, v50
	v_or_b32_e32 v54, 0x800000, v52
	v_cndmask_b32_e32 v53, 0, v53, vcc_lo
	v_cmp_eq_u32_e32 vcc_lo, 0, v50
	v_add_nc_u32_e32 v50, 0xffffff91, v50
	v_cndmask_b32_e64 v53, v53, 0x6f, vcc_lo
	v_cndmask_b32_e32 v52, v54, v52, vcc_lo
	v_cndmask_b32_e64 v50, v50, 0xffffff92, vcc_lo
	v_lshl_add_u32 v54, 0x200000, v53, -1
	v_lshrrev_b32_e32 v55, v53, v52
	v_lshlrev_b32_e64 v67, v53, 0x100000
	v_add_nc_u32_e32 v53, v53, v50
	v_and_b32_e32 v52, v54, v52
	v_bfe_u32 v66, v55, 21, 1
	v_cmp_eq_u32_e64 s16, v52, v67
	v_add_nc_u32_e32 v54, -1, v66
	v_cndmask_b32_e64 v52, 0, v54, s16
	v_lshrrev_b32_e32 v54, 23, v55
	s_mov_b32 s16, exec_lo
	v_add_nc_u32_e32 v52, v52, v55
	v_xor_b32_e32 v54, 1, v54
	v_and_b32_e32 v50, 0x1fffff, v52
	v_add_nc_u32_e32 v52, v50, v55
                                        ; implicit-def: $vgpr50
	v_cmpx_ne_u32_e64 v53, v54
	s_xor_b32 s16, exec_lo, s16
; %bb.2738:                             ;   in Loop: Header=BB6_2469 Depth=3
	v_cmp_lt_u32_e32 vcc_lo, 0xffffff, v52
	v_sub_nc_u32_e32 v50, v53, v54
	v_cndmask_b32_e64 v53, 0, 1, vcc_lo
	v_add_co_ci_u32_e64 v50, null, 0, v50, vcc_lo
	v_lshrrev_b32_e32 v52, v53, v52
; %bb.2739:                             ;   in Loop: Header=BB6_2469 Depth=3
	s_andn2_saveexec_b32 s16, s16
; %bb.2740:                             ;   in Loop: Header=BB6_2469 Depth=3
	v_bfe_u32 v50, v52, 23, 1
; %bb.2741:                             ;   in Loop: Header=BB6_2469 Depth=3
	s_or_b32 exec_lo, exec_lo, s16
	v_lshrrev_b32_e32 v52, 21, v52
	v_cmp_gt_i32_e32 vcc_lo, 32, v50
	v_min_i32_e32 v53, 31, v50
	v_and_b32_sdwa v51, v51, v117 dst_sel:DWORD dst_unused:UNUSED_PAD src0_sel:BYTE_3 src1_sel:DWORD
	v_cndmask_b32_e32 v52, 3, v52, vcc_lo
	v_lshlrev_b32_e32 v53, 2, v53
	v_and_b32_e32 v54, 3, v52
	v_or_b32_e32 v50, v50, v52
	v_or3_b32 v51, v53, v51, v54
	v_cmp_ne_u32_e32 vcc_lo, 0, v50
	v_cndmask_b32_e32 v50, 0, v51, vcc_lo
.LBB6_2742:                             ;   in Loop: Header=BB6_2469 Depth=3
	s_or_b32 exec_lo, exec_lo, s63
.LBB6_2743:                             ;   in Loop: Header=BB6_2469 Depth=3
	s_or_b32 exec_lo, exec_lo, s62
	flat_load_ubyte v51, v[8:9] offset:608 slc
	s_mov_b32 s16, 0
	s_mov_b32 s62, exec_lo
	s_waitcnt vmcnt(0) lgkmcnt(0)
	v_cmpx_lt_i16_e32 0x7f, v51
	s_xor_b32 s62, exec_lo, s62
	s_cbranch_execz .LBB6_2961
; %bb.2744:                             ;   in Loop: Header=BB6_2469 Depth=3
	s_mov_b32 s16, -1
	s_mov_b32 s63, exec_lo
	v_cmpx_eq_u16_e32 0x80, v51
; %bb.2745:                             ;   in Loop: Header=BB6_2469 Depth=3
	s_xor_b32 s16, exec_lo, -1
; %bb.2746:                             ;   in Loop: Header=BB6_2469 Depth=3
	s_or_b32 exec_lo, exec_lo, s63
	s_and_b32 s16, s16, exec_lo
	s_or_saveexec_b32 s62, s62
	v_mov_b32_e32 v52, 0x7f800001
	s_xor_b32 exec_lo, exec_lo, s62
	s_cbranch_execnz .LBB6_2962
.LBB6_2747:                             ;   in Loop: Header=BB6_2469 Depth=3
	s_or_b32 exec_lo, exec_lo, s62
	s_and_saveexec_b32 s62, s16
	s_cbranch_execz .LBB6_2749
.LBB6_2748:                             ;   in Loop: Header=BB6_2469 Depth=3
	v_and_b32_e32 v52, 0xffff, v51
	v_lshlrev_b32_e32 v51, 24, v51
	v_and_b32_e32 v53, 3, v52
	v_bfe_u32 v66, v52, 2, 5
	v_and_b32_e32 v51, 0x80000000, v51
	v_ffbh_u32_e32 v54, v53
	v_cmp_eq_u32_e32 vcc_lo, 0, v66
	v_min_u32_e32 v54, 32, v54
	v_subrev_nc_u32_e32 v55, 29, v54
	v_sub_nc_u32_e32 v54, 30, v54
	v_lshlrev_b32_e32 v52, v55, v52
	v_cndmask_b32_e32 v54, v66, v54, vcc_lo
	v_and_b32_e32 v52, 3, v52
	v_cndmask_b32_e32 v52, v53, v52, vcc_lo
	v_lshl_add_u32 v53, v54, 23, 0x37800000
	v_lshlrev_b32_e32 v52, 21, v52
	v_or3_b32 v52, v51, v53, v52
.LBB6_2749:                             ;   in Loop: Header=BB6_2469 Depth=3
	s_or_b32 exec_lo, exec_lo, s62
	v_mul_f32_e32 v52, v11, v52
	v_and_b32_e32 v51, 0x7f800000, v52
	v_cmp_ne_u32_e32 vcc_lo, 0x7f800000, v51
	v_mov_b32_e32 v51, 0x80
	s_and_saveexec_b32 s62, vcc_lo
	s_cbranch_execz .LBB6_2757
; %bb.2750:                             ;   in Loop: Header=BB6_2469 Depth=3
	v_mov_b32_e32 v51, 0
	s_mov_b32 s63, exec_lo
	v_cmpx_ne_u32_e32 0, v52
	s_cbranch_execz .LBB6_2756
; %bb.2751:                             ;   in Loop: Header=BB6_2469 Depth=3
	v_bfe_u32 v51, v52, 23, 8
	v_and_b32_e32 v53, 0x7fffff, v52
	v_sub_nc_u32_e32 v54, 0x70, v51
	v_cmp_gt_u32_e32 vcc_lo, 0x71, v51
	v_or_b32_e32 v55, 0x800000, v53
	v_cndmask_b32_e32 v54, 0, v54, vcc_lo
	v_cmp_eq_u32_e32 vcc_lo, 0, v51
	v_add_nc_u32_e32 v51, 0xffffff91, v51
	v_cndmask_b32_e64 v54, v54, 0x6f, vcc_lo
	v_cndmask_b32_e32 v53, v55, v53, vcc_lo
	v_cndmask_b32_e64 v51, v51, 0xffffff92, vcc_lo
	v_lshl_add_u32 v55, 0x200000, v54, -1
	v_lshrrev_b32_e32 v66, v54, v53
	v_lshlrev_b32_e64 v68, v54, 0x100000
	v_add_nc_u32_e32 v54, v54, v51
	v_and_b32_e32 v53, v55, v53
	v_bfe_u32 v67, v66, 21, 1
	v_cmp_eq_u32_e64 s16, v53, v68
	v_add_nc_u32_e32 v55, -1, v67
	v_cndmask_b32_e64 v53, 0, v55, s16
	v_lshrrev_b32_e32 v55, 23, v66
	s_mov_b32 s16, exec_lo
	v_add_nc_u32_e32 v53, v53, v66
	v_xor_b32_e32 v55, 1, v55
	v_and_b32_e32 v51, 0x1fffff, v53
	v_add_nc_u32_e32 v53, v51, v66
                                        ; implicit-def: $vgpr51
	v_cmpx_ne_u32_e64 v54, v55
	s_xor_b32 s16, exec_lo, s16
; %bb.2752:                             ;   in Loop: Header=BB6_2469 Depth=3
	v_cmp_lt_u32_e32 vcc_lo, 0xffffff, v53
	v_sub_nc_u32_e32 v51, v54, v55
	v_cndmask_b32_e64 v54, 0, 1, vcc_lo
	v_add_co_ci_u32_e64 v51, null, 0, v51, vcc_lo
	v_lshrrev_b32_e32 v53, v54, v53
; %bb.2753:                             ;   in Loop: Header=BB6_2469 Depth=3
	s_andn2_saveexec_b32 s16, s16
; %bb.2754:                             ;   in Loop: Header=BB6_2469 Depth=3
	v_bfe_u32 v51, v53, 23, 1
; %bb.2755:                             ;   in Loop: Header=BB6_2469 Depth=3
	s_or_b32 exec_lo, exec_lo, s16
	v_lshrrev_b32_e32 v53, 21, v53
	v_cmp_gt_i32_e32 vcc_lo, 32, v51
	v_min_i32_e32 v54, 31, v51
	v_and_b32_sdwa v52, v52, v117 dst_sel:DWORD dst_unused:UNUSED_PAD src0_sel:BYTE_3 src1_sel:DWORD
	v_cndmask_b32_e32 v53, 3, v53, vcc_lo
	v_lshlrev_b32_e32 v54, 2, v54
	v_and_b32_e32 v55, 3, v53
	v_or_b32_e32 v51, v51, v53
	v_or3_b32 v52, v54, v52, v55
	v_cmp_ne_u32_e32 vcc_lo, 0, v51
	v_cndmask_b32_e32 v51, 0, v52, vcc_lo
.LBB6_2756:                             ;   in Loop: Header=BB6_2469 Depth=3
	s_or_b32 exec_lo, exec_lo, s63
.LBB6_2757:                             ;   in Loop: Header=BB6_2469 Depth=3
	s_or_b32 exec_lo, exec_lo, s62
	flat_load_ubyte v52, v[8:9] offset:640 slc
	s_mov_b32 s16, 0
	s_mov_b32 s62, exec_lo
	s_waitcnt vmcnt(0) lgkmcnt(0)
	v_cmpx_lt_i16_e32 0x7f, v52
	s_xor_b32 s62, exec_lo, s62
	s_cbranch_execz .LBB6_2963
; %bb.2758:                             ;   in Loop: Header=BB6_2469 Depth=3
	s_mov_b32 s16, -1
	s_mov_b32 s63, exec_lo
	v_cmpx_eq_u16_e32 0x80, v52
; %bb.2759:                             ;   in Loop: Header=BB6_2469 Depth=3
	s_xor_b32 s16, exec_lo, -1
; %bb.2760:                             ;   in Loop: Header=BB6_2469 Depth=3
	s_or_b32 exec_lo, exec_lo, s63
	s_and_b32 s16, s16, exec_lo
	s_or_saveexec_b32 s62, s62
	v_mov_b32_e32 v53, 0x7f800001
	s_xor_b32 exec_lo, exec_lo, s62
	s_cbranch_execnz .LBB6_2964
.LBB6_2761:                             ;   in Loop: Header=BB6_2469 Depth=3
	s_or_b32 exec_lo, exec_lo, s62
	s_and_saveexec_b32 s62, s16
	s_cbranch_execz .LBB6_2763
.LBB6_2762:                             ;   in Loop: Header=BB6_2469 Depth=3
	v_and_b32_e32 v53, 0xffff, v52
	v_lshlrev_b32_e32 v52, 24, v52
	v_and_b32_e32 v54, 3, v53
	v_bfe_u32 v67, v53, 2, 5
	v_and_b32_e32 v52, 0x80000000, v52
	v_ffbh_u32_e32 v55, v54
	v_cmp_eq_u32_e32 vcc_lo, 0, v67
	v_min_u32_e32 v55, 32, v55
	v_subrev_nc_u32_e32 v66, 29, v55
	v_sub_nc_u32_e32 v55, 30, v55
	v_lshlrev_b32_e32 v53, v66, v53
	v_cndmask_b32_e32 v55, v67, v55, vcc_lo
	v_and_b32_e32 v53, 3, v53
	v_cndmask_b32_e32 v53, v54, v53, vcc_lo
	v_lshl_add_u32 v54, v55, 23, 0x37800000
	v_lshlrev_b32_e32 v53, 21, v53
	v_or3_b32 v53, v52, v54, v53
.LBB6_2763:                             ;   in Loop: Header=BB6_2469 Depth=3
	s_or_b32 exec_lo, exec_lo, s62
	v_mul_f32_e32 v53, v11, v53
	v_and_b32_e32 v52, 0x7f800000, v53
	v_cmp_ne_u32_e32 vcc_lo, 0x7f800000, v52
	v_mov_b32_e32 v52, 0x80
	s_and_saveexec_b32 s62, vcc_lo
	s_cbranch_execz .LBB6_2771
; %bb.2764:                             ;   in Loop: Header=BB6_2469 Depth=3
	v_mov_b32_e32 v52, 0
	s_mov_b32 s63, exec_lo
	v_cmpx_ne_u32_e32 0, v53
	s_cbranch_execz .LBB6_2770
; %bb.2765:                             ;   in Loop: Header=BB6_2469 Depth=3
	v_bfe_u32 v52, v53, 23, 8
	v_and_b32_e32 v54, 0x7fffff, v53
	v_sub_nc_u32_e32 v55, 0x70, v52
	v_cmp_gt_u32_e32 vcc_lo, 0x71, v52
	v_or_b32_e32 v66, 0x800000, v54
	v_cndmask_b32_e32 v55, 0, v55, vcc_lo
	v_cmp_eq_u32_e32 vcc_lo, 0, v52
	v_add_nc_u32_e32 v52, 0xffffff91, v52
	v_cndmask_b32_e64 v55, v55, 0x6f, vcc_lo
	v_cndmask_b32_e32 v54, v66, v54, vcc_lo
	v_cndmask_b32_e64 v52, v52, 0xffffff92, vcc_lo
	v_lshl_add_u32 v66, 0x200000, v55, -1
	v_lshrrev_b32_e32 v67, v55, v54
	v_lshlrev_b32_e64 v69, v55, 0x100000
	v_add_nc_u32_e32 v55, v55, v52
	v_and_b32_e32 v54, v66, v54
	v_bfe_u32 v68, v67, 21, 1
	v_cmp_eq_u32_e64 s16, v54, v69
	v_add_nc_u32_e32 v66, -1, v68
	v_cndmask_b32_e64 v54, 0, v66, s16
	v_lshrrev_b32_e32 v66, 23, v67
	s_mov_b32 s16, exec_lo
	v_add_nc_u32_e32 v54, v54, v67
	v_xor_b32_e32 v66, 1, v66
	v_and_b32_e32 v52, 0x1fffff, v54
	v_add_nc_u32_e32 v54, v52, v67
                                        ; implicit-def: $vgpr52
	v_cmpx_ne_u32_e64 v55, v66
	s_xor_b32 s16, exec_lo, s16
; %bb.2766:                             ;   in Loop: Header=BB6_2469 Depth=3
	v_cmp_lt_u32_e32 vcc_lo, 0xffffff, v54
	v_sub_nc_u32_e32 v52, v55, v66
	v_cndmask_b32_e64 v55, 0, 1, vcc_lo
	v_add_co_ci_u32_e64 v52, null, 0, v52, vcc_lo
	v_lshrrev_b32_e32 v54, v55, v54
; %bb.2767:                             ;   in Loop: Header=BB6_2469 Depth=3
	s_andn2_saveexec_b32 s16, s16
; %bb.2768:                             ;   in Loop: Header=BB6_2469 Depth=3
	v_bfe_u32 v52, v54, 23, 1
; %bb.2769:                             ;   in Loop: Header=BB6_2469 Depth=3
	s_or_b32 exec_lo, exec_lo, s16
	v_lshrrev_b32_e32 v54, 21, v54
	v_cmp_gt_i32_e32 vcc_lo, 32, v52
	v_min_i32_e32 v55, 31, v52
	v_and_b32_sdwa v53, v53, v117 dst_sel:DWORD dst_unused:UNUSED_PAD src0_sel:BYTE_3 src1_sel:DWORD
	v_cndmask_b32_e32 v54, 3, v54, vcc_lo
	v_lshlrev_b32_e32 v55, 2, v55
	v_and_b32_e32 v66, 3, v54
	v_or_b32_e32 v52, v52, v54
	v_or3_b32 v53, v55, v53, v66
	v_cmp_ne_u32_e32 vcc_lo, 0, v52
	v_cndmask_b32_e32 v52, 0, v53, vcc_lo
.LBB6_2770:                             ;   in Loop: Header=BB6_2469 Depth=3
	s_or_b32 exec_lo, exec_lo, s63
.LBB6_2771:                             ;   in Loop: Header=BB6_2469 Depth=3
	s_or_b32 exec_lo, exec_lo, s62
	flat_load_ubyte v53, v[8:9] offset:672 slc
	s_mov_b32 s16, 0
	s_mov_b32 s62, exec_lo
	s_waitcnt vmcnt(0) lgkmcnt(0)
	v_cmpx_lt_i16_e32 0x7f, v53
	s_xor_b32 s62, exec_lo, s62
	s_cbranch_execz .LBB6_2965
; %bb.2772:                             ;   in Loop: Header=BB6_2469 Depth=3
	s_mov_b32 s16, -1
	s_mov_b32 s63, exec_lo
	v_cmpx_eq_u16_e32 0x80, v53
; %bb.2773:                             ;   in Loop: Header=BB6_2469 Depth=3
	s_xor_b32 s16, exec_lo, -1
; %bb.2774:                             ;   in Loop: Header=BB6_2469 Depth=3
	s_or_b32 exec_lo, exec_lo, s63
	s_and_b32 s16, s16, exec_lo
	s_or_saveexec_b32 s62, s62
	v_mov_b32_e32 v54, 0x7f800001
	s_xor_b32 exec_lo, exec_lo, s62
	s_cbranch_execnz .LBB6_2966
.LBB6_2775:                             ;   in Loop: Header=BB6_2469 Depth=3
	s_or_b32 exec_lo, exec_lo, s62
	s_and_saveexec_b32 s62, s16
	s_cbranch_execz .LBB6_2777
.LBB6_2776:                             ;   in Loop: Header=BB6_2469 Depth=3
	v_and_b32_e32 v54, 0xffff, v53
	v_lshlrev_b32_e32 v53, 24, v53
	v_and_b32_e32 v55, 3, v54
	v_bfe_u32 v68, v54, 2, 5
	v_and_b32_e32 v53, 0x80000000, v53
	v_ffbh_u32_e32 v66, v55
	v_cmp_eq_u32_e32 vcc_lo, 0, v68
	v_min_u32_e32 v66, 32, v66
	v_subrev_nc_u32_e32 v67, 29, v66
	v_sub_nc_u32_e32 v66, 30, v66
	v_lshlrev_b32_e32 v54, v67, v54
	v_cndmask_b32_e32 v66, v68, v66, vcc_lo
	v_and_b32_e32 v54, 3, v54
	v_cndmask_b32_e32 v54, v55, v54, vcc_lo
	v_lshl_add_u32 v55, v66, 23, 0x37800000
	v_lshlrev_b32_e32 v54, 21, v54
	v_or3_b32 v54, v53, v55, v54
.LBB6_2777:                             ;   in Loop: Header=BB6_2469 Depth=3
	s_or_b32 exec_lo, exec_lo, s62
	v_mul_f32_e32 v54, v11, v54
	v_and_b32_e32 v53, 0x7f800000, v54
	v_cmp_ne_u32_e32 vcc_lo, 0x7f800000, v53
	v_mov_b32_e32 v53, 0x80
	s_and_saveexec_b32 s62, vcc_lo
	s_cbranch_execz .LBB6_2785
; %bb.2778:                             ;   in Loop: Header=BB6_2469 Depth=3
	v_mov_b32_e32 v53, 0
	s_mov_b32 s63, exec_lo
	v_cmpx_ne_u32_e32 0, v54
	s_cbranch_execz .LBB6_2784
; %bb.2779:                             ;   in Loop: Header=BB6_2469 Depth=3
	v_bfe_u32 v53, v54, 23, 8
	v_and_b32_e32 v55, 0x7fffff, v54
	v_sub_nc_u32_e32 v66, 0x70, v53
	v_cmp_gt_u32_e32 vcc_lo, 0x71, v53
	v_or_b32_e32 v67, 0x800000, v55
	v_cndmask_b32_e32 v66, 0, v66, vcc_lo
	v_cmp_eq_u32_e32 vcc_lo, 0, v53
	v_add_nc_u32_e32 v53, 0xffffff91, v53
	v_cndmask_b32_e64 v66, v66, 0x6f, vcc_lo
	v_cndmask_b32_e32 v55, v67, v55, vcc_lo
	v_cndmask_b32_e64 v53, v53, 0xffffff92, vcc_lo
	v_lshl_add_u32 v67, 0x200000, v66, -1
	v_lshrrev_b32_e32 v68, v66, v55
	v_lshlrev_b32_e64 v70, v66, 0x100000
	v_add_nc_u32_e32 v66, v66, v53
	v_and_b32_e32 v55, v67, v55
	v_bfe_u32 v69, v68, 21, 1
	v_cmp_eq_u32_e64 s16, v55, v70
	v_add_nc_u32_e32 v67, -1, v69
	v_cndmask_b32_e64 v55, 0, v67, s16
	v_lshrrev_b32_e32 v67, 23, v68
	s_mov_b32 s16, exec_lo
	v_add_nc_u32_e32 v55, v55, v68
	v_xor_b32_e32 v67, 1, v67
	v_and_b32_e32 v53, 0x1fffff, v55
	v_add_nc_u32_e32 v55, v53, v68
                                        ; implicit-def: $vgpr53
	v_cmpx_ne_u32_e64 v66, v67
	s_xor_b32 s16, exec_lo, s16
; %bb.2780:                             ;   in Loop: Header=BB6_2469 Depth=3
	v_cmp_lt_u32_e32 vcc_lo, 0xffffff, v55
	v_sub_nc_u32_e32 v53, v66, v67
	v_cndmask_b32_e64 v66, 0, 1, vcc_lo
	v_add_co_ci_u32_e64 v53, null, 0, v53, vcc_lo
	v_lshrrev_b32_e32 v55, v66, v55
; %bb.2781:                             ;   in Loop: Header=BB6_2469 Depth=3
	s_andn2_saveexec_b32 s16, s16
; %bb.2782:                             ;   in Loop: Header=BB6_2469 Depth=3
	v_bfe_u32 v53, v55, 23, 1
; %bb.2783:                             ;   in Loop: Header=BB6_2469 Depth=3
	s_or_b32 exec_lo, exec_lo, s16
	v_lshrrev_b32_e32 v55, 21, v55
	v_cmp_gt_i32_e32 vcc_lo, 32, v53
	v_min_i32_e32 v66, 31, v53
	v_and_b32_sdwa v54, v54, v117 dst_sel:DWORD dst_unused:UNUSED_PAD src0_sel:BYTE_3 src1_sel:DWORD
	v_cndmask_b32_e32 v55, 3, v55, vcc_lo
	v_lshlrev_b32_e32 v66, 2, v66
	v_and_b32_e32 v67, 3, v55
	v_or_b32_e32 v53, v53, v55
	v_or3_b32 v54, v66, v54, v67
	v_cmp_ne_u32_e32 vcc_lo, 0, v53
	v_cndmask_b32_e32 v53, 0, v54, vcc_lo
.LBB6_2784:                             ;   in Loop: Header=BB6_2469 Depth=3
	s_or_b32 exec_lo, exec_lo, s63
.LBB6_2785:                             ;   in Loop: Header=BB6_2469 Depth=3
	s_or_b32 exec_lo, exec_lo, s62
	flat_load_ubyte v54, v[8:9] offset:704 slc
	s_mov_b32 s16, 0
	s_mov_b32 s62, exec_lo
	s_waitcnt vmcnt(0) lgkmcnt(0)
	v_cmpx_lt_i16_e32 0x7f, v54
	s_xor_b32 s62, exec_lo, s62
	s_cbranch_execz .LBB6_2967
; %bb.2786:                             ;   in Loop: Header=BB6_2469 Depth=3
	s_mov_b32 s16, -1
	s_mov_b32 s63, exec_lo
	v_cmpx_eq_u16_e32 0x80, v54
; %bb.2787:                             ;   in Loop: Header=BB6_2469 Depth=3
	s_xor_b32 s16, exec_lo, -1
; %bb.2788:                             ;   in Loop: Header=BB6_2469 Depth=3
	s_or_b32 exec_lo, exec_lo, s63
	s_and_b32 s16, s16, exec_lo
	s_or_saveexec_b32 s62, s62
	v_mov_b32_e32 v55, 0x7f800001
	s_xor_b32 exec_lo, exec_lo, s62
	s_cbranch_execnz .LBB6_2968
.LBB6_2789:                             ;   in Loop: Header=BB6_2469 Depth=3
	s_or_b32 exec_lo, exec_lo, s62
	s_and_saveexec_b32 s62, s16
	s_cbranch_execz .LBB6_2791
.LBB6_2790:                             ;   in Loop: Header=BB6_2469 Depth=3
	v_and_b32_e32 v55, 0xffff, v54
	v_lshlrev_b32_e32 v54, 24, v54
	v_and_b32_e32 v66, 3, v55
	v_bfe_u32 v69, v55, 2, 5
	v_and_b32_e32 v54, 0x80000000, v54
	v_ffbh_u32_e32 v67, v66
	v_cmp_eq_u32_e32 vcc_lo, 0, v69
	v_min_u32_e32 v67, 32, v67
	v_subrev_nc_u32_e32 v68, 29, v67
	v_sub_nc_u32_e32 v67, 30, v67
	v_lshlrev_b32_e32 v55, v68, v55
	v_cndmask_b32_e32 v67, v69, v67, vcc_lo
	v_and_b32_e32 v55, 3, v55
	v_cndmask_b32_e32 v55, v66, v55, vcc_lo
	v_lshl_add_u32 v66, v67, 23, 0x37800000
	v_lshlrev_b32_e32 v55, 21, v55
	v_or3_b32 v55, v54, v66, v55
.LBB6_2791:                             ;   in Loop: Header=BB6_2469 Depth=3
	s_or_b32 exec_lo, exec_lo, s62
	v_mul_f32_e32 v55, v11, v55
	v_and_b32_e32 v54, 0x7f800000, v55
	v_cmp_ne_u32_e32 vcc_lo, 0x7f800000, v54
	v_mov_b32_e32 v54, 0x80
	s_and_saveexec_b32 s62, vcc_lo
	s_cbranch_execz .LBB6_2799
; %bb.2792:                             ;   in Loop: Header=BB6_2469 Depth=3
	v_mov_b32_e32 v54, 0
	s_mov_b32 s63, exec_lo
	v_cmpx_ne_u32_e32 0, v55
	s_cbranch_execz .LBB6_2798
; %bb.2793:                             ;   in Loop: Header=BB6_2469 Depth=3
	v_bfe_u32 v54, v55, 23, 8
	v_and_b32_e32 v66, 0x7fffff, v55
	v_sub_nc_u32_e32 v67, 0x70, v54
	v_cmp_gt_u32_e32 vcc_lo, 0x71, v54
	v_or_b32_e32 v68, 0x800000, v66
	v_cndmask_b32_e32 v67, 0, v67, vcc_lo
	v_cmp_eq_u32_e32 vcc_lo, 0, v54
	v_add_nc_u32_e32 v54, 0xffffff91, v54
	v_cndmask_b32_e64 v67, v67, 0x6f, vcc_lo
	v_cndmask_b32_e32 v66, v68, v66, vcc_lo
	v_cndmask_b32_e64 v54, v54, 0xffffff92, vcc_lo
	v_lshl_add_u32 v68, 0x200000, v67, -1
	v_lshrrev_b32_e32 v69, v67, v66
	v_lshlrev_b32_e64 v80, v67, 0x100000
	v_add_nc_u32_e32 v67, v67, v54
	v_and_b32_e32 v66, v68, v66
	v_bfe_u32 v70, v69, 21, 1
	v_cmp_eq_u32_e64 s16, v66, v80
	v_add_nc_u32_e32 v68, -1, v70
	v_cndmask_b32_e64 v66, 0, v68, s16
	v_lshrrev_b32_e32 v68, 23, v69
	s_mov_b32 s16, exec_lo
	v_add_nc_u32_e32 v66, v66, v69
	v_xor_b32_e32 v68, 1, v68
	v_and_b32_e32 v54, 0x1fffff, v66
	v_add_nc_u32_e32 v66, v54, v69
                                        ; implicit-def: $vgpr54
	v_cmpx_ne_u32_e64 v67, v68
	s_xor_b32 s16, exec_lo, s16
; %bb.2794:                             ;   in Loop: Header=BB6_2469 Depth=3
	v_cmp_lt_u32_e32 vcc_lo, 0xffffff, v66
	v_sub_nc_u32_e32 v54, v67, v68
	v_cndmask_b32_e64 v67, 0, 1, vcc_lo
	v_add_co_ci_u32_e64 v54, null, 0, v54, vcc_lo
	v_lshrrev_b32_e32 v66, v67, v66
; %bb.2795:                             ;   in Loop: Header=BB6_2469 Depth=3
	s_andn2_saveexec_b32 s16, s16
; %bb.2796:                             ;   in Loop: Header=BB6_2469 Depth=3
	v_bfe_u32 v54, v66, 23, 1
; %bb.2797:                             ;   in Loop: Header=BB6_2469 Depth=3
	s_or_b32 exec_lo, exec_lo, s16
	v_lshrrev_b32_e32 v66, 21, v66
	v_cmp_gt_i32_e32 vcc_lo, 32, v54
	v_min_i32_e32 v67, 31, v54
	v_and_b32_sdwa v55, v55, v117 dst_sel:DWORD dst_unused:UNUSED_PAD src0_sel:BYTE_3 src1_sel:DWORD
	v_cndmask_b32_e32 v66, 3, v66, vcc_lo
	v_lshlrev_b32_e32 v67, 2, v67
	v_and_b32_e32 v68, 3, v66
	v_or_b32_e32 v54, v54, v66
	v_or3_b32 v55, v67, v55, v68
	v_cmp_ne_u32_e32 vcc_lo, 0, v54
	v_cndmask_b32_e32 v54, 0, v55, vcc_lo
.LBB6_2798:                             ;   in Loop: Header=BB6_2469 Depth=3
	s_or_b32 exec_lo, exec_lo, s63
.LBB6_2799:                             ;   in Loop: Header=BB6_2469 Depth=3
	s_or_b32 exec_lo, exec_lo, s62
	flat_load_ubyte v55, v[8:9] offset:736 slc
	s_mov_b32 s16, 0
	s_mov_b32 s62, exec_lo
	s_waitcnt vmcnt(0) lgkmcnt(0)
	v_cmpx_lt_i16_e32 0x7f, v55
	s_xor_b32 s62, exec_lo, s62
	s_cbranch_execz .LBB6_2969
; %bb.2800:                             ;   in Loop: Header=BB6_2469 Depth=3
	s_mov_b32 s16, -1
	s_mov_b32 s63, exec_lo
	v_cmpx_eq_u16_e32 0x80, v55
; %bb.2801:                             ;   in Loop: Header=BB6_2469 Depth=3
	s_xor_b32 s16, exec_lo, -1
; %bb.2802:                             ;   in Loop: Header=BB6_2469 Depth=3
	s_or_b32 exec_lo, exec_lo, s63
	s_and_b32 s16, s16, exec_lo
	s_or_saveexec_b32 s62, s62
	v_mov_b32_e32 v66, 0x7f800001
	s_xor_b32 exec_lo, exec_lo, s62
	s_cbranch_execnz .LBB6_2970
.LBB6_2803:                             ;   in Loop: Header=BB6_2469 Depth=3
	s_or_b32 exec_lo, exec_lo, s62
	s_and_saveexec_b32 s62, s16
	s_cbranch_execz .LBB6_2805
.LBB6_2804:                             ;   in Loop: Header=BB6_2469 Depth=3
	v_and_b32_e32 v66, 0xffff, v55
	v_lshlrev_b32_e32 v55, 24, v55
	v_and_b32_e32 v67, 3, v66
	v_bfe_u32 v70, v66, 2, 5
	v_and_b32_e32 v55, 0x80000000, v55
	v_ffbh_u32_e32 v68, v67
	v_cmp_eq_u32_e32 vcc_lo, 0, v70
	v_min_u32_e32 v68, 32, v68
	v_subrev_nc_u32_e32 v69, 29, v68
	v_sub_nc_u32_e32 v68, 30, v68
	v_lshlrev_b32_e32 v66, v69, v66
	v_cndmask_b32_e32 v68, v70, v68, vcc_lo
	v_and_b32_e32 v66, 3, v66
	v_cndmask_b32_e32 v66, v67, v66, vcc_lo
	v_lshl_add_u32 v67, v68, 23, 0x37800000
	v_lshlrev_b32_e32 v66, 21, v66
	v_or3_b32 v66, v55, v67, v66
.LBB6_2805:                             ;   in Loop: Header=BB6_2469 Depth=3
	s_or_b32 exec_lo, exec_lo, s62
	v_mul_f32_e32 v66, v11, v66
	v_and_b32_e32 v55, 0x7f800000, v66
	v_cmp_ne_u32_e32 vcc_lo, 0x7f800000, v55
	v_mov_b32_e32 v55, 0x80
	s_and_saveexec_b32 s62, vcc_lo
	s_cbranch_execz .LBB6_2813
; %bb.2806:                             ;   in Loop: Header=BB6_2469 Depth=3
	v_mov_b32_e32 v55, 0
	s_mov_b32 s63, exec_lo
	v_cmpx_ne_u32_e32 0, v66
	s_cbranch_execz .LBB6_2812
; %bb.2807:                             ;   in Loop: Header=BB6_2469 Depth=3
	v_bfe_u32 v55, v66, 23, 8
	v_and_b32_e32 v67, 0x7fffff, v66
	v_sub_nc_u32_e32 v68, 0x70, v55
	v_cmp_gt_u32_e32 vcc_lo, 0x71, v55
	v_or_b32_e32 v69, 0x800000, v67
	v_cndmask_b32_e32 v68, 0, v68, vcc_lo
	v_cmp_eq_u32_e32 vcc_lo, 0, v55
	v_add_nc_u32_e32 v55, 0xffffff91, v55
	v_cndmask_b32_e64 v68, v68, 0x6f, vcc_lo
	v_cndmask_b32_e32 v67, v69, v67, vcc_lo
	v_cndmask_b32_e64 v55, v55, 0xffffff92, vcc_lo
	v_lshl_add_u32 v69, 0x200000, v68, -1
	v_lshrrev_b32_e32 v70, v68, v67
	v_lshlrev_b32_e64 v81, v68, 0x100000
	v_add_nc_u32_e32 v68, v68, v55
	v_and_b32_e32 v67, v69, v67
	v_bfe_u32 v80, v70, 21, 1
	v_cmp_eq_u32_e64 s16, v67, v81
	v_add_nc_u32_e32 v69, -1, v80
	v_cndmask_b32_e64 v67, 0, v69, s16
	v_lshrrev_b32_e32 v69, 23, v70
	s_mov_b32 s16, exec_lo
	v_add_nc_u32_e32 v67, v67, v70
	v_xor_b32_e32 v69, 1, v69
	v_and_b32_e32 v55, 0x1fffff, v67
	v_add_nc_u32_e32 v67, v55, v70
                                        ; implicit-def: $vgpr55
	v_cmpx_ne_u32_e64 v68, v69
	s_xor_b32 s16, exec_lo, s16
; %bb.2808:                             ;   in Loop: Header=BB6_2469 Depth=3
	v_cmp_lt_u32_e32 vcc_lo, 0xffffff, v67
	v_sub_nc_u32_e32 v55, v68, v69
	v_cndmask_b32_e64 v68, 0, 1, vcc_lo
	v_add_co_ci_u32_e64 v55, null, 0, v55, vcc_lo
	v_lshrrev_b32_e32 v67, v68, v67
; %bb.2809:                             ;   in Loop: Header=BB6_2469 Depth=3
	s_andn2_saveexec_b32 s16, s16
; %bb.2810:                             ;   in Loop: Header=BB6_2469 Depth=3
	v_bfe_u32 v55, v67, 23, 1
; %bb.2811:                             ;   in Loop: Header=BB6_2469 Depth=3
	s_or_b32 exec_lo, exec_lo, s16
	v_lshrrev_b32_e32 v67, 21, v67
	v_cmp_gt_i32_e32 vcc_lo, 32, v55
	v_min_i32_e32 v68, 31, v55
	v_and_b32_sdwa v66, v66, v117 dst_sel:DWORD dst_unused:UNUSED_PAD src0_sel:BYTE_3 src1_sel:DWORD
	v_cndmask_b32_e32 v67, 3, v67, vcc_lo
	v_lshlrev_b32_e32 v68, 2, v68
	v_and_b32_e32 v69, 3, v67
	v_or_b32_e32 v55, v55, v67
	v_or3_b32 v66, v68, v66, v69
	v_cmp_ne_u32_e32 vcc_lo, 0, v55
	v_cndmask_b32_e32 v55, 0, v66, vcc_lo
.LBB6_2812:                             ;   in Loop: Header=BB6_2469 Depth=3
	s_or_b32 exec_lo, exec_lo, s63
.LBB6_2813:                             ;   in Loop: Header=BB6_2469 Depth=3
	s_or_b32 exec_lo, exec_lo, s62
	flat_load_ubyte v66, v[8:9] offset:768 slc
	s_mov_b32 s16, 0
	s_mov_b32 s62, exec_lo
	s_waitcnt vmcnt(0) lgkmcnt(0)
	v_cmpx_lt_i16_e32 0x7f, v66
	s_xor_b32 s62, exec_lo, s62
	s_cbranch_execz .LBB6_2971
; %bb.2814:                             ;   in Loop: Header=BB6_2469 Depth=3
	s_mov_b32 s16, -1
	s_mov_b32 s63, exec_lo
	v_cmpx_eq_u16_e32 0x80, v66
; %bb.2815:                             ;   in Loop: Header=BB6_2469 Depth=3
	s_xor_b32 s16, exec_lo, -1
; %bb.2816:                             ;   in Loop: Header=BB6_2469 Depth=3
	s_or_b32 exec_lo, exec_lo, s63
	s_and_b32 s16, s16, exec_lo
	s_or_saveexec_b32 s62, s62
	v_mov_b32_e32 v67, 0x7f800001
	s_xor_b32 exec_lo, exec_lo, s62
	s_cbranch_execnz .LBB6_2972
.LBB6_2817:                             ;   in Loop: Header=BB6_2469 Depth=3
	s_or_b32 exec_lo, exec_lo, s62
	s_and_saveexec_b32 s62, s16
	s_cbranch_execz .LBB6_2819
.LBB6_2818:                             ;   in Loop: Header=BB6_2469 Depth=3
	v_and_b32_e32 v67, 0xffff, v66
	v_lshlrev_b32_e32 v66, 24, v66
	v_and_b32_e32 v68, 3, v67
	v_bfe_u32 v80, v67, 2, 5
	v_and_b32_e32 v66, 0x80000000, v66
	v_ffbh_u32_e32 v69, v68
	v_cmp_eq_u32_e32 vcc_lo, 0, v80
	v_min_u32_e32 v69, 32, v69
	v_subrev_nc_u32_e32 v70, 29, v69
	v_sub_nc_u32_e32 v69, 30, v69
	v_lshlrev_b32_e32 v67, v70, v67
	v_cndmask_b32_e32 v69, v80, v69, vcc_lo
	v_and_b32_e32 v67, 3, v67
	v_cndmask_b32_e32 v67, v68, v67, vcc_lo
	v_lshl_add_u32 v68, v69, 23, 0x37800000
	v_lshlrev_b32_e32 v67, 21, v67
	v_or3_b32 v67, v66, v68, v67
.LBB6_2819:                             ;   in Loop: Header=BB6_2469 Depth=3
	s_or_b32 exec_lo, exec_lo, s62
	v_mul_f32_e32 v67, v11, v67
	v_and_b32_e32 v66, 0x7f800000, v67
	v_cmp_ne_u32_e32 vcc_lo, 0x7f800000, v66
	v_mov_b32_e32 v66, 0x80
	s_and_saveexec_b32 s62, vcc_lo
	s_cbranch_execz .LBB6_2827
; %bb.2820:                             ;   in Loop: Header=BB6_2469 Depth=3
	v_mov_b32_e32 v66, 0
	s_mov_b32 s63, exec_lo
	v_cmpx_ne_u32_e32 0, v67
	s_cbranch_execz .LBB6_2826
; %bb.2821:                             ;   in Loop: Header=BB6_2469 Depth=3
	v_bfe_u32 v66, v67, 23, 8
	v_and_b32_e32 v68, 0x7fffff, v67
	v_sub_nc_u32_e32 v69, 0x70, v66
	v_cmp_gt_u32_e32 vcc_lo, 0x71, v66
	v_or_b32_e32 v70, 0x800000, v68
	v_cndmask_b32_e32 v69, 0, v69, vcc_lo
	v_cmp_eq_u32_e32 vcc_lo, 0, v66
	v_add_nc_u32_e32 v66, 0xffffff91, v66
	v_cndmask_b32_e64 v69, v69, 0x6f, vcc_lo
	v_cndmask_b32_e32 v68, v70, v68, vcc_lo
	v_cndmask_b32_e64 v66, v66, 0xffffff92, vcc_lo
	v_lshl_add_u32 v70, 0x200000, v69, -1
	v_lshrrev_b32_e32 v80, v69, v68
	v_lshlrev_b32_e64 v82, v69, 0x100000
	v_add_nc_u32_e32 v69, v69, v66
	v_and_b32_e32 v68, v70, v68
	v_bfe_u32 v81, v80, 21, 1
	v_cmp_eq_u32_e64 s16, v68, v82
	v_add_nc_u32_e32 v70, -1, v81
	v_cndmask_b32_e64 v68, 0, v70, s16
	v_lshrrev_b32_e32 v70, 23, v80
	s_mov_b32 s16, exec_lo
	v_add_nc_u32_e32 v68, v68, v80
	v_xor_b32_e32 v70, 1, v70
	v_and_b32_e32 v66, 0x1fffff, v68
	v_add_nc_u32_e32 v68, v66, v80
                                        ; implicit-def: $vgpr66
	v_cmpx_ne_u32_e64 v69, v70
	s_xor_b32 s16, exec_lo, s16
; %bb.2822:                             ;   in Loop: Header=BB6_2469 Depth=3
	v_cmp_lt_u32_e32 vcc_lo, 0xffffff, v68
	v_sub_nc_u32_e32 v66, v69, v70
	v_cndmask_b32_e64 v69, 0, 1, vcc_lo
	v_add_co_ci_u32_e64 v66, null, 0, v66, vcc_lo
	v_lshrrev_b32_e32 v68, v69, v68
; %bb.2823:                             ;   in Loop: Header=BB6_2469 Depth=3
	s_andn2_saveexec_b32 s16, s16
; %bb.2824:                             ;   in Loop: Header=BB6_2469 Depth=3
	v_bfe_u32 v66, v68, 23, 1
; %bb.2825:                             ;   in Loop: Header=BB6_2469 Depth=3
	s_or_b32 exec_lo, exec_lo, s16
	v_lshrrev_b32_e32 v68, 21, v68
	v_cmp_gt_i32_e32 vcc_lo, 32, v66
	v_min_i32_e32 v69, 31, v66
	v_and_b32_sdwa v67, v67, v117 dst_sel:DWORD dst_unused:UNUSED_PAD src0_sel:BYTE_3 src1_sel:DWORD
	v_cndmask_b32_e32 v68, 3, v68, vcc_lo
	v_lshlrev_b32_e32 v69, 2, v69
	v_and_b32_e32 v70, 3, v68
	v_or_b32_e32 v66, v66, v68
	v_or3_b32 v67, v69, v67, v70
	v_cmp_ne_u32_e32 vcc_lo, 0, v66
	v_cndmask_b32_e32 v66, 0, v67, vcc_lo
.LBB6_2826:                             ;   in Loop: Header=BB6_2469 Depth=3
	s_or_b32 exec_lo, exec_lo, s63
.LBB6_2827:                             ;   in Loop: Header=BB6_2469 Depth=3
	s_or_b32 exec_lo, exec_lo, s62
	flat_load_ubyte v67, v[8:9] offset:800 slc
	s_mov_b32 s16, 0
	s_mov_b32 s62, exec_lo
	s_waitcnt vmcnt(0) lgkmcnt(0)
	v_cmpx_lt_i16_e32 0x7f, v67
	s_xor_b32 s62, exec_lo, s62
	s_cbranch_execz .LBB6_2973
; %bb.2828:                             ;   in Loop: Header=BB6_2469 Depth=3
	s_mov_b32 s16, -1
	s_mov_b32 s63, exec_lo
	v_cmpx_eq_u16_e32 0x80, v67
; %bb.2829:                             ;   in Loop: Header=BB6_2469 Depth=3
	s_xor_b32 s16, exec_lo, -1
; %bb.2830:                             ;   in Loop: Header=BB6_2469 Depth=3
	s_or_b32 exec_lo, exec_lo, s63
	s_and_b32 s16, s16, exec_lo
	s_or_saveexec_b32 s62, s62
	v_mov_b32_e32 v68, 0x7f800001
	s_xor_b32 exec_lo, exec_lo, s62
	s_cbranch_execnz .LBB6_2974
.LBB6_2831:                             ;   in Loop: Header=BB6_2469 Depth=3
	s_or_b32 exec_lo, exec_lo, s62
	s_and_saveexec_b32 s62, s16
	s_cbranch_execz .LBB6_2833
.LBB6_2832:                             ;   in Loop: Header=BB6_2469 Depth=3
	v_and_b32_e32 v68, 0xffff, v67
	v_lshlrev_b32_e32 v67, 24, v67
	v_and_b32_e32 v69, 3, v68
	v_bfe_u32 v81, v68, 2, 5
	v_and_b32_e32 v67, 0x80000000, v67
	v_ffbh_u32_e32 v70, v69
	v_cmp_eq_u32_e32 vcc_lo, 0, v81
	v_min_u32_e32 v70, 32, v70
	v_subrev_nc_u32_e32 v80, 29, v70
	v_sub_nc_u32_e32 v70, 30, v70
	v_lshlrev_b32_e32 v68, v80, v68
	v_cndmask_b32_e32 v70, v81, v70, vcc_lo
	v_and_b32_e32 v68, 3, v68
	v_cndmask_b32_e32 v68, v69, v68, vcc_lo
	v_lshl_add_u32 v69, v70, 23, 0x37800000
	v_lshlrev_b32_e32 v68, 21, v68
	v_or3_b32 v68, v67, v69, v68
.LBB6_2833:                             ;   in Loop: Header=BB6_2469 Depth=3
	s_or_b32 exec_lo, exec_lo, s62
	v_mul_f32_e32 v68, v11, v68
	v_and_b32_e32 v67, 0x7f800000, v68
	v_cmp_ne_u32_e32 vcc_lo, 0x7f800000, v67
	v_mov_b32_e32 v67, 0x80
	s_and_saveexec_b32 s62, vcc_lo
	s_cbranch_execz .LBB6_2841
; %bb.2834:                             ;   in Loop: Header=BB6_2469 Depth=3
	v_mov_b32_e32 v67, 0
	s_mov_b32 s63, exec_lo
	v_cmpx_ne_u32_e32 0, v68
	s_cbranch_execz .LBB6_2840
; %bb.2835:                             ;   in Loop: Header=BB6_2469 Depth=3
	v_bfe_u32 v67, v68, 23, 8
	v_and_b32_e32 v69, 0x7fffff, v68
	v_sub_nc_u32_e32 v70, 0x70, v67
	v_cmp_gt_u32_e32 vcc_lo, 0x71, v67
	v_or_b32_e32 v80, 0x800000, v69
	v_cndmask_b32_e32 v70, 0, v70, vcc_lo
	v_cmp_eq_u32_e32 vcc_lo, 0, v67
	v_add_nc_u32_e32 v67, 0xffffff91, v67
	v_cndmask_b32_e64 v70, v70, 0x6f, vcc_lo
	v_cndmask_b32_e32 v69, v80, v69, vcc_lo
	v_cndmask_b32_e64 v67, v67, 0xffffff92, vcc_lo
	v_lshl_add_u32 v80, 0x200000, v70, -1
	v_lshrrev_b32_e32 v81, v70, v69
	v_lshlrev_b32_e64 v83, v70, 0x100000
	v_add_nc_u32_e32 v70, v70, v67
	v_and_b32_e32 v69, v80, v69
	v_bfe_u32 v82, v81, 21, 1
	v_cmp_eq_u32_e64 s16, v69, v83
	v_add_nc_u32_e32 v80, -1, v82
	v_cndmask_b32_e64 v69, 0, v80, s16
	v_lshrrev_b32_e32 v80, 23, v81
	s_mov_b32 s16, exec_lo
	v_add_nc_u32_e32 v69, v69, v81
	v_xor_b32_e32 v80, 1, v80
	v_and_b32_e32 v67, 0x1fffff, v69
	v_add_nc_u32_e32 v69, v67, v81
                                        ; implicit-def: $vgpr67
	v_cmpx_ne_u32_e64 v70, v80
	s_xor_b32 s16, exec_lo, s16
; %bb.2836:                             ;   in Loop: Header=BB6_2469 Depth=3
	v_cmp_lt_u32_e32 vcc_lo, 0xffffff, v69
	v_sub_nc_u32_e32 v67, v70, v80
	v_cndmask_b32_e64 v70, 0, 1, vcc_lo
	v_add_co_ci_u32_e64 v67, null, 0, v67, vcc_lo
	v_lshrrev_b32_e32 v69, v70, v69
; %bb.2837:                             ;   in Loop: Header=BB6_2469 Depth=3
	s_andn2_saveexec_b32 s16, s16
; %bb.2838:                             ;   in Loop: Header=BB6_2469 Depth=3
	v_bfe_u32 v67, v69, 23, 1
; %bb.2839:                             ;   in Loop: Header=BB6_2469 Depth=3
	s_or_b32 exec_lo, exec_lo, s16
	v_lshrrev_b32_e32 v69, 21, v69
	v_cmp_gt_i32_e32 vcc_lo, 32, v67
	v_min_i32_e32 v70, 31, v67
	v_and_b32_sdwa v68, v68, v117 dst_sel:DWORD dst_unused:UNUSED_PAD src0_sel:BYTE_3 src1_sel:DWORD
	v_cndmask_b32_e32 v69, 3, v69, vcc_lo
	v_lshlrev_b32_e32 v70, 2, v70
	v_and_b32_e32 v80, 3, v69
	v_or_b32_e32 v67, v67, v69
	v_or3_b32 v68, v70, v68, v80
	v_cmp_ne_u32_e32 vcc_lo, 0, v67
	v_cndmask_b32_e32 v67, 0, v68, vcc_lo
.LBB6_2840:                             ;   in Loop: Header=BB6_2469 Depth=3
	s_or_b32 exec_lo, exec_lo, s63
.LBB6_2841:                             ;   in Loop: Header=BB6_2469 Depth=3
	s_or_b32 exec_lo, exec_lo, s62
	flat_load_ubyte v68, v[8:9] offset:832 slc
	s_mov_b32 s16, 0
	s_mov_b32 s62, exec_lo
	s_waitcnt vmcnt(0) lgkmcnt(0)
	v_cmpx_lt_i16_e32 0x7f, v68
	s_xor_b32 s62, exec_lo, s62
	s_cbranch_execz .LBB6_2975
; %bb.2842:                             ;   in Loop: Header=BB6_2469 Depth=3
	s_mov_b32 s16, -1
	s_mov_b32 s63, exec_lo
	v_cmpx_eq_u16_e32 0x80, v68
; %bb.2843:                             ;   in Loop: Header=BB6_2469 Depth=3
	s_xor_b32 s16, exec_lo, -1
; %bb.2844:                             ;   in Loop: Header=BB6_2469 Depth=3
	s_or_b32 exec_lo, exec_lo, s63
	s_and_b32 s16, s16, exec_lo
	s_or_saveexec_b32 s62, s62
	v_mov_b32_e32 v69, 0x7f800001
	s_xor_b32 exec_lo, exec_lo, s62
	s_cbranch_execnz .LBB6_2976
.LBB6_2845:                             ;   in Loop: Header=BB6_2469 Depth=3
	s_or_b32 exec_lo, exec_lo, s62
	s_and_saveexec_b32 s62, s16
	s_cbranch_execz .LBB6_2847
.LBB6_2846:                             ;   in Loop: Header=BB6_2469 Depth=3
	v_and_b32_e32 v69, 0xffff, v68
	v_lshlrev_b32_e32 v68, 24, v68
	v_and_b32_e32 v70, 3, v69
	v_bfe_u32 v82, v69, 2, 5
	v_and_b32_e32 v68, 0x80000000, v68
	v_ffbh_u32_e32 v80, v70
	v_cmp_eq_u32_e32 vcc_lo, 0, v82
	v_min_u32_e32 v80, 32, v80
	v_subrev_nc_u32_e32 v81, 29, v80
	v_sub_nc_u32_e32 v80, 30, v80
	v_lshlrev_b32_e32 v69, v81, v69
	v_cndmask_b32_e32 v80, v82, v80, vcc_lo
	v_and_b32_e32 v69, 3, v69
	v_cndmask_b32_e32 v69, v70, v69, vcc_lo
	v_lshl_add_u32 v70, v80, 23, 0x37800000
	v_lshlrev_b32_e32 v69, 21, v69
	v_or3_b32 v69, v68, v70, v69
.LBB6_2847:                             ;   in Loop: Header=BB6_2469 Depth=3
	s_or_b32 exec_lo, exec_lo, s62
	v_mul_f32_e32 v69, v11, v69
	v_and_b32_e32 v68, 0x7f800000, v69
	v_cmp_ne_u32_e32 vcc_lo, 0x7f800000, v68
	v_mov_b32_e32 v68, 0x80
	s_and_saveexec_b32 s62, vcc_lo
	s_cbranch_execz .LBB6_2855
; %bb.2848:                             ;   in Loop: Header=BB6_2469 Depth=3
	v_mov_b32_e32 v68, 0
	s_mov_b32 s63, exec_lo
	v_cmpx_ne_u32_e32 0, v69
	s_cbranch_execz .LBB6_2854
; %bb.2849:                             ;   in Loop: Header=BB6_2469 Depth=3
	v_bfe_u32 v68, v69, 23, 8
	v_and_b32_e32 v70, 0x7fffff, v69
	v_sub_nc_u32_e32 v80, 0x70, v68
	v_cmp_gt_u32_e32 vcc_lo, 0x71, v68
	v_or_b32_e32 v81, 0x800000, v70
	v_cndmask_b32_e32 v80, 0, v80, vcc_lo
	v_cmp_eq_u32_e32 vcc_lo, 0, v68
	v_add_nc_u32_e32 v68, 0xffffff91, v68
	v_cndmask_b32_e64 v80, v80, 0x6f, vcc_lo
	v_cndmask_b32_e32 v70, v81, v70, vcc_lo
	v_cndmask_b32_e64 v68, v68, 0xffffff92, vcc_lo
	v_lshl_add_u32 v81, 0x200000, v80, -1
	v_lshrrev_b32_e32 v82, v80, v70
	v_lshlrev_b32_e64 v84, v80, 0x100000
	v_add_nc_u32_e32 v80, v80, v68
	v_and_b32_e32 v70, v81, v70
	v_bfe_u32 v83, v82, 21, 1
	v_cmp_eq_u32_e64 s16, v70, v84
	v_add_nc_u32_e32 v81, -1, v83
	v_cndmask_b32_e64 v70, 0, v81, s16
	v_lshrrev_b32_e32 v81, 23, v82
	s_mov_b32 s16, exec_lo
	v_add_nc_u32_e32 v70, v70, v82
	v_xor_b32_e32 v81, 1, v81
	v_and_b32_e32 v68, 0x1fffff, v70
	v_add_nc_u32_e32 v70, v68, v82
                                        ; implicit-def: $vgpr68
	v_cmpx_ne_u32_e64 v80, v81
	s_xor_b32 s16, exec_lo, s16
; %bb.2850:                             ;   in Loop: Header=BB6_2469 Depth=3
	v_cmp_lt_u32_e32 vcc_lo, 0xffffff, v70
	v_sub_nc_u32_e32 v68, v80, v81
	v_cndmask_b32_e64 v80, 0, 1, vcc_lo
	v_add_co_ci_u32_e64 v68, null, 0, v68, vcc_lo
	v_lshrrev_b32_e32 v70, v80, v70
; %bb.2851:                             ;   in Loop: Header=BB6_2469 Depth=3
	s_andn2_saveexec_b32 s16, s16
; %bb.2852:                             ;   in Loop: Header=BB6_2469 Depth=3
	v_bfe_u32 v68, v70, 23, 1
; %bb.2853:                             ;   in Loop: Header=BB6_2469 Depth=3
	s_or_b32 exec_lo, exec_lo, s16
	v_lshrrev_b32_e32 v70, 21, v70
	v_cmp_gt_i32_e32 vcc_lo, 32, v68
	v_min_i32_e32 v80, 31, v68
	v_and_b32_sdwa v69, v69, v117 dst_sel:DWORD dst_unused:UNUSED_PAD src0_sel:BYTE_3 src1_sel:DWORD
	v_cndmask_b32_e32 v70, 3, v70, vcc_lo
	v_lshlrev_b32_e32 v80, 2, v80
	v_and_b32_e32 v81, 3, v70
	v_or_b32_e32 v68, v68, v70
	v_or3_b32 v69, v80, v69, v81
	v_cmp_ne_u32_e32 vcc_lo, 0, v68
	v_cndmask_b32_e32 v68, 0, v69, vcc_lo
.LBB6_2854:                             ;   in Loop: Header=BB6_2469 Depth=3
	s_or_b32 exec_lo, exec_lo, s63
.LBB6_2855:                             ;   in Loop: Header=BB6_2469 Depth=3
	s_or_b32 exec_lo, exec_lo, s62
	flat_load_ubyte v69, v[8:9] offset:864 slc
	s_mov_b32 s16, 0
	s_mov_b32 s62, exec_lo
	s_waitcnt vmcnt(0) lgkmcnt(0)
	v_cmpx_lt_i16_e32 0x7f, v69
	s_xor_b32 s62, exec_lo, s62
	s_cbranch_execz .LBB6_2977
; %bb.2856:                             ;   in Loop: Header=BB6_2469 Depth=3
	s_mov_b32 s16, -1
	s_mov_b32 s63, exec_lo
	v_cmpx_eq_u16_e32 0x80, v69
; %bb.2857:                             ;   in Loop: Header=BB6_2469 Depth=3
	s_xor_b32 s16, exec_lo, -1
; %bb.2858:                             ;   in Loop: Header=BB6_2469 Depth=3
	s_or_b32 exec_lo, exec_lo, s63
	s_and_b32 s16, s16, exec_lo
	s_or_saveexec_b32 s62, s62
	v_mov_b32_e32 v70, 0x7f800001
	s_xor_b32 exec_lo, exec_lo, s62
	s_cbranch_execnz .LBB6_2978
.LBB6_2859:                             ;   in Loop: Header=BB6_2469 Depth=3
	s_or_b32 exec_lo, exec_lo, s62
	s_and_saveexec_b32 s62, s16
	s_cbranch_execz .LBB6_2861
.LBB6_2860:                             ;   in Loop: Header=BB6_2469 Depth=3
	v_and_b32_e32 v70, 0xffff, v69
	v_lshlrev_b32_e32 v69, 24, v69
	v_and_b32_e32 v80, 3, v70
	v_bfe_u32 v83, v70, 2, 5
	v_and_b32_e32 v69, 0x80000000, v69
	v_ffbh_u32_e32 v81, v80
	v_cmp_eq_u32_e32 vcc_lo, 0, v83
	v_min_u32_e32 v81, 32, v81
	v_subrev_nc_u32_e32 v82, 29, v81
	v_sub_nc_u32_e32 v81, 30, v81
	v_lshlrev_b32_e32 v70, v82, v70
	v_cndmask_b32_e32 v81, v83, v81, vcc_lo
	v_and_b32_e32 v70, 3, v70
	v_cndmask_b32_e32 v70, v80, v70, vcc_lo
	v_lshl_add_u32 v80, v81, 23, 0x37800000
	v_lshlrev_b32_e32 v70, 21, v70
	v_or3_b32 v70, v69, v80, v70
.LBB6_2861:                             ;   in Loop: Header=BB6_2469 Depth=3
	s_or_b32 exec_lo, exec_lo, s62
	v_mul_f32_e32 v70, v11, v70
	v_and_b32_e32 v69, 0x7f800000, v70
	v_cmp_ne_u32_e32 vcc_lo, 0x7f800000, v69
	v_mov_b32_e32 v69, 0x80
	s_and_saveexec_b32 s62, vcc_lo
	s_cbranch_execz .LBB6_2869
; %bb.2862:                             ;   in Loop: Header=BB6_2469 Depth=3
	v_mov_b32_e32 v69, 0
	s_mov_b32 s63, exec_lo
	v_cmpx_ne_u32_e32 0, v70
	s_cbranch_execz .LBB6_2868
; %bb.2863:                             ;   in Loop: Header=BB6_2469 Depth=3
	v_bfe_u32 v69, v70, 23, 8
	v_and_b32_e32 v80, 0x7fffff, v70
	v_sub_nc_u32_e32 v81, 0x70, v69
	v_cmp_gt_u32_e32 vcc_lo, 0x71, v69
	v_or_b32_e32 v82, 0x800000, v80
	v_cndmask_b32_e32 v81, 0, v81, vcc_lo
	v_cmp_eq_u32_e32 vcc_lo, 0, v69
	v_add_nc_u32_e32 v69, 0xffffff91, v69
	v_cndmask_b32_e64 v81, v81, 0x6f, vcc_lo
	v_cndmask_b32_e32 v80, v82, v80, vcc_lo
	v_cndmask_b32_e64 v69, v69, 0xffffff92, vcc_lo
	v_lshl_add_u32 v82, 0x200000, v81, -1
	v_lshrrev_b32_e32 v83, v81, v80
	v_lshlrev_b32_e64 v85, v81, 0x100000
	v_add_nc_u32_e32 v81, v81, v69
	v_and_b32_e32 v80, v82, v80
	v_bfe_u32 v84, v83, 21, 1
	v_cmp_eq_u32_e64 s16, v80, v85
	v_add_nc_u32_e32 v82, -1, v84
	v_cndmask_b32_e64 v80, 0, v82, s16
	v_lshrrev_b32_e32 v82, 23, v83
	s_mov_b32 s16, exec_lo
	v_add_nc_u32_e32 v80, v80, v83
	v_xor_b32_e32 v82, 1, v82
	v_and_b32_e32 v69, 0x1fffff, v80
	v_add_nc_u32_e32 v80, v69, v83
                                        ; implicit-def: $vgpr69
	v_cmpx_ne_u32_e64 v81, v82
	s_xor_b32 s16, exec_lo, s16
; %bb.2864:                             ;   in Loop: Header=BB6_2469 Depth=3
	v_cmp_lt_u32_e32 vcc_lo, 0xffffff, v80
	v_sub_nc_u32_e32 v69, v81, v82
	v_cndmask_b32_e64 v81, 0, 1, vcc_lo
	v_add_co_ci_u32_e64 v69, null, 0, v69, vcc_lo
	v_lshrrev_b32_e32 v80, v81, v80
; %bb.2865:                             ;   in Loop: Header=BB6_2469 Depth=3
	s_andn2_saveexec_b32 s16, s16
; %bb.2866:                             ;   in Loop: Header=BB6_2469 Depth=3
	v_bfe_u32 v69, v80, 23, 1
; %bb.2867:                             ;   in Loop: Header=BB6_2469 Depth=3
	s_or_b32 exec_lo, exec_lo, s16
	v_lshrrev_b32_e32 v80, 21, v80
	v_cmp_gt_i32_e32 vcc_lo, 32, v69
	v_min_i32_e32 v81, 31, v69
	v_and_b32_sdwa v70, v70, v117 dst_sel:DWORD dst_unused:UNUSED_PAD src0_sel:BYTE_3 src1_sel:DWORD
	v_cndmask_b32_e32 v80, 3, v80, vcc_lo
	v_lshlrev_b32_e32 v81, 2, v81
	v_and_b32_e32 v82, 3, v80
	v_or_b32_e32 v69, v69, v80
	v_or3_b32 v70, v81, v70, v82
	v_cmp_ne_u32_e32 vcc_lo, 0, v69
	v_cndmask_b32_e32 v69, 0, v70, vcc_lo
.LBB6_2868:                             ;   in Loop: Header=BB6_2469 Depth=3
	s_or_b32 exec_lo, exec_lo, s63
.LBB6_2869:                             ;   in Loop: Header=BB6_2469 Depth=3
	s_or_b32 exec_lo, exec_lo, s62
	flat_load_ubyte v70, v[8:9] offset:896 slc
	s_mov_b32 s16, 0
	s_mov_b32 s62, exec_lo
	s_waitcnt vmcnt(0) lgkmcnt(0)
	v_cmpx_lt_i16_e32 0x7f, v70
	s_xor_b32 s62, exec_lo, s62
	s_cbranch_execz .LBB6_2979
; %bb.2870:                             ;   in Loop: Header=BB6_2469 Depth=3
	s_mov_b32 s16, -1
	s_mov_b32 s63, exec_lo
	v_cmpx_eq_u16_e32 0x80, v70
; %bb.2871:                             ;   in Loop: Header=BB6_2469 Depth=3
	s_xor_b32 s16, exec_lo, -1
; %bb.2872:                             ;   in Loop: Header=BB6_2469 Depth=3
	s_or_b32 exec_lo, exec_lo, s63
	s_and_b32 s16, s16, exec_lo
	s_or_saveexec_b32 s62, s62
	v_mov_b32_e32 v80, 0x7f800001
	s_xor_b32 exec_lo, exec_lo, s62
	s_cbranch_execnz .LBB6_2980
.LBB6_2873:                             ;   in Loop: Header=BB6_2469 Depth=3
	s_or_b32 exec_lo, exec_lo, s62
	s_and_saveexec_b32 s62, s16
	s_cbranch_execz .LBB6_2875
.LBB6_2874:                             ;   in Loop: Header=BB6_2469 Depth=3
	v_and_b32_e32 v80, 0xffff, v70
	v_lshlrev_b32_e32 v70, 24, v70
	v_and_b32_e32 v81, 3, v80
	v_bfe_u32 v84, v80, 2, 5
	v_and_b32_e32 v70, 0x80000000, v70
	v_ffbh_u32_e32 v82, v81
	v_cmp_eq_u32_e32 vcc_lo, 0, v84
	v_min_u32_e32 v82, 32, v82
	v_subrev_nc_u32_e32 v83, 29, v82
	v_sub_nc_u32_e32 v82, 30, v82
	v_lshlrev_b32_e32 v80, v83, v80
	v_cndmask_b32_e32 v82, v84, v82, vcc_lo
	v_and_b32_e32 v80, 3, v80
	v_cndmask_b32_e32 v80, v81, v80, vcc_lo
	v_lshl_add_u32 v81, v82, 23, 0x37800000
	v_lshlrev_b32_e32 v80, 21, v80
	v_or3_b32 v80, v70, v81, v80
.LBB6_2875:                             ;   in Loop: Header=BB6_2469 Depth=3
	s_or_b32 exec_lo, exec_lo, s62
	v_mul_f32_e32 v80, v11, v80
	v_and_b32_e32 v70, 0x7f800000, v80
	v_cmp_ne_u32_e32 vcc_lo, 0x7f800000, v70
	v_mov_b32_e32 v70, 0x80
	s_and_saveexec_b32 s62, vcc_lo
	s_cbranch_execz .LBB6_2883
; %bb.2876:                             ;   in Loop: Header=BB6_2469 Depth=3
	v_mov_b32_e32 v70, 0
	s_mov_b32 s63, exec_lo
	v_cmpx_ne_u32_e32 0, v80
	s_cbranch_execz .LBB6_2882
; %bb.2877:                             ;   in Loop: Header=BB6_2469 Depth=3
	v_bfe_u32 v70, v80, 23, 8
	v_and_b32_e32 v81, 0x7fffff, v80
	v_sub_nc_u32_e32 v82, 0x70, v70
	v_cmp_gt_u32_e32 vcc_lo, 0x71, v70
	v_or_b32_e32 v83, 0x800000, v81
	v_cndmask_b32_e32 v82, 0, v82, vcc_lo
	v_cmp_eq_u32_e32 vcc_lo, 0, v70
	v_add_nc_u32_e32 v70, 0xffffff91, v70
	v_cndmask_b32_e64 v82, v82, 0x6f, vcc_lo
	v_cndmask_b32_e32 v81, v83, v81, vcc_lo
	v_cndmask_b32_e64 v70, v70, 0xffffff92, vcc_lo
	v_lshl_add_u32 v83, 0x200000, v82, -1
	v_lshrrev_b32_e32 v84, v82, v81
	v_lshlrev_b32_e64 v86, v82, 0x100000
	v_add_nc_u32_e32 v82, v82, v70
	v_and_b32_e32 v81, v83, v81
	v_bfe_u32 v85, v84, 21, 1
	v_cmp_eq_u32_e64 s16, v81, v86
	v_add_nc_u32_e32 v83, -1, v85
	v_cndmask_b32_e64 v81, 0, v83, s16
	v_lshrrev_b32_e32 v83, 23, v84
	s_mov_b32 s16, exec_lo
	v_add_nc_u32_e32 v81, v81, v84
	v_xor_b32_e32 v83, 1, v83
	v_and_b32_e32 v70, 0x1fffff, v81
	v_add_nc_u32_e32 v81, v70, v84
                                        ; implicit-def: $vgpr70
	v_cmpx_ne_u32_e64 v82, v83
	s_xor_b32 s16, exec_lo, s16
; %bb.2878:                             ;   in Loop: Header=BB6_2469 Depth=3
	v_cmp_lt_u32_e32 vcc_lo, 0xffffff, v81
	v_sub_nc_u32_e32 v70, v82, v83
	v_cndmask_b32_e64 v82, 0, 1, vcc_lo
	v_add_co_ci_u32_e64 v70, null, 0, v70, vcc_lo
	v_lshrrev_b32_e32 v81, v82, v81
; %bb.2879:                             ;   in Loop: Header=BB6_2469 Depth=3
	s_andn2_saveexec_b32 s16, s16
; %bb.2880:                             ;   in Loop: Header=BB6_2469 Depth=3
	v_bfe_u32 v70, v81, 23, 1
; %bb.2881:                             ;   in Loop: Header=BB6_2469 Depth=3
	s_or_b32 exec_lo, exec_lo, s16
	v_lshrrev_b32_e32 v81, 21, v81
	v_cmp_gt_i32_e32 vcc_lo, 32, v70
	v_min_i32_e32 v82, 31, v70
	v_and_b32_sdwa v80, v80, v117 dst_sel:DWORD dst_unused:UNUSED_PAD src0_sel:BYTE_3 src1_sel:DWORD
	v_cndmask_b32_e32 v81, 3, v81, vcc_lo
	v_lshlrev_b32_e32 v82, 2, v82
	v_and_b32_e32 v83, 3, v81
	v_or_b32_e32 v70, v70, v81
	v_or3_b32 v80, v82, v80, v83
	v_cmp_ne_u32_e32 vcc_lo, 0, v70
	v_cndmask_b32_e32 v70, 0, v80, vcc_lo
.LBB6_2882:                             ;   in Loop: Header=BB6_2469 Depth=3
	s_or_b32 exec_lo, exec_lo, s63
.LBB6_2883:                             ;   in Loop: Header=BB6_2469 Depth=3
	s_or_b32 exec_lo, exec_lo, s62
	flat_load_ubyte v80, v[8:9] offset:928 slc
	s_mov_b32 s16, 0
	s_mov_b32 s62, exec_lo
	s_waitcnt vmcnt(0) lgkmcnt(0)
	v_cmpx_lt_i16_e32 0x7f, v80
	s_xor_b32 s62, exec_lo, s62
	s_cbranch_execz .LBB6_2981
; %bb.2884:                             ;   in Loop: Header=BB6_2469 Depth=3
	s_mov_b32 s16, -1
	s_mov_b32 s63, exec_lo
	v_cmpx_eq_u16_e32 0x80, v80
; %bb.2885:                             ;   in Loop: Header=BB6_2469 Depth=3
	s_xor_b32 s16, exec_lo, -1
; %bb.2886:                             ;   in Loop: Header=BB6_2469 Depth=3
	s_or_b32 exec_lo, exec_lo, s63
	s_and_b32 s16, s16, exec_lo
	s_or_saveexec_b32 s62, s62
	v_mov_b32_e32 v81, 0x7f800001
	s_xor_b32 exec_lo, exec_lo, s62
	s_cbranch_execnz .LBB6_2982
.LBB6_2887:                             ;   in Loop: Header=BB6_2469 Depth=3
	s_or_b32 exec_lo, exec_lo, s62
	s_and_saveexec_b32 s62, s16
	s_cbranch_execz .LBB6_2889
.LBB6_2888:                             ;   in Loop: Header=BB6_2469 Depth=3
	v_and_b32_e32 v81, 0xffff, v80
	v_lshlrev_b32_e32 v80, 24, v80
	v_and_b32_e32 v82, 3, v81
	v_bfe_u32 v85, v81, 2, 5
	v_and_b32_e32 v80, 0x80000000, v80
	v_ffbh_u32_e32 v83, v82
	v_cmp_eq_u32_e32 vcc_lo, 0, v85
	v_min_u32_e32 v83, 32, v83
	v_subrev_nc_u32_e32 v84, 29, v83
	v_sub_nc_u32_e32 v83, 30, v83
	v_lshlrev_b32_e32 v81, v84, v81
	v_cndmask_b32_e32 v83, v85, v83, vcc_lo
	v_and_b32_e32 v81, 3, v81
	v_cndmask_b32_e32 v81, v82, v81, vcc_lo
	v_lshl_add_u32 v82, v83, 23, 0x37800000
	v_lshlrev_b32_e32 v81, 21, v81
	v_or3_b32 v81, v80, v82, v81
.LBB6_2889:                             ;   in Loop: Header=BB6_2469 Depth=3
	s_or_b32 exec_lo, exec_lo, s62
	v_mul_f32_e32 v81, v11, v81
	v_and_b32_e32 v80, 0x7f800000, v81
	v_cmp_ne_u32_e32 vcc_lo, 0x7f800000, v80
	v_mov_b32_e32 v80, 0x80
	s_and_saveexec_b32 s62, vcc_lo
	s_cbranch_execz .LBB6_2897
; %bb.2890:                             ;   in Loop: Header=BB6_2469 Depth=3
	v_mov_b32_e32 v80, 0
	s_mov_b32 s63, exec_lo
	v_cmpx_ne_u32_e32 0, v81
	s_cbranch_execz .LBB6_2896
; %bb.2891:                             ;   in Loop: Header=BB6_2469 Depth=3
	v_bfe_u32 v80, v81, 23, 8
	v_and_b32_e32 v82, 0x7fffff, v81
	v_sub_nc_u32_e32 v83, 0x70, v80
	v_cmp_gt_u32_e32 vcc_lo, 0x71, v80
	v_or_b32_e32 v84, 0x800000, v82
	v_cndmask_b32_e32 v83, 0, v83, vcc_lo
	v_cmp_eq_u32_e32 vcc_lo, 0, v80
	v_add_nc_u32_e32 v80, 0xffffff91, v80
	v_cndmask_b32_e64 v83, v83, 0x6f, vcc_lo
	v_cndmask_b32_e32 v82, v84, v82, vcc_lo
	v_cndmask_b32_e64 v80, v80, 0xffffff92, vcc_lo
	v_lshl_add_u32 v84, 0x200000, v83, -1
	v_lshrrev_b32_e32 v85, v83, v82
	v_lshlrev_b32_e64 v87, v83, 0x100000
	v_add_nc_u32_e32 v83, v83, v80
	v_and_b32_e32 v82, v84, v82
	v_bfe_u32 v86, v85, 21, 1
	v_cmp_eq_u32_e64 s16, v82, v87
	v_add_nc_u32_e32 v84, -1, v86
	v_cndmask_b32_e64 v82, 0, v84, s16
	v_lshrrev_b32_e32 v84, 23, v85
	s_mov_b32 s16, exec_lo
	v_add_nc_u32_e32 v82, v82, v85
	v_xor_b32_e32 v84, 1, v84
	v_and_b32_e32 v80, 0x1fffff, v82
	v_add_nc_u32_e32 v82, v80, v85
                                        ; implicit-def: $vgpr80
	v_cmpx_ne_u32_e64 v83, v84
	s_xor_b32 s16, exec_lo, s16
; %bb.2892:                             ;   in Loop: Header=BB6_2469 Depth=3
	v_cmp_lt_u32_e32 vcc_lo, 0xffffff, v82
	v_sub_nc_u32_e32 v80, v83, v84
	v_cndmask_b32_e64 v83, 0, 1, vcc_lo
	v_add_co_ci_u32_e64 v80, null, 0, v80, vcc_lo
	v_lshrrev_b32_e32 v82, v83, v82
; %bb.2893:                             ;   in Loop: Header=BB6_2469 Depth=3
	s_andn2_saveexec_b32 s16, s16
; %bb.2894:                             ;   in Loop: Header=BB6_2469 Depth=3
	v_bfe_u32 v80, v82, 23, 1
; %bb.2895:                             ;   in Loop: Header=BB6_2469 Depth=3
	s_or_b32 exec_lo, exec_lo, s16
	v_lshrrev_b32_e32 v82, 21, v82
	v_cmp_gt_i32_e32 vcc_lo, 32, v80
	v_min_i32_e32 v83, 31, v80
	v_and_b32_sdwa v81, v81, v117 dst_sel:DWORD dst_unused:UNUSED_PAD src0_sel:BYTE_3 src1_sel:DWORD
	v_cndmask_b32_e32 v82, 3, v82, vcc_lo
	v_lshlrev_b32_e32 v83, 2, v83
	v_and_b32_e32 v84, 3, v82
	v_or_b32_e32 v80, v80, v82
	v_or3_b32 v81, v83, v81, v84
	v_cmp_ne_u32_e32 vcc_lo, 0, v80
	v_cndmask_b32_e32 v80, 0, v81, vcc_lo
.LBB6_2896:                             ;   in Loop: Header=BB6_2469 Depth=3
	s_or_b32 exec_lo, exec_lo, s63
.LBB6_2897:                             ;   in Loop: Header=BB6_2469 Depth=3
	s_or_b32 exec_lo, exec_lo, s62
	flat_load_ubyte v81, v[8:9] offset:960 slc
	s_mov_b32 s16, 0
	s_mov_b32 s62, exec_lo
	s_waitcnt vmcnt(0) lgkmcnt(0)
	v_cmpx_lt_i16_e32 0x7f, v81
	s_xor_b32 s62, exec_lo, s62
	s_cbranch_execz .LBB6_2983
; %bb.2898:                             ;   in Loop: Header=BB6_2469 Depth=3
	s_mov_b32 s16, -1
	s_mov_b32 s63, exec_lo
	v_cmpx_eq_u16_e32 0x80, v81
; %bb.2899:                             ;   in Loop: Header=BB6_2469 Depth=3
	s_xor_b32 s16, exec_lo, -1
; %bb.2900:                             ;   in Loop: Header=BB6_2469 Depth=3
	s_or_b32 exec_lo, exec_lo, s63
	s_and_b32 s16, s16, exec_lo
	s_or_saveexec_b32 s62, s62
	v_mov_b32_e32 v82, 0x7f800001
	s_xor_b32 exec_lo, exec_lo, s62
	s_cbranch_execnz .LBB6_2984
.LBB6_2901:                             ;   in Loop: Header=BB6_2469 Depth=3
	s_or_b32 exec_lo, exec_lo, s62
	s_and_saveexec_b32 s62, s16
	s_cbranch_execz .LBB6_2903
.LBB6_2902:                             ;   in Loop: Header=BB6_2469 Depth=3
	v_and_b32_e32 v82, 0xffff, v81
	v_lshlrev_b32_e32 v81, 24, v81
	v_and_b32_e32 v83, 3, v82
	v_bfe_u32 v86, v82, 2, 5
	v_and_b32_e32 v81, 0x80000000, v81
	v_ffbh_u32_e32 v84, v83
	v_cmp_eq_u32_e32 vcc_lo, 0, v86
	v_min_u32_e32 v84, 32, v84
	v_subrev_nc_u32_e32 v85, 29, v84
	v_sub_nc_u32_e32 v84, 30, v84
	v_lshlrev_b32_e32 v82, v85, v82
	v_cndmask_b32_e32 v84, v86, v84, vcc_lo
	v_and_b32_e32 v82, 3, v82
	v_cndmask_b32_e32 v82, v83, v82, vcc_lo
	v_lshl_add_u32 v83, v84, 23, 0x37800000
	v_lshlrev_b32_e32 v82, 21, v82
	v_or3_b32 v82, v81, v83, v82
.LBB6_2903:                             ;   in Loop: Header=BB6_2469 Depth=3
	s_or_b32 exec_lo, exec_lo, s62
	v_mul_f32_e32 v82, v11, v82
	v_and_b32_e32 v81, 0x7f800000, v82
	v_cmp_ne_u32_e32 vcc_lo, 0x7f800000, v81
	v_mov_b32_e32 v81, 0x80
	s_and_saveexec_b32 s62, vcc_lo
	s_cbranch_execz .LBB6_2911
; %bb.2904:                             ;   in Loop: Header=BB6_2469 Depth=3
	v_mov_b32_e32 v81, 0
	s_mov_b32 s63, exec_lo
	v_cmpx_ne_u32_e32 0, v82
	s_cbranch_execz .LBB6_2910
; %bb.2905:                             ;   in Loop: Header=BB6_2469 Depth=3
	v_bfe_u32 v81, v82, 23, 8
	v_and_b32_e32 v83, 0x7fffff, v82
	v_sub_nc_u32_e32 v84, 0x70, v81
	v_cmp_gt_u32_e32 vcc_lo, 0x71, v81
	v_or_b32_e32 v85, 0x800000, v83
	v_cndmask_b32_e32 v84, 0, v84, vcc_lo
	v_cmp_eq_u32_e32 vcc_lo, 0, v81
	v_add_nc_u32_e32 v81, 0xffffff91, v81
	v_cndmask_b32_e64 v84, v84, 0x6f, vcc_lo
	v_cndmask_b32_e32 v83, v85, v83, vcc_lo
	v_cndmask_b32_e64 v81, v81, 0xffffff92, vcc_lo
	v_lshl_add_u32 v85, 0x200000, v84, -1
	v_lshrrev_b32_e32 v86, v84, v83
	v_lshlrev_b32_e64 v96, v84, 0x100000
	v_add_nc_u32_e32 v84, v84, v81
	v_and_b32_e32 v83, v85, v83
	v_bfe_u32 v87, v86, 21, 1
	v_cmp_eq_u32_e64 s16, v83, v96
	v_add_nc_u32_e32 v85, -1, v87
	v_cndmask_b32_e64 v83, 0, v85, s16
	v_lshrrev_b32_e32 v85, 23, v86
	s_mov_b32 s16, exec_lo
	v_add_nc_u32_e32 v83, v83, v86
	v_xor_b32_e32 v85, 1, v85
	v_and_b32_e32 v81, 0x1fffff, v83
	v_add_nc_u32_e32 v83, v81, v86
                                        ; implicit-def: $vgpr81
	v_cmpx_ne_u32_e64 v84, v85
	s_xor_b32 s16, exec_lo, s16
; %bb.2906:                             ;   in Loop: Header=BB6_2469 Depth=3
	v_cmp_lt_u32_e32 vcc_lo, 0xffffff, v83
	v_sub_nc_u32_e32 v81, v84, v85
	v_cndmask_b32_e64 v84, 0, 1, vcc_lo
	v_add_co_ci_u32_e64 v81, null, 0, v81, vcc_lo
	v_lshrrev_b32_e32 v83, v84, v83
; %bb.2907:                             ;   in Loop: Header=BB6_2469 Depth=3
	s_andn2_saveexec_b32 s16, s16
; %bb.2908:                             ;   in Loop: Header=BB6_2469 Depth=3
	v_bfe_u32 v81, v83, 23, 1
; %bb.2909:                             ;   in Loop: Header=BB6_2469 Depth=3
	s_or_b32 exec_lo, exec_lo, s16
	v_lshrrev_b32_e32 v83, 21, v83
	v_cmp_gt_i32_e32 vcc_lo, 32, v81
	v_min_i32_e32 v84, 31, v81
	v_and_b32_sdwa v82, v82, v117 dst_sel:DWORD dst_unused:UNUSED_PAD src0_sel:BYTE_3 src1_sel:DWORD
	v_cndmask_b32_e32 v83, 3, v83, vcc_lo
	v_lshlrev_b32_e32 v84, 2, v84
	v_and_b32_e32 v85, 3, v83
	v_or_b32_e32 v81, v81, v83
	v_or3_b32 v82, v84, v82, v85
	v_cmp_ne_u32_e32 vcc_lo, 0, v81
	v_cndmask_b32_e32 v81, 0, v82, vcc_lo
.LBB6_2910:                             ;   in Loop: Header=BB6_2469 Depth=3
	s_or_b32 exec_lo, exec_lo, s63
.LBB6_2911:                             ;   in Loop: Header=BB6_2469 Depth=3
	s_or_b32 exec_lo, exec_lo, s62
	flat_load_ubyte v8, v[8:9] offset:992 slc
	s_mov_b32 s16, 0
	s_mov_b32 s62, exec_lo
	s_waitcnt vmcnt(0) lgkmcnt(0)
	v_cmpx_lt_i16_e32 0x7f, v8
	s_xor_b32 s62, exec_lo, s62
	s_cbranch_execz .LBB6_2985
; %bb.2912:                             ;   in Loop: Header=BB6_2469 Depth=3
	s_mov_b32 s16, -1
	s_mov_b32 s63, exec_lo
	v_cmpx_eq_u16_e32 0x80, v8
; %bb.2913:                             ;   in Loop: Header=BB6_2469 Depth=3
	s_xor_b32 s16, exec_lo, -1
; %bb.2914:                             ;   in Loop: Header=BB6_2469 Depth=3
	s_or_b32 exec_lo, exec_lo, s63
	s_and_b32 s16, s16, exec_lo
	s_or_saveexec_b32 s62, s62
	v_mov_b32_e32 v9, 0x7f800001
	s_xor_b32 exec_lo, exec_lo, s62
	s_cbranch_execnz .LBB6_2986
.LBB6_2915:                             ;   in Loop: Header=BB6_2469 Depth=3
	s_or_b32 exec_lo, exec_lo, s62
	s_and_saveexec_b32 s62, s16
	s_cbranch_execz .LBB6_2917
.LBB6_2916:                             ;   in Loop: Header=BB6_2469 Depth=3
	v_and_b32_e32 v9, 0xffff, v8
	v_lshlrev_b32_e32 v8, 24, v8
	v_and_b32_e32 v82, 3, v9
	v_bfe_u32 v85, v9, 2, 5
	v_and_b32_e32 v8, 0x80000000, v8
	v_ffbh_u32_e32 v83, v82
	v_cmp_eq_u32_e32 vcc_lo, 0, v85
	v_min_u32_e32 v83, 32, v83
	v_subrev_nc_u32_e32 v84, 29, v83
	v_sub_nc_u32_e32 v83, 30, v83
	v_lshlrev_b32_e32 v9, v84, v9
	v_cndmask_b32_e32 v83, v85, v83, vcc_lo
	v_and_b32_e32 v9, 3, v9
	v_cndmask_b32_e32 v9, v82, v9, vcc_lo
	v_lshl_add_u32 v82, v83, 23, 0x37800000
	v_lshlrev_b32_e32 v9, 21, v9
	v_or3_b32 v9, v8, v82, v9
.LBB6_2917:                             ;   in Loop: Header=BB6_2469 Depth=3
	s_or_b32 exec_lo, exec_lo, s62
	v_mul_f32_e32 v8, v11, v9
	v_and_b32_e32 v9, 0x7f800000, v8
	v_cmp_ne_u32_e32 vcc_lo, 0x7f800000, v9
	v_mov_b32_e32 v9, 0x80
	s_and_saveexec_b32 s62, vcc_lo
	s_cbranch_execz .LBB6_2468
; %bb.2918:                             ;   in Loop: Header=BB6_2469 Depth=3
	v_mov_b32_e32 v9, 0
	s_mov_b32 s63, exec_lo
	v_cmpx_ne_u32_e32 0, v8
	s_cbranch_execz .LBB6_2467
; %bb.2919:                             ;   in Loop: Header=BB6_2469 Depth=3
	v_bfe_u32 v9, v8, 23, 8
	v_and_b32_e32 v11, 0x7fffff, v8
	v_sub_nc_u32_e32 v82, 0x70, v9
	v_cmp_gt_u32_e32 vcc_lo, 0x71, v9
	v_or_b32_e32 v83, 0x800000, v11
	v_cndmask_b32_e32 v82, 0, v82, vcc_lo
	v_cmp_eq_u32_e32 vcc_lo, 0, v9
	v_add_nc_u32_e32 v9, 0xffffff91, v9
	v_cndmask_b32_e64 v82, v82, 0x6f, vcc_lo
	v_cndmask_b32_e32 v11, v83, v11, vcc_lo
	v_cndmask_b32_e64 v9, v9, 0xffffff92, vcc_lo
	v_lshl_add_u32 v83, 0x200000, v82, -1
	v_lshrrev_b32_e32 v84, v82, v11
	v_lshlrev_b32_e64 v86, v82, 0x100000
	v_add_nc_u32_e32 v82, v82, v9
	v_and_b32_e32 v11, v83, v11
	v_bfe_u32 v85, v84, 21, 1
	v_cmp_eq_u32_e64 s16, v11, v86
	v_add_nc_u32_e32 v83, -1, v85
	v_cndmask_b32_e64 v11, 0, v83, s16
	v_lshrrev_b32_e32 v83, 23, v84
	s_mov_b32 s16, exec_lo
	v_add_nc_u32_e32 v11, v11, v84
	v_xor_b32_e32 v83, 1, v83
	v_and_b32_e32 v9, 0x1fffff, v11
	v_add_nc_u32_e32 v11, v9, v84
                                        ; implicit-def: $vgpr9
	v_cmpx_ne_u32_e64 v82, v83
	s_xor_b32 s16, exec_lo, s16
; %bb.2920:                             ;   in Loop: Header=BB6_2469 Depth=3
	v_cmp_lt_u32_e32 vcc_lo, 0xffffff, v11
	v_sub_nc_u32_e32 v9, v82, v83
	v_cndmask_b32_e64 v82, 0, 1, vcc_lo
	v_add_co_ci_u32_e64 v9, null, 0, v9, vcc_lo
	v_lshrrev_b32_e32 v11, v82, v11
; %bb.2921:                             ;   in Loop: Header=BB6_2469 Depth=3
	s_andn2_saveexec_b32 s16, s16
	s_cbranch_execz .LBB6_2466
; %bb.2922:                             ;   in Loop: Header=BB6_2469 Depth=3
	v_bfe_u32 v9, v11, 23, 1
	s_branch .LBB6_2466
.LBB6_2923:                             ;   in Loop: Header=BB6_2469 Depth=3
	s_or_saveexec_b32 s62, s62
	v_mov_b32_e32 v13, 0x7f800001
	s_xor_b32 exec_lo, exec_lo, s62
	s_cbranch_execz .LBB6_2481
.LBB6_2924:                             ;   in Loop: Header=BB6_2469 Depth=3
	v_cmp_ne_u16_e32 vcc_lo, 0, v12
	v_mov_b32_e32 v13, 0
	s_andn2_b32 s16, s16, exec_lo
	s_and_b32 s63, vcc_lo, exec_lo
	s_or_b32 s16, s16, s63
	s_or_b32 exec_lo, exec_lo, s62
	s_and_saveexec_b32 s62, s16
	s_cbranch_execnz .LBB6_2482
	s_branch .LBB6_2483
.LBB6_2925:                             ;   in Loop: Header=BB6_2469 Depth=3
	s_or_saveexec_b32 s62, s62
	v_mov_b32_e32 v14, 0x7f800001
	s_xor_b32 exec_lo, exec_lo, s62
	s_cbranch_execz .LBB6_2495
.LBB6_2926:                             ;   in Loop: Header=BB6_2469 Depth=3
	v_cmp_ne_u16_e32 vcc_lo, 0, v13
	v_mov_b32_e32 v14, 0
	s_andn2_b32 s16, s16, exec_lo
	s_and_b32 s63, vcc_lo, exec_lo
	s_or_b32 s16, s16, s63
	s_or_b32 exec_lo, exec_lo, s62
	s_and_saveexec_b32 s62, s16
	s_cbranch_execnz .LBB6_2496
	s_branch .LBB6_2497
.LBB6_2927:                             ;   in Loop: Header=BB6_2469 Depth=3
	s_or_saveexec_b32 s62, s62
	v_mov_b32_e32 v15, 0x7f800001
	s_xor_b32 exec_lo, exec_lo, s62
	s_cbranch_execz .LBB6_2509
.LBB6_2928:                             ;   in Loop: Header=BB6_2469 Depth=3
	v_cmp_ne_u16_e32 vcc_lo, 0, v14
	v_mov_b32_e32 v15, 0
	s_andn2_b32 s16, s16, exec_lo
	s_and_b32 s63, vcc_lo, exec_lo
	s_or_b32 s16, s16, s63
	s_or_b32 exec_lo, exec_lo, s62
	s_and_saveexec_b32 s62, s16
	s_cbranch_execnz .LBB6_2510
	s_branch .LBB6_2511
.LBB6_2929:                             ;   in Loop: Header=BB6_2469 Depth=3
	s_or_saveexec_b32 s62, s62
	v_mov_b32_e32 v20, 0x7f800001
	s_xor_b32 exec_lo, exec_lo, s62
	s_cbranch_execz .LBB6_2523
.LBB6_2930:                             ;   in Loop: Header=BB6_2469 Depth=3
	v_cmp_ne_u16_e32 vcc_lo, 0, v15
	v_mov_b32_e32 v20, 0
	s_andn2_b32 s16, s16, exec_lo
	s_and_b32 s63, vcc_lo, exec_lo
	s_or_b32 s16, s16, s63
	s_or_b32 exec_lo, exec_lo, s62
	s_and_saveexec_b32 s62, s16
	s_cbranch_execnz .LBB6_2524
	s_branch .LBB6_2525
.LBB6_2931:                             ;   in Loop: Header=BB6_2469 Depth=3
	s_or_saveexec_b32 s62, s62
	v_mov_b32_e32 v21, 0x7f800001
	s_xor_b32 exec_lo, exec_lo, s62
	s_cbranch_execz .LBB6_2537
.LBB6_2932:                             ;   in Loop: Header=BB6_2469 Depth=3
	v_cmp_ne_u16_e32 vcc_lo, 0, v20
	v_mov_b32_e32 v21, 0
	s_andn2_b32 s16, s16, exec_lo
	s_and_b32 s63, vcc_lo, exec_lo
	s_or_b32 s16, s16, s63
	s_or_b32 exec_lo, exec_lo, s62
	s_and_saveexec_b32 s62, s16
	s_cbranch_execnz .LBB6_2538
	s_branch .LBB6_2539
.LBB6_2933:                             ;   in Loop: Header=BB6_2469 Depth=3
	s_or_saveexec_b32 s62, s62
	v_mov_b32_e32 v22, 0x7f800001
	s_xor_b32 exec_lo, exec_lo, s62
	s_cbranch_execz .LBB6_2551
.LBB6_2934:                             ;   in Loop: Header=BB6_2469 Depth=3
	v_cmp_ne_u16_e32 vcc_lo, 0, v21
	v_mov_b32_e32 v22, 0
	s_andn2_b32 s16, s16, exec_lo
	s_and_b32 s63, vcc_lo, exec_lo
	s_or_b32 s16, s16, s63
	s_or_b32 exec_lo, exec_lo, s62
	s_and_saveexec_b32 s62, s16
	s_cbranch_execnz .LBB6_2552
	s_branch .LBB6_2553
.LBB6_2935:                             ;   in Loop: Header=BB6_2469 Depth=3
	s_or_saveexec_b32 s62, s62
	v_mov_b32_e32 v23, 0x7f800001
	s_xor_b32 exec_lo, exec_lo, s62
	s_cbranch_execz .LBB6_2565
.LBB6_2936:                             ;   in Loop: Header=BB6_2469 Depth=3
	v_cmp_ne_u16_e32 vcc_lo, 0, v22
	v_mov_b32_e32 v23, 0
	s_andn2_b32 s16, s16, exec_lo
	s_and_b32 s63, vcc_lo, exec_lo
	s_or_b32 s16, s16, s63
	s_or_b32 exec_lo, exec_lo, s62
	s_and_saveexec_b32 s62, s16
	s_cbranch_execnz .LBB6_2566
	s_branch .LBB6_2567
.LBB6_2937:                             ;   in Loop: Header=BB6_2469 Depth=3
	s_or_saveexec_b32 s62, s62
	v_mov_b32_e32 v24, 0x7f800001
	s_xor_b32 exec_lo, exec_lo, s62
	s_cbranch_execz .LBB6_2579
.LBB6_2938:                             ;   in Loop: Header=BB6_2469 Depth=3
	v_cmp_ne_u16_e32 vcc_lo, 0, v23
	v_mov_b32_e32 v24, 0
	s_andn2_b32 s16, s16, exec_lo
	s_and_b32 s63, vcc_lo, exec_lo
	s_or_b32 s16, s16, s63
	s_or_b32 exec_lo, exec_lo, s62
	s_and_saveexec_b32 s62, s16
	s_cbranch_execnz .LBB6_2580
	s_branch .LBB6_2581
.LBB6_2939:                             ;   in Loop: Header=BB6_2469 Depth=3
	s_or_saveexec_b32 s62, s62
	v_mov_b32_e32 v25, 0x7f800001
	s_xor_b32 exec_lo, exec_lo, s62
	s_cbranch_execz .LBB6_2593
.LBB6_2940:                             ;   in Loop: Header=BB6_2469 Depth=3
	v_cmp_ne_u16_e32 vcc_lo, 0, v24
	v_mov_b32_e32 v25, 0
	s_andn2_b32 s16, s16, exec_lo
	s_and_b32 s63, vcc_lo, exec_lo
	s_or_b32 s16, s16, s63
	s_or_b32 exec_lo, exec_lo, s62
	s_and_saveexec_b32 s62, s16
	s_cbranch_execnz .LBB6_2594
	s_branch .LBB6_2595
.LBB6_2941:                             ;   in Loop: Header=BB6_2469 Depth=3
	s_or_saveexec_b32 s62, s62
	v_mov_b32_e32 v26, 0x7f800001
	s_xor_b32 exec_lo, exec_lo, s62
	s_cbranch_execz .LBB6_2607
.LBB6_2942:                             ;   in Loop: Header=BB6_2469 Depth=3
	v_cmp_ne_u16_e32 vcc_lo, 0, v25
	v_mov_b32_e32 v26, 0
	s_andn2_b32 s16, s16, exec_lo
	s_and_b32 s63, vcc_lo, exec_lo
	s_or_b32 s16, s16, s63
	s_or_b32 exec_lo, exec_lo, s62
	s_and_saveexec_b32 s62, s16
	s_cbranch_execnz .LBB6_2608
	s_branch .LBB6_2609
.LBB6_2943:                             ;   in Loop: Header=BB6_2469 Depth=3
	s_or_saveexec_b32 s62, s62
	v_mov_b32_e32 v27, 0x7f800001
	s_xor_b32 exec_lo, exec_lo, s62
	s_cbranch_execz .LBB6_2621
.LBB6_2944:                             ;   in Loop: Header=BB6_2469 Depth=3
	v_cmp_ne_u16_e32 vcc_lo, 0, v26
	v_mov_b32_e32 v27, 0
	s_andn2_b32 s16, s16, exec_lo
	s_and_b32 s63, vcc_lo, exec_lo
	s_or_b32 s16, s16, s63
	s_or_b32 exec_lo, exec_lo, s62
	s_and_saveexec_b32 s62, s16
	s_cbranch_execnz .LBB6_2622
	s_branch .LBB6_2623
.LBB6_2945:                             ;   in Loop: Header=BB6_2469 Depth=3
	s_or_saveexec_b32 s62, s62
	v_mov_b32_e32 v28, 0x7f800001
	s_xor_b32 exec_lo, exec_lo, s62
	s_cbranch_execz .LBB6_2635
.LBB6_2946:                             ;   in Loop: Header=BB6_2469 Depth=3
	v_cmp_ne_u16_e32 vcc_lo, 0, v27
	v_mov_b32_e32 v28, 0
	s_andn2_b32 s16, s16, exec_lo
	s_and_b32 s63, vcc_lo, exec_lo
	s_or_b32 s16, s16, s63
	s_or_b32 exec_lo, exec_lo, s62
	s_and_saveexec_b32 s62, s16
	s_cbranch_execnz .LBB6_2636
	s_branch .LBB6_2637
.LBB6_2947:                             ;   in Loop: Header=BB6_2469 Depth=3
	s_or_saveexec_b32 s62, s62
	v_mov_b32_e32 v29, 0x7f800001
	s_xor_b32 exec_lo, exec_lo, s62
	s_cbranch_execz .LBB6_2649
.LBB6_2948:                             ;   in Loop: Header=BB6_2469 Depth=3
	v_cmp_ne_u16_e32 vcc_lo, 0, v28
	v_mov_b32_e32 v29, 0
	s_andn2_b32 s16, s16, exec_lo
	s_and_b32 s63, vcc_lo, exec_lo
	s_or_b32 s16, s16, s63
	s_or_b32 exec_lo, exec_lo, s62
	s_and_saveexec_b32 s62, s16
	s_cbranch_execnz .LBB6_2650
	s_branch .LBB6_2651
.LBB6_2949:                             ;   in Loop: Header=BB6_2469 Depth=3
	s_or_saveexec_b32 s62, s62
	v_mov_b32_e32 v30, 0x7f800001
	s_xor_b32 exec_lo, exec_lo, s62
	s_cbranch_execz .LBB6_2663
.LBB6_2950:                             ;   in Loop: Header=BB6_2469 Depth=3
	v_cmp_ne_u16_e32 vcc_lo, 0, v29
	v_mov_b32_e32 v30, 0
	s_andn2_b32 s16, s16, exec_lo
	s_and_b32 s63, vcc_lo, exec_lo
	s_or_b32 s16, s16, s63
	s_or_b32 exec_lo, exec_lo, s62
	s_and_saveexec_b32 s62, s16
	s_cbranch_execnz .LBB6_2664
	s_branch .LBB6_2665
.LBB6_2951:                             ;   in Loop: Header=BB6_2469 Depth=3
	s_or_saveexec_b32 s62, s62
	v_mov_b32_e32 v31, 0x7f800001
	s_xor_b32 exec_lo, exec_lo, s62
	s_cbranch_execz .LBB6_2677
.LBB6_2952:                             ;   in Loop: Header=BB6_2469 Depth=3
	v_cmp_ne_u16_e32 vcc_lo, 0, v30
	v_mov_b32_e32 v31, 0
	s_andn2_b32 s16, s16, exec_lo
	s_and_b32 s63, vcc_lo, exec_lo
	s_or_b32 s16, s16, s63
	s_or_b32 exec_lo, exec_lo, s62
	s_and_saveexec_b32 s62, s16
	s_cbranch_execnz .LBB6_2678
	s_branch .LBB6_2679
.LBB6_2953:                             ;   in Loop: Header=BB6_2469 Depth=3
	s_or_saveexec_b32 s62, s62
	v_mov_b32_e32 v36, 0x7f800001
	s_xor_b32 exec_lo, exec_lo, s62
	s_cbranch_execz .LBB6_2691
.LBB6_2954:                             ;   in Loop: Header=BB6_2469 Depth=3
	v_cmp_ne_u16_e32 vcc_lo, 0, v31
	v_mov_b32_e32 v36, 0
	s_andn2_b32 s16, s16, exec_lo
	s_and_b32 s63, vcc_lo, exec_lo
	s_or_b32 s16, s16, s63
	s_or_b32 exec_lo, exec_lo, s62
	s_and_saveexec_b32 s62, s16
	s_cbranch_execnz .LBB6_2692
	s_branch .LBB6_2693
.LBB6_2955:                             ;   in Loop: Header=BB6_2469 Depth=3
	s_or_saveexec_b32 s62, s62
	v_mov_b32_e32 v37, 0x7f800001
	s_xor_b32 exec_lo, exec_lo, s62
	s_cbranch_execz .LBB6_2705
.LBB6_2956:                             ;   in Loop: Header=BB6_2469 Depth=3
	v_cmp_ne_u16_e32 vcc_lo, 0, v36
	v_mov_b32_e32 v37, 0
	s_andn2_b32 s16, s16, exec_lo
	s_and_b32 s63, vcc_lo, exec_lo
	s_or_b32 s16, s16, s63
	s_or_b32 exec_lo, exec_lo, s62
	s_and_saveexec_b32 s62, s16
	s_cbranch_execnz .LBB6_2706
	s_branch .LBB6_2707
.LBB6_2957:                             ;   in Loop: Header=BB6_2469 Depth=3
	s_or_saveexec_b32 s62, s62
	v_mov_b32_e32 v50, 0x7f800001
	s_xor_b32 exec_lo, exec_lo, s62
	s_cbranch_execz .LBB6_2719
.LBB6_2958:                             ;   in Loop: Header=BB6_2469 Depth=3
	v_cmp_ne_u16_e32 vcc_lo, 0, v37
	v_mov_b32_e32 v50, 0
	s_andn2_b32 s16, s16, exec_lo
	s_and_b32 s63, vcc_lo, exec_lo
	s_or_b32 s16, s16, s63
	s_or_b32 exec_lo, exec_lo, s62
	s_and_saveexec_b32 s62, s16
	s_cbranch_execnz .LBB6_2720
	s_branch .LBB6_2721
.LBB6_2959:                             ;   in Loop: Header=BB6_2469 Depth=3
	s_or_saveexec_b32 s62, s62
	v_mov_b32_e32 v51, 0x7f800001
	s_xor_b32 exec_lo, exec_lo, s62
	s_cbranch_execz .LBB6_2733
.LBB6_2960:                             ;   in Loop: Header=BB6_2469 Depth=3
	v_cmp_ne_u16_e32 vcc_lo, 0, v50
	v_mov_b32_e32 v51, 0
	s_andn2_b32 s16, s16, exec_lo
	s_and_b32 s63, vcc_lo, exec_lo
	s_or_b32 s16, s16, s63
	s_or_b32 exec_lo, exec_lo, s62
	s_and_saveexec_b32 s62, s16
	s_cbranch_execnz .LBB6_2734
	s_branch .LBB6_2735
.LBB6_2961:                             ;   in Loop: Header=BB6_2469 Depth=3
	s_or_saveexec_b32 s62, s62
	v_mov_b32_e32 v52, 0x7f800001
	s_xor_b32 exec_lo, exec_lo, s62
	s_cbranch_execz .LBB6_2747
.LBB6_2962:                             ;   in Loop: Header=BB6_2469 Depth=3
	v_cmp_ne_u16_e32 vcc_lo, 0, v51
	v_mov_b32_e32 v52, 0
	s_andn2_b32 s16, s16, exec_lo
	s_and_b32 s63, vcc_lo, exec_lo
	s_or_b32 s16, s16, s63
	s_or_b32 exec_lo, exec_lo, s62
	s_and_saveexec_b32 s62, s16
	s_cbranch_execnz .LBB6_2748
	s_branch .LBB6_2749
.LBB6_2963:                             ;   in Loop: Header=BB6_2469 Depth=3
	s_or_saveexec_b32 s62, s62
	v_mov_b32_e32 v53, 0x7f800001
	s_xor_b32 exec_lo, exec_lo, s62
	s_cbranch_execz .LBB6_2761
.LBB6_2964:                             ;   in Loop: Header=BB6_2469 Depth=3
	v_cmp_ne_u16_e32 vcc_lo, 0, v52
	v_mov_b32_e32 v53, 0
	s_andn2_b32 s16, s16, exec_lo
	s_and_b32 s63, vcc_lo, exec_lo
	s_or_b32 s16, s16, s63
	s_or_b32 exec_lo, exec_lo, s62
	s_and_saveexec_b32 s62, s16
	s_cbranch_execnz .LBB6_2762
	s_branch .LBB6_2763
.LBB6_2965:                             ;   in Loop: Header=BB6_2469 Depth=3
	s_or_saveexec_b32 s62, s62
	v_mov_b32_e32 v54, 0x7f800001
	s_xor_b32 exec_lo, exec_lo, s62
	s_cbranch_execz .LBB6_2775
.LBB6_2966:                             ;   in Loop: Header=BB6_2469 Depth=3
	v_cmp_ne_u16_e32 vcc_lo, 0, v53
	v_mov_b32_e32 v54, 0
	s_andn2_b32 s16, s16, exec_lo
	s_and_b32 s63, vcc_lo, exec_lo
	s_or_b32 s16, s16, s63
	s_or_b32 exec_lo, exec_lo, s62
	s_and_saveexec_b32 s62, s16
	s_cbranch_execnz .LBB6_2776
	s_branch .LBB6_2777
.LBB6_2967:                             ;   in Loop: Header=BB6_2469 Depth=3
	s_or_saveexec_b32 s62, s62
	v_mov_b32_e32 v55, 0x7f800001
	s_xor_b32 exec_lo, exec_lo, s62
	s_cbranch_execz .LBB6_2789
.LBB6_2968:                             ;   in Loop: Header=BB6_2469 Depth=3
	v_cmp_ne_u16_e32 vcc_lo, 0, v54
	v_mov_b32_e32 v55, 0
	s_andn2_b32 s16, s16, exec_lo
	s_and_b32 s63, vcc_lo, exec_lo
	s_or_b32 s16, s16, s63
	s_or_b32 exec_lo, exec_lo, s62
	s_and_saveexec_b32 s62, s16
	s_cbranch_execnz .LBB6_2790
	s_branch .LBB6_2791
.LBB6_2969:                             ;   in Loop: Header=BB6_2469 Depth=3
	s_or_saveexec_b32 s62, s62
	v_mov_b32_e32 v66, 0x7f800001
	s_xor_b32 exec_lo, exec_lo, s62
	s_cbranch_execz .LBB6_2803
.LBB6_2970:                             ;   in Loop: Header=BB6_2469 Depth=3
	v_cmp_ne_u16_e32 vcc_lo, 0, v55
	v_mov_b32_e32 v66, 0
	s_andn2_b32 s16, s16, exec_lo
	s_and_b32 s63, vcc_lo, exec_lo
	s_or_b32 s16, s16, s63
	s_or_b32 exec_lo, exec_lo, s62
	s_and_saveexec_b32 s62, s16
	s_cbranch_execnz .LBB6_2804
	s_branch .LBB6_2805
.LBB6_2971:                             ;   in Loop: Header=BB6_2469 Depth=3
	s_or_saveexec_b32 s62, s62
	v_mov_b32_e32 v67, 0x7f800001
	s_xor_b32 exec_lo, exec_lo, s62
	s_cbranch_execz .LBB6_2817
.LBB6_2972:                             ;   in Loop: Header=BB6_2469 Depth=3
	v_cmp_ne_u16_e32 vcc_lo, 0, v66
	v_mov_b32_e32 v67, 0
	s_andn2_b32 s16, s16, exec_lo
	s_and_b32 s63, vcc_lo, exec_lo
	s_or_b32 s16, s16, s63
	s_or_b32 exec_lo, exec_lo, s62
	s_and_saveexec_b32 s62, s16
	s_cbranch_execnz .LBB6_2818
	s_branch .LBB6_2819
.LBB6_2973:                             ;   in Loop: Header=BB6_2469 Depth=3
	s_or_saveexec_b32 s62, s62
	v_mov_b32_e32 v68, 0x7f800001
	s_xor_b32 exec_lo, exec_lo, s62
	s_cbranch_execz .LBB6_2831
.LBB6_2974:                             ;   in Loop: Header=BB6_2469 Depth=3
	v_cmp_ne_u16_e32 vcc_lo, 0, v67
	v_mov_b32_e32 v68, 0
	s_andn2_b32 s16, s16, exec_lo
	s_and_b32 s63, vcc_lo, exec_lo
	s_or_b32 s16, s16, s63
	s_or_b32 exec_lo, exec_lo, s62
	s_and_saveexec_b32 s62, s16
	s_cbranch_execnz .LBB6_2832
	s_branch .LBB6_2833
.LBB6_2975:                             ;   in Loop: Header=BB6_2469 Depth=3
	s_or_saveexec_b32 s62, s62
	v_mov_b32_e32 v69, 0x7f800001
	s_xor_b32 exec_lo, exec_lo, s62
	s_cbranch_execz .LBB6_2845
.LBB6_2976:                             ;   in Loop: Header=BB6_2469 Depth=3
	v_cmp_ne_u16_e32 vcc_lo, 0, v68
	v_mov_b32_e32 v69, 0
	s_andn2_b32 s16, s16, exec_lo
	s_and_b32 s63, vcc_lo, exec_lo
	s_or_b32 s16, s16, s63
	s_or_b32 exec_lo, exec_lo, s62
	s_and_saveexec_b32 s62, s16
	s_cbranch_execnz .LBB6_2846
	s_branch .LBB6_2847
.LBB6_2977:                             ;   in Loop: Header=BB6_2469 Depth=3
	s_or_saveexec_b32 s62, s62
	v_mov_b32_e32 v70, 0x7f800001
	s_xor_b32 exec_lo, exec_lo, s62
	s_cbranch_execz .LBB6_2859
.LBB6_2978:                             ;   in Loop: Header=BB6_2469 Depth=3
	v_cmp_ne_u16_e32 vcc_lo, 0, v69
	v_mov_b32_e32 v70, 0
	s_andn2_b32 s16, s16, exec_lo
	s_and_b32 s63, vcc_lo, exec_lo
	s_or_b32 s16, s16, s63
	s_or_b32 exec_lo, exec_lo, s62
	s_and_saveexec_b32 s62, s16
	s_cbranch_execnz .LBB6_2860
	s_branch .LBB6_2861
.LBB6_2979:                             ;   in Loop: Header=BB6_2469 Depth=3
	s_or_saveexec_b32 s62, s62
	v_mov_b32_e32 v80, 0x7f800001
	s_xor_b32 exec_lo, exec_lo, s62
	s_cbranch_execz .LBB6_2873
.LBB6_2980:                             ;   in Loop: Header=BB6_2469 Depth=3
	v_cmp_ne_u16_e32 vcc_lo, 0, v70
	v_mov_b32_e32 v80, 0
	s_andn2_b32 s16, s16, exec_lo
	s_and_b32 s63, vcc_lo, exec_lo
	s_or_b32 s16, s16, s63
	s_or_b32 exec_lo, exec_lo, s62
	s_and_saveexec_b32 s62, s16
	s_cbranch_execnz .LBB6_2874
	s_branch .LBB6_2875
.LBB6_2981:                             ;   in Loop: Header=BB6_2469 Depth=3
	s_or_saveexec_b32 s62, s62
	v_mov_b32_e32 v81, 0x7f800001
	s_xor_b32 exec_lo, exec_lo, s62
	s_cbranch_execz .LBB6_2887
.LBB6_2982:                             ;   in Loop: Header=BB6_2469 Depth=3
	v_cmp_ne_u16_e32 vcc_lo, 0, v80
	v_mov_b32_e32 v81, 0
	s_andn2_b32 s16, s16, exec_lo
	s_and_b32 s63, vcc_lo, exec_lo
	s_or_b32 s16, s16, s63
	s_or_b32 exec_lo, exec_lo, s62
	s_and_saveexec_b32 s62, s16
	s_cbranch_execnz .LBB6_2888
	s_branch .LBB6_2889
.LBB6_2983:                             ;   in Loop: Header=BB6_2469 Depth=3
	s_or_saveexec_b32 s62, s62
	v_mov_b32_e32 v82, 0x7f800001
	s_xor_b32 exec_lo, exec_lo, s62
	s_cbranch_execz .LBB6_2901
.LBB6_2984:                             ;   in Loop: Header=BB6_2469 Depth=3
	v_cmp_ne_u16_e32 vcc_lo, 0, v81
	v_mov_b32_e32 v82, 0
	s_andn2_b32 s16, s16, exec_lo
	s_and_b32 s63, vcc_lo, exec_lo
	s_or_b32 s16, s16, s63
	s_or_b32 exec_lo, exec_lo, s62
	s_and_saveexec_b32 s62, s16
	s_cbranch_execnz .LBB6_2902
	s_branch .LBB6_2903
.LBB6_2985:                             ;   in Loop: Header=BB6_2469 Depth=3
	s_or_saveexec_b32 s62, s62
	v_mov_b32_e32 v9, 0x7f800001
	s_xor_b32 exec_lo, exec_lo, s62
	s_cbranch_execz .LBB6_2915
.LBB6_2986:                             ;   in Loop: Header=BB6_2469 Depth=3
	v_cmp_ne_u16_e32 vcc_lo, 0, v8
	v_mov_b32_e32 v9, 0
	s_andn2_b32 s16, s16, exec_lo
	s_and_b32 s63, vcc_lo, exec_lo
	s_or_b32 s16, s16, s63
	s_or_b32 exec_lo, exec_lo, s62
	s_and_saveexec_b32 s62, s16
	s_cbranch_execnz .LBB6_2916
	s_branch .LBB6_2917
.LBB6_2987:                             ;   in Loop: Header=BB6_57 Depth=2
	s_or_b32 exec_lo, exec_lo, s61
.LBB6_2988:                             ;   in Loop: Header=BB6_57 Depth=2
	s_or_b32 exec_lo, exec_lo, s23
	v_lshlrev_b32_e32 v6, 10, v6
	v_cmp_ne_u32_e32 vcc_lo, v1, v6
	s_and_b32 exec_lo, exec_lo, vcc_lo
	s_cbranch_execz .LBB6_3016
; %bb.2989:                             ;   in Loop: Header=BB6_57 Depth=2
	v_lshlrev_b32_e32 v4, 5, v4
	v_sub_nc_u32_e32 v3, v3, v4
	v_lshlrev_b32_e32 v4, 5, v5
	v_sub_nc_u32_e32 v3, v3, v4
	v_add_nc_u32_e32 v3, v6, v3
	v_sub_nc_u32_e32 v1, v1, v3
	v_cmp_lt_i32_e32 vcc_lo, 0, v1
	s_and_b32 exec_lo, exec_lo, vcc_lo
	s_cbranch_execz .LBB6_3016
; %bb.2990:                             ;   in Loop: Header=BB6_57 Depth=2
	s_trap 2
	ds_read_b64 v[8:9], v0
	v_add_nc_u32_e32 v0, v3, v0
	s_mov_b32 s23, 0
	v_ashrrev_i32_e32 v3, 31, v0
	s_branch .LBB6_2994
.LBB6_2991:                             ;   in Loop: Header=BB6_2994 Depth=3
	s_or_b32 exec_lo, exec_lo, s16
	v_lshrrev_b32_e32 v6, 21, v6
	v_cmp_gt_i32_e32 vcc_lo, 32, v5
	v_min_i32_e32 v7, 31, v5
	v_and_b32_sdwa v4, v4, v117 dst_sel:DWORD dst_unused:UNUSED_PAD src0_sel:BYTE_3 src1_sel:DWORD
	v_cndmask_b32_e32 v6, 3, v6, vcc_lo
	v_lshlrev_b32_e32 v7, 2, v7
	v_and_b32_e32 v12, 3, v6
	v_or_b32_e32 v5, v5, v6
	v_or3_b32 v4, v7, v4, v12
	v_cmp_ne_u32_e32 vcc_lo, 0, v5
	v_cndmask_b32_e32 v5, 0, v4, vcc_lo
.LBB6_2992:                             ;   in Loop: Header=BB6_2994 Depth=3
	s_or_b32 exec_lo, exec_lo, s62
.LBB6_2993:                             ;   in Loop: Header=BB6_2994 Depth=3
	s_or_b32 exec_lo, exec_lo, s61
	v_sub_nc_u32_e32 v1, v1, v114
	v_add_co_u32 v0, s16, v0, v114
	v_add_co_ci_u32_e64 v3, null, 0, v3, s16
	v_cmp_gt_i32_e32 vcc_lo, 1, v1
	flat_store_byte v[10:11], v5 glc slc
	s_or_b32 s23, vcc_lo, s23
	s_andn2_b32 exec_lo, exec_lo, s23
	s_cbranch_execz .LBB6_3016
.LBB6_2994:                             ;   Parent Loop BB6_47 Depth=1
                                        ;     Parent Loop BB6_57 Depth=2
                                        ; =>    This Inner Loop Header: Depth=3
	s_trap 2
	ds_read_b64 v[10:11], v0
	s_waitcnt lgkmcnt(0)
	v_readfirstlane_b32 s16, v10
	s_and_b32 s61, s16, 0xff
	s_cmpk_lt_i32 s61, 0x80
	s_cbranch_scc1 .LBB6_2998
; %bb.2995:                             ;   in Loop: Header=BB6_2994 Depth=3
	s_and_b32 s62, 0xffff, s61
	s_cmpk_eq_i32 s62, 0x80
	s_mov_b32 s62, -1
	s_cbranch_scc0 .LBB6_2997
; %bb.2996:                             ;   in Loop: Header=BB6_2994 Depth=3
	s_mov_b32 s62, 0
.LBB6_2997:                             ;   in Loop: Header=BB6_2994 Depth=3
	s_mov_b32 s63, 0x7f800001
	s_branch .LBB6_3000
.LBB6_2998:                             ;   in Loop: Header=BB6_2994 Depth=3
	s_mov_b32 s62, 0
	s_mov_b32 s63, 0x7f800001
	s_cbranch_execz .LBB6_3000
; %bb.2999:                             ;   in Loop: Header=BB6_2994 Depth=3
	s_and_b32 s61, 0xffff, s61
	s_mov_b32 s63, 0
	s_cmp_lg_u32 s61, 0
	s_cselect_b32 s62, -1, 0
.LBB6_3000:                             ;   in Loop: Header=BB6_2994 Depth=3
	v_mov_b32_e32 v4, s63
	s_andn2_b32 vcc_lo, exec_lo, s62
	s_cbranch_vccnz .LBB6_3002
; %bb.3001:                             ;   in Loop: Header=BB6_2994 Depth=3
	s_and_b32 s61, s16, 3
	s_bfe_u32 s63, s16, 0x50002
	s_flbit_i32_b32 s62, s61
	v_lshlrev_b32_e32 v4, 24, v10
	s_min_u32 s62, s62, 32
	s_sub_i32 s72, s62, 29
	s_sub_i32 s62, 30, s62
	s_lshl_b32 s16, s16, s72
	v_and_b32_e32 v4, 0x80000000, v4
	s_and_b32 s16, s16, 3
	s_cmp_eq_u32 s63, 0
	s_cselect_b32 s62, s62, s63
	s_cselect_b32 s16, s16, s61
	s_lshl_b32 s61, s62, 23
	s_lshl_b32 s16, s16, 21
	s_add_i32 s61, s61, 0x37800000
	v_or_b32_e32 v4, s61, v4
	v_or_b32_e32 v4, s16, v4
.LBB6_3002:                             ;   in Loop: Header=BB6_2994 Depth=3
	v_add_co_u32 v10, vcc_lo, v8, v0
	v_add_co_ci_u32_e64 v11, null, v9, v3, vcc_lo
	s_mov_b32 s16, 0
	s_mov_b32 s61, exec_lo
	flat_load_ubyte v5, v[10:11] slc
	s_waitcnt vmcnt(0) lgkmcnt(0)
	v_cmpx_lt_i16_e32 0x7f, v5
	s_xor_b32 s61, exec_lo, s61
	s_cbranch_execz .LBB6_3014
; %bb.3003:                             ;   in Loop: Header=BB6_2994 Depth=3
	s_mov_b32 s16, -1
	s_mov_b32 s62, exec_lo
	v_cmpx_eq_u16_e32 0x80, v5
; %bb.3004:                             ;   in Loop: Header=BB6_2994 Depth=3
	s_xor_b32 s16, exec_lo, -1
; %bb.3005:                             ;   in Loop: Header=BB6_2994 Depth=3
	s_or_b32 exec_lo, exec_lo, s62
	s_and_b32 s16, s16, exec_lo
	s_or_saveexec_b32 s61, s61
	v_mov_b32_e32 v6, 0x7f800001
	s_xor_b32 exec_lo, exec_lo, s61
	s_cbranch_execnz .LBB6_3015
.LBB6_3006:                             ;   in Loop: Header=BB6_2994 Depth=3
	s_or_b32 exec_lo, exec_lo, s61
	s_and_saveexec_b32 s61, s16
	s_cbranch_execz .LBB6_3008
.LBB6_3007:                             ;   in Loop: Header=BB6_2994 Depth=3
	v_and_b32_e32 v6, 0xffff, v5
	v_lshlrev_b32_e32 v5, 24, v5
	v_and_b32_e32 v7, 3, v6
	v_bfe_u32 v14, v6, 2, 5
	v_and_b32_e32 v5, 0x80000000, v5
	v_ffbh_u32_e32 v12, v7
	v_cmp_eq_u32_e32 vcc_lo, 0, v14
	v_min_u32_e32 v12, 32, v12
	v_subrev_nc_u32_e32 v13, 29, v12
	v_sub_nc_u32_e32 v12, 30, v12
	v_lshlrev_b32_e32 v6, v13, v6
	v_cndmask_b32_e32 v12, v14, v12, vcc_lo
	v_and_b32_e32 v6, 3, v6
	v_cndmask_b32_e32 v6, v7, v6, vcc_lo
	v_lshl_add_u32 v7, v12, 23, 0x37800000
	v_lshlrev_b32_e32 v6, 21, v6
	v_or3_b32 v6, v5, v7, v6
.LBB6_3008:                             ;   in Loop: Header=BB6_2994 Depth=3
	s_or_b32 exec_lo, exec_lo, s61
	v_mul_f32_e32 v4, v4, v6
	v_and_b32_e32 v5, 0x7f800000, v4
	v_cmp_ne_u32_e32 vcc_lo, 0x7f800000, v5
	v_mov_b32_e32 v5, 0x80
	s_and_saveexec_b32 s61, vcc_lo
	s_cbranch_execz .LBB6_2993
; %bb.3009:                             ;   in Loop: Header=BB6_2994 Depth=3
	v_mov_b32_e32 v5, 0
	s_mov_b32 s62, exec_lo
	v_cmpx_ne_u32_e32 0, v4
	s_cbranch_execz .LBB6_2992
; %bb.3010:                             ;   in Loop: Header=BB6_2994 Depth=3
	v_bfe_u32 v5, v4, 23, 8
	v_and_b32_e32 v6, 0x7fffff, v4
	v_sub_nc_u32_e32 v7, 0x70, v5
	v_cmp_gt_u32_e32 vcc_lo, 0x71, v5
	v_or_b32_e32 v12, 0x800000, v6
	v_cndmask_b32_e32 v7, 0, v7, vcc_lo
	v_cmp_eq_u32_e32 vcc_lo, 0, v5
	v_add_nc_u32_e32 v5, 0xffffff91, v5
	v_cndmask_b32_e64 v7, v7, 0x6f, vcc_lo
	v_cndmask_b32_e32 v6, v12, v6, vcc_lo
	v_cndmask_b32_e64 v5, v5, 0xffffff92, vcc_lo
	v_lshl_add_u32 v12, 0x200000, v7, -1
	v_lshrrev_b32_e32 v13, v7, v6
	v_lshlrev_b32_e64 v15, v7, 0x100000
	v_add_nc_u32_e32 v7, v7, v5
	v_and_b32_e32 v6, v12, v6
	v_bfe_u32 v14, v13, 21, 1
	v_cmp_eq_u32_e64 s16, v6, v15
	v_add_nc_u32_e32 v12, -1, v14
	v_cndmask_b32_e64 v6, 0, v12, s16
	v_lshrrev_b32_e32 v12, 23, v13
	s_mov_b32 s16, exec_lo
	v_add_nc_u32_e32 v6, v6, v13
	v_xor_b32_e32 v12, 1, v12
	v_and_b32_e32 v5, 0x1fffff, v6
	v_add_nc_u32_e32 v6, v5, v13
                                        ; implicit-def: $vgpr5
	v_cmpx_ne_u32_e64 v7, v12
	s_xor_b32 s16, exec_lo, s16
; %bb.3011:                             ;   in Loop: Header=BB6_2994 Depth=3
	v_cmp_lt_u32_e32 vcc_lo, 0xffffff, v6
	v_sub_nc_u32_e32 v5, v7, v12
	v_cndmask_b32_e64 v7, 0, 1, vcc_lo
	v_add_co_ci_u32_e64 v5, null, 0, v5, vcc_lo
	v_lshrrev_b32_e32 v6, v7, v6
; %bb.3012:                             ;   in Loop: Header=BB6_2994 Depth=3
	s_andn2_saveexec_b32 s16, s16
	s_cbranch_execz .LBB6_2991
; %bb.3013:                             ;   in Loop: Header=BB6_2994 Depth=3
	v_bfe_u32 v5, v6, 23, 1
	s_branch .LBB6_2991
.LBB6_3014:                             ;   in Loop: Header=BB6_2994 Depth=3
	s_or_saveexec_b32 s61, s61
	v_mov_b32_e32 v6, 0x7f800001
	s_xor_b32 exec_lo, exec_lo, s61
	s_cbranch_execz .LBB6_3006
.LBB6_3015:                             ;   in Loop: Header=BB6_2994 Depth=3
	v_cmp_ne_u16_e32 vcc_lo, 0, v5
	v_mov_b32_e32 v6, 0
	s_andn2_b32 s16, s16, exec_lo
	s_and_b32 s62, vcc_lo, exec_lo
	s_or_b32 s16, s16, s62
	s_or_b32 exec_lo, exec_lo, s61
	s_and_saveexec_b32 s61, s16
	s_cbranch_execnz .LBB6_3007
	s_branch .LBB6_3008
.LBB6_3016:                             ;   in Loop: Header=BB6_57 Depth=2
	s_or_b32 exec_lo, exec_lo, s17
	buffer_load_dword v0, off, s[0:3], s33 offset:452 ; 4-byte Folded Reload
	s_waitcnt vmcnt(0)
	v_cmp_lt_i32_e64 s16, 0, v0
.LBB6_3017:                             ;   in Loop: Header=BB6_57 Depth=2
	s_clause 0x2
	buffer_load_dword v12, off, s[0:3], s33 offset:456
	buffer_load_dword v18, off, s[0:3], s33 offset:444
	;; [unrolled: 1-line block ×3, first 2 shown]
	s_and_saveexec_b32 s17, s6
	s_cbranch_execz .LBB6_128
.LBB6_3018:                             ;   in Loop: Header=BB6_57 Depth=2
	s_and_saveexec_b32 s23, s29
	s_xor_b32 s23, exec_lo, s23
	s_cbranch_execz .LBB6_3033
; %bb.3019:                             ;   in Loop: Header=BB6_57 Depth=2
	s_and_saveexec_b32 s61, s11
	s_cbranch_execz .LBB6_3032
; %bb.3020:                             ;   in Loop: Header=BB6_57 Depth=2
	s_mov_b32 s63, exec_lo
	s_mov_b32 s62, exec_lo
	v_mbcnt_lo_u32_b32 v0, s63, 0
	s_waitcnt vmcnt(0) lgkmcnt(0)
	s_waitcnt_vscnt null, 0x0
	buffer_gl1_inv
	buffer_gl0_inv
	v_cmpx_eq_u32_e32 0, v0
	s_cbranch_execz .LBB6_3022
; %bb.3021:                             ;   in Loop: Header=BB6_57 Depth=2
	s_bcnt1_i32_b32 s63, s63
	v_mov_b32_e32 v1, v2
	v_mov_b32_e32 v0, s63
	ds_add_u64 v0, v[0:1]
	s_trap 2
.LBB6_3022:                             ;   in Loop: Header=BB6_57 Depth=2
	s_or_b32 exec_lo, exec_lo, s62
	s_trap 2
	ds_read_b64 v[0:1], v0
	s_waitcnt lgkmcnt(0)
	buffer_gl0_inv
	v_add_co_u32 v38, vcc_lo, v38, v103
	v_add_co_ci_u32_e64 v39, null, 0, v39, vcc_lo
	s_mov_b32 s62, exec_lo
	v_cmpx_lt_u64_e64 v[0:1], v[38:39]
	s_cbranch_execz .LBB6_3031
; %bb.3023:                             ;   in Loop: Header=BB6_57 Depth=2
	s_mov_b32 s63, 0
	s_mov_b32 s74, 0
                                        ; implicit-def: $sgpr72
                                        ; implicit-def: $sgpr73
	s_inst_prefetch 0x1
	s_branch .LBB6_3025
	.p2align	6
.LBB6_3024:                             ;   in Loop: Header=BB6_3025 Depth=3
	s_or_b32 exec_lo, exec_lo, s76
	s_and_b32 s75, exec_lo, s77
	s_or_b32 s63, s75, s63
	s_andn2_b32 s72, s72, exec_lo
	s_and_b32 s75, s73, exec_lo
	s_or_b32 s72, s72, s75
	s_andn2_b32 exec_lo, exec_lo, s63
	s_cbranch_execz .LBB6_3029
.LBB6_3025:                             ;   Parent Loop BB6_47 Depth=1
                                        ;     Parent Loop BB6_57 Depth=2
                                        ; =>    This Inner Loop Header: Depth=3
	s_add_i32 s74, s74, 1
	s_cmpk_lg_i32 s74, 0x2710
	s_cselect_b32 s75, -1, 0
	s_and_b32 vcc_lo, exec_lo, s75
	s_cbranch_vccz .LBB6_3027
; %bb.3026:                             ;   in Loop: Header=BB6_3025 Depth=3
	s_mov_b32 s77, -1
	s_or_b32 s73, s73, exec_lo
	s_and_saveexec_b32 s76, s75
	s_cbranch_execz .LBB6_3024
	s_branch .LBB6_3028
	.p2align	6
.LBB6_3027:                             ;   in Loop: Header=BB6_3025 Depth=3
	s_trap 2
	ds_read_b64 v[0:1], v0
	s_andn2_b32 s75, s75, exec_lo
	s_mov_b32 s74, 0
	s_waitcnt lgkmcnt(0)
	flat_load_dword v0, v[0:1] glc dlc
	s_waitcnt vmcnt(0) lgkmcnt(0)
	buffer_gl1_inv
	buffer_gl0_inv
	v_cmp_eq_u32_e32 vcc_lo, 0, v0
	s_and_b32 s76, vcc_lo, exec_lo
	s_or_b32 s75, s75, s76
	s_mov_b32 s77, -1
	s_or_b32 s73, s73, exec_lo
	s_and_saveexec_b32 s76, s75
	s_cbranch_execz .LBB6_3024
.LBB6_3028:                             ;   in Loop: Header=BB6_3025 Depth=3
	s_sleep 1
	s_trap 2
	ds_read_b64 v[0:1], v0
	s_waitcnt lgkmcnt(0)
	buffer_gl0_inv
	s_andn2_b32 s73, s73, exec_lo
	v_cmp_ge_u64_e32 vcc_lo, v[0:1], v[38:39]
	s_orn2_b32 s77, vcc_lo, exec_lo
	s_branch .LBB6_3024
.LBB6_3029:                             ;   in Loop: Header=BB6_57 Depth=2
	s_inst_prefetch 0x2
	s_or_b32 exec_lo, exec_lo, s63
	s_and_saveexec_b32 s63, s72
	s_xor_b32 s63, exec_lo, s63
	s_cbranch_execz .LBB6_3031
; %bb.3030:                             ;   in Loop: Header=BB6_57 Depth=2
	v_mov_b32_e32 v0, 1
	ds_write_b32 v0, v0
	s_trap 2
.LBB6_3031:                             ;   in Loop: Header=BB6_57 Depth=2
	s_or_b32 exec_lo, exec_lo, s62
	;;#ASMSTART
	s_wakeup
	;;#ASMEND
.LBB6_3032:                             ;   in Loop: Header=BB6_57 Depth=2
	s_or_b32 exec_lo, exec_lo, s61
.LBB6_3033:                             ;   in Loop: Header=BB6_57 Depth=2
	s_andn2_saveexec_b32 s23, s23
	s_cbranch_execz .LBB6_3035
; %bb.3034:                             ;   in Loop: Header=BB6_57 Depth=2
	s_waitcnt vmcnt(0) lgkmcnt(0)
	s_waitcnt_vscnt null, 0x0
	buffer_gl1_inv
	buffer_gl0_inv
	s_barrier
.LBB6_3035:                             ;   in Loop: Header=BB6_57 Depth=2
	s_or_b32 exec_lo, exec_lo, s23
	s_or_b32 exec_lo, exec_lo, s17
                                        ; implicit-def: $vgpr0
	s_and_saveexec_b32 s17, s15
	s_xor_b32 s17, exec_lo, s17
	s_cbranch_execnz .LBB6_129
.LBB6_3036:                             ;   in Loop: Header=BB6_57 Depth=2
	s_andn2_saveexec_b32 s16, s17
	s_cbranch_execz .LBB6_3055
.LBB6_3037:                             ;   in Loop: Header=BB6_57 Depth=2
	s_and_saveexec_b32 s17, s29
	s_xor_b32 s17, exec_lo, s17
	s_cbranch_execz .LBB6_3052
; %bb.3038:                             ;   in Loop: Header=BB6_57 Depth=2
	s_and_saveexec_b32 s23, s11
	s_cbranch_execz .LBB6_3051
; %bb.3039:                             ;   in Loop: Header=BB6_57 Depth=2
	s_mov_b32 s62, exec_lo
	s_mov_b32 s61, exec_lo
	v_mbcnt_lo_u32_b32 v0, s62, 0
	;;#ASMSTART
	s_waitcnt lgkmcnt(0) vmcnt(0)
	;;#ASMEND
	v_cmpx_eq_u32_e32 0, v0
	s_cbranch_execz .LBB6_3041
; %bb.3040:                             ;   in Loop: Header=BB6_57 Depth=2
	s_bcnt1_i32_b32 s62, s62
	v_mov_b32_e32 v1, v2
	v_mov_b32_e32 v0, s62
	s_waitcnt vmcnt(0) lgkmcnt(0)
	s_waitcnt_vscnt null, 0x0
	ds_add_u64 v0, v[0:1]
	s_trap 2
.LBB6_3041:                             ;   in Loop: Header=BB6_57 Depth=2
	s_or_b32 exec_lo, exec_lo, s61
	s_trap 2
	ds_read_b64 v[0:1], v0
	s_waitcnt vmcnt(0) lgkmcnt(0)
	buffer_gl0_inv
	v_add_co_u32 v38, vcc_lo, v38, v103
	v_add_co_ci_u32_e64 v39, null, 0, v39, vcc_lo
	s_mov_b32 s61, exec_lo
	v_cmpx_lt_u64_e64 v[0:1], v[38:39]
	s_cbranch_execz .LBB6_3050
; %bb.3042:                             ;   in Loop: Header=BB6_57 Depth=2
	s_mov_b32 s62, 0
	s_mov_b32 s73, 0
                                        ; implicit-def: $sgpr63
                                        ; implicit-def: $sgpr72
	s_inst_prefetch 0x1
	s_branch .LBB6_3044
	.p2align	6
.LBB6_3043:                             ;   in Loop: Header=BB6_3044 Depth=3
	s_or_b32 exec_lo, exec_lo, s75
	s_and_b32 s74, exec_lo, s76
	s_or_b32 s62, s74, s62
	s_andn2_b32 s63, s63, exec_lo
	s_and_b32 s74, s72, exec_lo
	s_or_b32 s63, s63, s74
	s_andn2_b32 exec_lo, exec_lo, s62
	s_cbranch_execz .LBB6_3048
.LBB6_3044:                             ;   Parent Loop BB6_47 Depth=1
                                        ;     Parent Loop BB6_57 Depth=2
                                        ; =>    This Inner Loop Header: Depth=3
	s_add_i32 s73, s73, 1
	s_cmpk_lg_i32 s73, 0x2710
	s_cselect_b32 s74, -1, 0
	s_and_b32 vcc_lo, exec_lo, s74
	s_cbranch_vccz .LBB6_3046
; %bb.3045:                             ;   in Loop: Header=BB6_3044 Depth=3
	s_mov_b32 s76, -1
	s_or_b32 s72, s72, exec_lo
	s_and_saveexec_b32 s75, s74
	s_cbranch_execz .LBB6_3043
	s_branch .LBB6_3047
	.p2align	6
.LBB6_3046:                             ;   in Loop: Header=BB6_3044 Depth=3
	s_trap 2
	ds_read_b64 v[0:1], v0
	s_andn2_b32 s74, s74, exec_lo
	s_mov_b32 s73, 0
	s_waitcnt lgkmcnt(0)
	s_waitcnt_vscnt null, 0x0
	flat_load_dword v0, v[0:1] glc dlc
	s_waitcnt vmcnt(0) lgkmcnt(0)
	buffer_gl1_inv
	buffer_gl0_inv
	v_cmp_eq_u32_e32 vcc_lo, 0, v0
	s_and_b32 s75, vcc_lo, exec_lo
	s_or_b32 s74, s74, s75
	s_mov_b32 s76, -1
	s_or_b32 s72, s72, exec_lo
	s_and_saveexec_b32 s75, s74
	s_cbranch_execz .LBB6_3043
.LBB6_3047:                             ;   in Loop: Header=BB6_3044 Depth=3
	s_sleep 1
	s_trap 2
	ds_read_b64 v[0:1], v0
	s_waitcnt lgkmcnt(0)
	buffer_gl0_inv
	s_andn2_b32 s72, s72, exec_lo
	v_cmp_ge_u64_e32 vcc_lo, v[0:1], v[38:39]
	s_orn2_b32 s76, vcc_lo, exec_lo
	s_branch .LBB6_3043
.LBB6_3048:                             ;   in Loop: Header=BB6_57 Depth=2
	s_inst_prefetch 0x2
	s_or_b32 exec_lo, exec_lo, s62
	s_and_saveexec_b32 s62, s63
	s_xor_b32 s62, exec_lo, s62
	s_cbranch_execz .LBB6_3050
; %bb.3049:                             ;   in Loop: Header=BB6_57 Depth=2
	v_mov_b32_e32 v0, 1
	ds_write_b32 v0, v0
	s_trap 2
.LBB6_3050:                             ;   in Loop: Header=BB6_57 Depth=2
	s_or_b32 exec_lo, exec_lo, s61
	;;#ASMSTART
	s_wakeup
	;;#ASMEND
.LBB6_3051:                             ;   in Loop: Header=BB6_57 Depth=2
	s_or_b32 exec_lo, exec_lo, s23
.LBB6_3052:                             ;   in Loop: Header=BB6_57 Depth=2
	s_andn2_saveexec_b32 s17, s17
	s_cbranch_execz .LBB6_3054
; %bb.3053:                             ;   in Loop: Header=BB6_57 Depth=2
	;;#ASMSTART
	s_waitcnt lgkmcnt(0) vmcnt(0)
	;;#ASMEND
	s_barrier
.LBB6_3054:                             ;   in Loop: Header=BB6_57 Depth=2
	s_or_b32 exec_lo, exec_lo, s17
	v_and_b32_e32 v0, 16, v100
.LBB6_3055:                             ;   in Loop: Header=BB6_57 Depth=2
	s_or_b32 exec_lo, exec_lo, s16
	s_mov_b32 s16, exec_lo
	v_cmpx_ne_u32_e32 0, v0
	s_cbranch_execz .LBB6_56
; %bb.3056:                             ;   in Loop: Header=BB6_57 Depth=2
	s_and_saveexec_b32 s17, s10
	s_cbranch_execz .LBB6_55
; %bb.3057:                             ;   in Loop: Header=BB6_57 Depth=2
	s_clause 0x1
	buffer_load_dword v0, off, s[0:3], s33 offset:240
	buffer_load_dword v1, off, s[0:3], s33 offset:244
	v_mov_b32_e32 v3, 1
	s_waitcnt vmcnt(0) lgkmcnt(0)
	s_waitcnt_vscnt null, 0x0
	flat_store_dword v[0:1], v3
	s_branch .LBB6_55
.LBB6_3058:                             ;   in Loop: Header=BB6_47 Depth=1
	s_or_b32 exec_lo, exec_lo, s19
.LBB6_3059:                             ;   in Loop: Header=BB6_47 Depth=1
	s_or_b32 exec_lo, exec_lo, s18
	s_mov_b32 s17, exec_lo
	v_cmpx_gt_i32_e32 2, v0
	s_cbranch_execz .LBB6_3131
; %bb.3060:                             ;   in Loop: Header=BB6_47 Depth=1
	v_cmp_eq_u32_e64 s19, 0, v0
	s_mov_b32 s18, 0
	s_branch .LBB6_3063
.LBB6_3061:                             ;   in Loop: Header=BB6_3063 Depth=2
	s_or_b32 exec_lo, exec_lo, s19
	v_add_co_u32 v64, vcc_lo, v64, 2
	v_add_co_ci_u32_e64 v65, null, 0, v65, vcc_lo
	s_waitcnt vmcnt(0) lgkmcnt(0)
	s_waitcnt_vscnt null, 0x0
	flat_store_dwordx2 v[32:33], v[64:65]
.LBB6_3062:                             ;   in Loop: Header=BB6_3063 Depth=2
	s_or_b32 exec_lo, exec_lo, s16
	v_add_nc_u32_e32 v71, v18, v71
	s_mov_b32 s19, 0
	s_andn2_b32 exec_lo, exec_lo, s18
	s_cbranch_execz .LBB6_3130
.LBB6_3063:                             ;   Parent Loop BB6_47 Depth=1
                                        ; =>  This Loop Header: Depth=2
                                        ;       Child Loop BB6_3069 Depth 3
                                        ;       Child Loop BB6_3093 Depth 3
	;; [unrolled: 1-line block ×3, first 2 shown]
	v_sub_nc_u32_e32 v0, v12, v71
	v_and_b32_e32 v1, 8, v100
	s_mov_b32 s21, exec_lo
	v_min_i32_e32 v18, v18, v0
	v_cmpx_ne_u32_e32 0, v1
	s_cbranch_execz .LBB6_3085
; %bb.3064:                             ;   in Loop: Header=BB6_3063 Depth=2
	s_waitcnt vmcnt(0) lgkmcnt(1)
	v_add_co_u32 v0, vcc_lo, v48, 8
	v_add_co_ci_u32_e64 v1, null, 0, v49, vcc_lo
	v_add_co_u32 v8, vcc_lo, v64, 2
	v_add_co_ci_u32_e64 v9, null, 0, v65, vcc_lo
	s_mov_b32 s22, exec_lo
	v_cmpx_lt_u64_e64 v[0:1], v[8:9]
	s_cbranch_execz .LBB6_3076
; %bb.3065:                             ;   in Loop: Header=BB6_3063 Depth=2
	v_and_b32_e32 v0, 64, v100
	s_mov_b32 s23, 0
	s_mov_b32 s72, 0
                                        ; implicit-def: $sgpr61
                                        ; implicit-def: $sgpr62
                                        ; implicit-def: $sgpr63
	v_cmp_eq_u32_e32 vcc_lo, 0, v0
	s_branch .LBB6_3069
.LBB6_3066:                             ;   in Loop: Header=BB6_3069 Depth=3
	s_waitcnt vmcnt(0) lgkmcnt(0)
	v_add_co_u32 v3, s16, v48, 8
	v_add_co_ci_u32_e64 v4, null, 0, v49, s16
	s_or_b32 s75, s75, exec_lo
	v_cmp_ge_u64_e64 s16, v[3:4], v[8:9]
	s_orn2_b32 s74, s16, exec_lo
.LBB6_3067:                             ;   in Loop: Header=BB6_3069 Depth=3
	s_or_b32 exec_lo, exec_lo, s77
	s_andn2_b32 s16, s63, exec_lo
	s_and_b32 s63, s75, exec_lo
	s_andn2_b32 s62, s62, exec_lo
	s_and_b32 s74, s74, exec_lo
	s_or_b32 s63, s16, s63
	s_or_b32 s62, s62, s74
.LBB6_3068:                             ;   in Loop: Header=BB6_3069 Depth=3
	s_or_b32 exec_lo, exec_lo, s73
	s_and_b32 s16, exec_lo, s62
	s_or_b32 s23, s16, s23
	s_andn2_b32 s16, s61, exec_lo
	s_and_b32 s61, s63, exec_lo
	s_or_b32 s61, s16, s61
	s_andn2_b32 exec_lo, exec_lo, s23
	s_cbranch_execz .LBB6_3073
.LBB6_3069:                             ;   Parent Loop BB6_47 Depth=1
                                        ;     Parent Loop BB6_3063 Depth=2
                                        ; =>    This Inner Loop Header: Depth=3
	s_sleep 1
	s_waitcnt vmcnt(0) lgkmcnt(0)
	flat_load_dwordx2 v[48:49], v[32:33] glc dlc
	s_or_b32 s63, s63, exec_lo
	s_or_b32 s62, s62, exec_lo
                                        ; implicit-def: $vgpr0
	s_and_saveexec_b32 s73, vcc_lo
	s_cbranch_execz .LBB6_3068
; %bb.3070:                             ;   in Loop: Header=BB6_3069 Depth=3
	s_cmpk_lt_i32 s72, 0x270f
	s_mov_b32 s74, -1
	s_cselect_b32 s76, -1, 0
	s_cmpk_gt_i32 s72, 0x270e
	s_cbranch_scc0 .LBB6_3072
; %bb.3071:                             ;   in Loop: Header=BB6_3069 Depth=3
	s_trap 2
	ds_read_b64 v[0:1], v0
	s_andn2_b32 s72, s76, exec_lo
	s_mov_b32 s75, 0
	s_waitcnt vmcnt(0) lgkmcnt(0)
	s_waitcnt_vscnt null, 0x0
	flat_load_dword v0, v[0:1] glc dlc
	s_waitcnt vmcnt(0) lgkmcnt(0)
	buffer_gl1_inv
	buffer_gl0_inv
	v_cmp_eq_u32_e64 s16, 0, v0
	s_and_b32 s16, s16, exec_lo
	s_or_b32 s76, s72, s16
	s_mov_b32 s72, 0
	s_and_saveexec_b32 s77, s76
	s_cbranch_execz .LBB6_3067
	s_branch .LBB6_3066
.LBB6_3072:                             ;   in Loop: Header=BB6_3069 Depth=3
	s_add_i32 s72, s72, 1
	s_mov_b32 s75, -1
                                        ; implicit-def: $vgpr0
	s_and_saveexec_b32 s77, s76
	s_cbranch_execz .LBB6_3067
	s_branch .LBB6_3066
.LBB6_3073:                             ;   in Loop: Header=BB6_3063 Depth=2
	s_or_b32 exec_lo, exec_lo, s23
	s_xor_b32 s16, s61, -1
	s_and_saveexec_b32 s23, s16
	s_xor_b32 s16, exec_lo, s23
	s_cbranch_execz .LBB6_3075
; %bb.3074:                             ;   in Loop: Header=BB6_3063 Depth=2
	v_or_b32_e32 v100, 64, v100
	s_waitcnt vmcnt(0) lgkmcnt(0)
	s_waitcnt_vscnt null, 0x0
	ds_write_b32 v0, v0
	s_trap 2
.LBB6_3075:                             ;   in Loop: Header=BB6_3063 Depth=2
	s_or_b32 exec_lo, exec_lo, s16
.LBB6_3076:                             ;   in Loop: Header=BB6_3063 Depth=2
	s_or_b32 exec_lo, exec_lo, s22
	v_and_b32_e32 v0, 0x100, v100
	s_mov_b32 s16, -1
	;;#ASMSTART
	s_wakeup
	;;#ASMEND
                                        ; implicit-def: $vgpr10_vgpr11
	v_cmp_ne_u32_e32 vcc_lo, 0, v0
	v_and_b32_e32 v0, 7, v64
	s_and_saveexec_b32 s22, vcc_lo
	s_cbranch_execz .LBB6_3080
; %bb.3077:                             ;   in Loop: Header=BB6_3063 Depth=2
	s_clause 0x3
	buffer_load_dword v3, off, s[0:3], s33 offset:224
	buffer_load_dword v4, off, s[0:3], s33 offset:228
	buffer_load_dword v5, off, s[0:3], s33 offset:232
	buffer_load_dword v6, off, s[0:3], s33 offset:236
	v_ashrrev_i32_e32 v19, 31, v18
	s_mov_b32 s23, exec_lo
                                        ; implicit-def: $vgpr10_vgpr11
	s_waitcnt vmcnt(2)
	v_mad_u64_u32 v[14:15], null, v0, 24, v[3:4]
	flat_load_dword v1, v[14:15]
	flat_store_dwordx2 v[14:15], v[18:19] offset:8
	s_waitcnt vmcnt(0) lgkmcnt(1)
	v_cmp_ne_u32_e32 vcc_lo, 1, v1
	v_cmpx_eq_u32_e32 1, v1
	s_cbranch_execz .LBB6_3079
; %bb.3078:                             ;   in Loop: Header=BB6_3063 Depth=2
	flat_load_dword v10, v[14:15] offset:4 glc dlc
	s_waitcnt vmcnt(0) lgkmcnt(0)
	v_ashrrev_i32_e32 v11, 31, v10
.LBB6_3079:                             ;   in Loop: Header=BB6_3063 Depth=2
	s_or_b32 exec_lo, exec_lo, s23
	s_orn2_b32 s16, vcc_lo, exec_lo
.LBB6_3080:                             ;   in Loop: Header=BB6_3063 Depth=2
	s_or_b32 exec_lo, exec_lo, s22
	s_and_saveexec_b32 s22, s16
	s_cbranch_execz .LBB6_3082
; %bb.3081:                             ;   in Loop: Header=BB6_3063 Depth=2
	buffer_load_dword v1, off, s[0:3], s33 offset:256 ; 4-byte Folded Reload
	s_waitcnt vmcnt(0)
	v_mad_i64_i32 v[10:11], null, v0, v1, 0
.LBB6_3082:                             ;   in Loop: Header=BB6_3063 Depth=2
	s_or_b32 exec_lo, exec_lo, s22
	v_add_co_u32 v0, vcc_lo, v34, v10
	v_and_b32_e32 v3, 0x2000, v100
	v_add_co_ci_u32_e64 v1, null, v35, v11, vcc_lo
	s_mov_b32 s16, exec_lo
	ds_write_b64 v0, v[0:1] offset:784
	v_cmpx_ne_u32_e32 0, v3
	s_cbranch_execz .LBB6_3084
; %bb.3083:                             ;   in Loop: Header=BB6_3063 Depth=2
	ds_read_b64 v[0:1], v0 offset:872
	s_waitcnt lgkmcnt(0)
	v_add_co_u32 v0, vcc_lo, v0, 1
	v_add_co_ci_u32_e64 v1, null, 0, v1, vcc_lo
	ds_write_b64 v0, v[0:1] offset:872
.LBB6_3084:                             ;   in Loop: Header=BB6_3063 Depth=2
	s_or_b32 exec_lo, exec_lo, s16
	v_mov_b32_e32 v65, v9
	v_mov_b32_e32 v64, v8
.LBB6_3085:                             ;   in Loop: Header=BB6_3063 Depth=2
	s_or_b32 exec_lo, exec_lo, s21
	s_xor_b32 s16, s19, -1
	s_and_b32 s16, exec_lo, s16
	s_or_b32 s18, s16, s18
	s_and_saveexec_b32 s16, s6
	s_cbranch_execz .LBB6_3104
; %bb.3086:                             ;   in Loop: Header=BB6_3063 Depth=2
	s_and_saveexec_b32 s19, s29
	s_xor_b32 s19, exec_lo, s19
	s_cbranch_execz .LBB6_3101
; %bb.3087:                             ;   in Loop: Header=BB6_3063 Depth=2
	s_and_saveexec_b32 s21, s11
	s_cbranch_execz .LBB6_3100
; %bb.3088:                             ;   in Loop: Header=BB6_3063 Depth=2
	s_mov_b32 s23, exec_lo
	s_mov_b32 s22, exec_lo
	v_mbcnt_lo_u32_b32 v0, s23, 0
	s_waitcnt vmcnt(0) lgkmcnt(0)
	s_waitcnt_vscnt null, 0x0
	buffer_gl1_inv
	buffer_gl0_inv
	v_cmpx_eq_u32_e32 0, v0
	s_cbranch_execz .LBB6_3090
; %bb.3089:                             ;   in Loop: Header=BB6_3063 Depth=2
	s_bcnt1_i32_b32 s23, s23
	v_mov_b32_e32 v1, v2
	v_mov_b32_e32 v0, s23
	ds_add_u64 v0, v[0:1]
	s_trap 2
.LBB6_3090:                             ;   in Loop: Header=BB6_3063 Depth=2
	s_or_b32 exec_lo, exec_lo, s22
	s_trap 2
	ds_read_b64 v[0:1], v0
	s_waitcnt lgkmcnt(0)
	buffer_gl0_inv
	v_add_co_u32 v38, vcc_lo, v38, v103
	v_add_co_ci_u32_e64 v39, null, 0, v39, vcc_lo
	s_mov_b32 s22, exec_lo
	v_cmpx_lt_u64_e64 v[0:1], v[38:39]
	s_cbranch_execz .LBB6_3099
; %bb.3091:                             ;   in Loop: Header=BB6_3063 Depth=2
	s_mov_b32 s23, 0
	s_mov_b32 s63, 0
                                        ; implicit-def: $sgpr61
                                        ; implicit-def: $sgpr62
	s_inst_prefetch 0x1
	s_branch .LBB6_3093
	.p2align	6
.LBB6_3092:                             ;   in Loop: Header=BB6_3093 Depth=3
	s_or_b32 exec_lo, exec_lo, s73
	s_and_b32 s72, exec_lo, s74
	s_or_b32 s23, s72, s23
	s_andn2_b32 s61, s61, exec_lo
	s_and_b32 s72, s62, exec_lo
	s_or_b32 s61, s61, s72
	s_andn2_b32 exec_lo, exec_lo, s23
	s_cbranch_execz .LBB6_3097
.LBB6_3093:                             ;   Parent Loop BB6_47 Depth=1
                                        ;     Parent Loop BB6_3063 Depth=2
                                        ; =>    This Inner Loop Header: Depth=3
	s_add_i32 s63, s63, 1
	s_cmpk_lg_i32 s63, 0x2710
	s_cselect_b32 s72, -1, 0
	s_and_b32 vcc_lo, exec_lo, s72
	s_cbranch_vccz .LBB6_3095
; %bb.3094:                             ;   in Loop: Header=BB6_3093 Depth=3
	s_mov_b32 s74, -1
	s_or_b32 s62, s62, exec_lo
	s_and_saveexec_b32 s73, s72
	s_cbranch_execz .LBB6_3092
	s_branch .LBB6_3096
	.p2align	6
.LBB6_3095:                             ;   in Loop: Header=BB6_3093 Depth=3
	s_trap 2
	ds_read_b64 v[0:1], v0
	s_andn2_b32 s72, s72, exec_lo
	s_mov_b32 s63, 0
	s_waitcnt lgkmcnt(0)
	flat_load_dword v0, v[0:1] glc dlc
	s_waitcnt vmcnt(0) lgkmcnt(0)
	buffer_gl1_inv
	buffer_gl0_inv
	v_cmp_eq_u32_e32 vcc_lo, 0, v0
	s_and_b32 s73, vcc_lo, exec_lo
	s_or_b32 s72, s72, s73
	s_mov_b32 s74, -1
	s_or_b32 s62, s62, exec_lo
	s_and_saveexec_b32 s73, s72
	s_cbranch_execz .LBB6_3092
.LBB6_3096:                             ;   in Loop: Header=BB6_3093 Depth=3
	s_sleep 1
	s_trap 2
	ds_read_b64 v[0:1], v0
	s_waitcnt lgkmcnt(0)
	buffer_gl0_inv
	s_andn2_b32 s62, s62, exec_lo
	v_cmp_ge_u64_e32 vcc_lo, v[0:1], v[38:39]
	s_orn2_b32 s74, vcc_lo, exec_lo
	s_branch .LBB6_3092
.LBB6_3097:                             ;   in Loop: Header=BB6_3063 Depth=2
	s_inst_prefetch 0x2
	s_or_b32 exec_lo, exec_lo, s23
	s_and_saveexec_b32 s23, s61
	s_xor_b32 s23, exec_lo, s23
	s_cbranch_execz .LBB6_3099
; %bb.3098:                             ;   in Loop: Header=BB6_3063 Depth=2
	v_mov_b32_e32 v0, 1
	ds_write_b32 v0, v0
	s_trap 2
.LBB6_3099:                             ;   in Loop: Header=BB6_3063 Depth=2
	s_or_b32 exec_lo, exec_lo, s22
	;;#ASMSTART
	s_wakeup
	;;#ASMEND
.LBB6_3100:                             ;   in Loop: Header=BB6_3063 Depth=2
	s_or_b32 exec_lo, exec_lo, s21
.LBB6_3101:                             ;   in Loop: Header=BB6_3063 Depth=2
	s_andn2_saveexec_b32 s19, s19
	s_cbranch_execz .LBB6_3103
; %bb.3102:                             ;   in Loop: Header=BB6_3063 Depth=2
	s_waitcnt vmcnt(0) lgkmcnt(0)
	s_waitcnt_vscnt null, 0x0
	buffer_gl1_inv
	buffer_gl0_inv
	s_barrier
.LBB6_3103:                             ;   in Loop: Header=BB6_3063 Depth=2
	s_or_b32 exec_lo, exec_lo, s19
.LBB6_3104:                             ;   in Loop: Header=BB6_3063 Depth=2
	s_or_b32 exec_lo, exec_lo, s16
                                        ; implicit-def: $vgpr0
	s_and_saveexec_b32 s16, s15
	s_xor_b32 s19, exec_lo, s16
	s_cbranch_execz .LBB6_3108
; %bb.3105:                             ;   in Loop: Header=BB6_3063 Depth=2
	s_trap 2
	ds_read_b32 v0, v0
	v_cmp_lt_i32_e32 vcc_lo, 0, v18
	s_waitcnt lgkmcnt(0)
	v_readfirstlane_b32 s16, v0
	v_and_b32_e32 v0, 16, v100
	s_cmp_eq_u32 s16, 0
	v_cmp_ne_u32_e64 s16, 0, v0
	s_cselect_b32 s21, -1, 0
	v_and_b32_e32 v0, 16, v100
	s_and_b32 s21, vcc_lo, s21
	s_and_b32 s21, s16, s21
	s_and_saveexec_b32 s16, s21
	s_cbranch_execz .LBB6_3107
; %bb.3106:                             ;   in Loop: Header=BB6_3063 Depth=2
	v_mov_b32_e32 v0, 1
	s_waitcnt vmcnt(0)
	s_waitcnt_vscnt null, 0x0
	buffer_gl1_inv
	buffer_gl0_inv
.LBB6_3107:                             ;   in Loop: Header=BB6_3063 Depth=2
	s_or_b32 exec_lo, exec_lo, s16
	s_andn2_saveexec_b32 s16, s19
	s_cbranch_execz .LBB6_3127
	s_branch .LBB6_3109
.LBB6_3108:                             ;   in Loop: Header=BB6_3063 Depth=2
	s_andn2_saveexec_b32 s16, s19
	s_cbranch_execz .LBB6_3127
.LBB6_3109:                             ;   in Loop: Header=BB6_3063 Depth=2
	s_and_saveexec_b32 s19, s29
	s_xor_b32 s19, exec_lo, s19
	s_cbranch_execz .LBB6_3124
; %bb.3110:                             ;   in Loop: Header=BB6_3063 Depth=2
	s_and_saveexec_b32 s21, s11
	s_cbranch_execz .LBB6_3123
; %bb.3111:                             ;   in Loop: Header=BB6_3063 Depth=2
	s_mov_b32 s23, exec_lo
	s_mov_b32 s22, exec_lo
	v_mbcnt_lo_u32_b32 v0, s23, 0
	;;#ASMSTART
	s_waitcnt lgkmcnt(0) vmcnt(0)
	;;#ASMEND
	v_cmpx_eq_u32_e32 0, v0
	s_cbranch_execz .LBB6_3113
; %bb.3112:                             ;   in Loop: Header=BB6_3063 Depth=2
	s_bcnt1_i32_b32 s23, s23
	v_mov_b32_e32 v1, v2
	v_mov_b32_e32 v0, s23
	s_waitcnt vmcnt(0) lgkmcnt(0)
	s_waitcnt_vscnt null, 0x0
	ds_add_u64 v0, v[0:1]
	s_trap 2
.LBB6_3113:                             ;   in Loop: Header=BB6_3063 Depth=2
	s_or_b32 exec_lo, exec_lo, s22
	s_trap 2
	ds_read_b64 v[0:1], v0
	s_waitcnt vmcnt(0) lgkmcnt(0)
	buffer_gl0_inv
	v_add_co_u32 v38, vcc_lo, v38, v103
	v_add_co_ci_u32_e64 v39, null, 0, v39, vcc_lo
	s_mov_b32 s22, exec_lo
	v_cmpx_lt_u64_e64 v[0:1], v[38:39]
	s_cbranch_execz .LBB6_3122
; %bb.3114:                             ;   in Loop: Header=BB6_3063 Depth=2
	s_mov_b32 s23, 0
	s_mov_b32 s63, 0
                                        ; implicit-def: $sgpr61
                                        ; implicit-def: $sgpr62
	s_inst_prefetch 0x1
	s_branch .LBB6_3116
	.p2align	6
.LBB6_3115:                             ;   in Loop: Header=BB6_3116 Depth=3
	s_or_b32 exec_lo, exec_lo, s73
	s_and_b32 s72, exec_lo, s74
	s_or_b32 s23, s72, s23
	s_andn2_b32 s61, s61, exec_lo
	s_and_b32 s72, s62, exec_lo
	s_or_b32 s61, s61, s72
	s_andn2_b32 exec_lo, exec_lo, s23
	s_cbranch_execz .LBB6_3120
.LBB6_3116:                             ;   Parent Loop BB6_47 Depth=1
                                        ;     Parent Loop BB6_3063 Depth=2
                                        ; =>    This Inner Loop Header: Depth=3
	s_add_i32 s63, s63, 1
	s_cmpk_lg_i32 s63, 0x2710
	s_cselect_b32 s72, -1, 0
	s_and_b32 vcc_lo, exec_lo, s72
	s_cbranch_vccz .LBB6_3118
; %bb.3117:                             ;   in Loop: Header=BB6_3116 Depth=3
	s_mov_b32 s74, -1
	s_or_b32 s62, s62, exec_lo
	s_and_saveexec_b32 s73, s72
	s_cbranch_execz .LBB6_3115
	s_branch .LBB6_3119
	.p2align	6
.LBB6_3118:                             ;   in Loop: Header=BB6_3116 Depth=3
	s_trap 2
	ds_read_b64 v[0:1], v0
	s_andn2_b32 s72, s72, exec_lo
	s_mov_b32 s63, 0
	s_waitcnt lgkmcnt(0)
	s_waitcnt_vscnt null, 0x0
	flat_load_dword v0, v[0:1] glc dlc
	s_waitcnt vmcnt(0) lgkmcnt(0)
	buffer_gl1_inv
	buffer_gl0_inv
	v_cmp_eq_u32_e32 vcc_lo, 0, v0
	s_and_b32 s73, vcc_lo, exec_lo
	s_or_b32 s72, s72, s73
	s_mov_b32 s74, -1
	s_or_b32 s62, s62, exec_lo
	s_and_saveexec_b32 s73, s72
	s_cbranch_execz .LBB6_3115
.LBB6_3119:                             ;   in Loop: Header=BB6_3116 Depth=3
	s_sleep 1
	s_trap 2
	ds_read_b64 v[0:1], v0
	s_waitcnt lgkmcnt(0)
	buffer_gl0_inv
	s_andn2_b32 s62, s62, exec_lo
	v_cmp_ge_u64_e32 vcc_lo, v[0:1], v[38:39]
	s_orn2_b32 s74, vcc_lo, exec_lo
	s_branch .LBB6_3115
.LBB6_3120:                             ;   in Loop: Header=BB6_3063 Depth=2
	s_inst_prefetch 0x2
	s_or_b32 exec_lo, exec_lo, s23
	s_and_saveexec_b32 s23, s61
	s_xor_b32 s23, exec_lo, s23
	s_cbranch_execz .LBB6_3122
; %bb.3121:                             ;   in Loop: Header=BB6_3063 Depth=2
	v_mov_b32_e32 v0, 1
	ds_write_b32 v0, v0
	s_trap 2
.LBB6_3122:                             ;   in Loop: Header=BB6_3063 Depth=2
	s_or_b32 exec_lo, exec_lo, s22
	;;#ASMSTART
	s_wakeup
	;;#ASMEND
.LBB6_3123:                             ;   in Loop: Header=BB6_3063 Depth=2
	s_or_b32 exec_lo, exec_lo, s21
.LBB6_3124:                             ;   in Loop: Header=BB6_3063 Depth=2
	s_andn2_saveexec_b32 s19, s19
	s_cbranch_execz .LBB6_3126
; %bb.3125:                             ;   in Loop: Header=BB6_3063 Depth=2
	;;#ASMSTART
	s_waitcnt lgkmcnt(0) vmcnt(0)
	;;#ASMEND
	s_barrier
.LBB6_3126:                             ;   in Loop: Header=BB6_3063 Depth=2
	s_or_b32 exec_lo, exec_lo, s19
	v_and_b32_e32 v0, 16, v100
.LBB6_3127:                             ;   in Loop: Header=BB6_3063 Depth=2
	s_or_b32 exec_lo, exec_lo, s16
	s_mov_b32 s16, exec_lo
	v_cmpx_ne_u32_e32 0, v0
	s_cbranch_execz .LBB6_3062
; %bb.3128:                             ;   in Loop: Header=BB6_3063 Depth=2
	s_and_saveexec_b32 s19, s10
	s_cbranch_execz .LBB6_3061
; %bb.3129:                             ;   in Loop: Header=BB6_3063 Depth=2
	s_clause 0x1
	buffer_load_dword v0, off, s[0:3], s33 offset:240
	buffer_load_dword v1, off, s[0:3], s33 offset:244
	v_mov_b32_e32 v3, 1
	s_waitcnt vmcnt(0) lgkmcnt(0)
	s_waitcnt_vscnt null, 0x0
	flat_store_dword v[0:1], v3
	s_branch .LBB6_3061
.LBB6_3130:                             ;   in Loop: Header=BB6_47 Depth=1
	s_or_b32 exec_lo, exec_lo, s18
.LBB6_3131:                             ;   in Loop: Header=BB6_47 Depth=1
	s_or_b32 exec_lo, exec_lo, s17
	s_andn2_b32 vcc_lo, exec_lo, s46
	s_cbranch_vccz .LBB6_3132
; %bb.17783:                            ;   in Loop: Header=BB6_47 Depth=1
	s_getpc_b64 s[34:35]
.Lpost_getpc29:
	s_add_u32 s34, s34, (.LBB6_7906-.Lpost_getpc29)&4294967295
	s_addc_u32 s35, s35, (.LBB6_7906-.Lpost_getpc29)>>32
	s_setpc_b64 s[34:35]
.LBB6_3132:                             ;   in Loop: Header=BB6_47 Depth=1
	s_mov_b32 s18, 2
	s_branch .LBB6_3135
.LBB6_3133:                             ;   in Loop: Header=BB6_3135 Depth=2
	s_or_b32 exec_lo, exec_lo, s19
.LBB6_3134:                             ;   in Loop: Header=BB6_3135 Depth=2
	s_or_b32 exec_lo, exec_lo, s17
	s_add_i32 s18, s18, 1
	s_cmp_eq_u32 s18, s25
	s_cbranch_scc0 .LBB6_3135
; %bb.17785:                            ;   in Loop: Header=BB6_47 Depth=1
	s_getpc_b64 s[34:35]
.Lpost_getpc30:
	s_add_u32 s34, s34, (.LBB6_7906-.Lpost_getpc30)&4294967295
	s_addc_u32 s35, s35, (.LBB6_7906-.Lpost_getpc30)>>32
	s_setpc_b64 s[34:35]
.LBB6_3135:                             ;   Parent Loop BB6_47 Depth=1
                                        ; =>  This Loop Header: Depth=2
                                        ;       Child Loop BB6_3138 Depth 3
                                        ;         Child Loop BB6_3146 Depth 4
                                        ;         Child Loop BB6_3174 Depth 4
	;; [unrolled: 1-line block ×9, first 2 shown]
                                        ;       Child Loop BB6_7834 Depth 3
                                        ;         Child Loop BB6_7840 Depth 4
                                        ;         Child Loop BB6_7868 Depth 4
	;; [unrolled: 1-line block ×3, first 2 shown]
	s_clause 0x1
	buffer_load_dword v3, off, s[0:3], s33 offset:432
	buffer_load_dword v4, off, s[0:3], s33 offset:436
	s_sub_i32 s16, s42, s18
	v_mov_b32_e32 v99, 0
	s_cmp_ge_i32 s16, s25
	s_mov_b32 s21, 0
	s_cselect_b32 s17, s25, 0
	s_sub_i32 s16, s16, s17
	s_ashr_i32 s17, s16, 31
	s_waitcnt vmcnt(1)
	v_mad_u64_u32 v[70:71], null, v3, s16, 0
	s_waitcnt vmcnt(0)
	v_mul_lo_u32 v0, v4, s16
	v_mul_lo_u32 v1, v3, s17
	v_add3_u32 v71, v71, v1, v0
	s_clause 0x1
	buffer_load_dword v0, off, s[0:3], s33 offset:424
	buffer_load_dword v1, off, s[0:3], s33 offset:428
	s_waitcnt vmcnt(1)
	v_sub_co_u32 v0, vcc_lo, v0, v70
	s_waitcnt vmcnt(0)
	v_sub_co_ci_u32_e64 v1, null, v1, v71, vcc_lo
	v_cmp_lt_i64_e32 vcc_lo, v[3:4], v[0:1]
	v_cndmask_b32_e32 v1, v0, v3, vcc_lo
	v_max_i32_e32 v98, 0, v1
	v_cmp_lt_i32_e32 vcc_lo, 0, v1
	v_add_nc_u32_e32 v0, 31, v98
	s_and_b32 s16, s57, vcc_lo
	v_lshrrev_b32_e32 v0, 1, v0
	v_and_b32_e32 v3, 0x3ffffff0, v0
	v_mov_b32_e32 v0, 0
	v_max_i32_e32 v68, s45, v3
	s_and_saveexec_b32 s19, s16
	s_cbranch_execnz .LBB6_3136
; %bb.17787:                            ;   in Loop: Header=BB6_3135 Depth=2
	s_getpc_b64 s[34:35]
.Lpost_getpc31:
	s_add_u32 s34, s34, (.LBB6_7831-.Lpost_getpc31)&4294967295
	s_addc_u32 s35, s35, (.LBB6_7831-.Lpost_getpc31)>>32
	s_setpc_b64 s[34:35]
.LBB6_3136:                             ;   in Loop: Header=BB6_3135 Depth=2
	v_mov_b32_e32 v99, 0
	s_mov_b32 s23, 1
	s_mov_b32 s22, -1
	s_branch .LBB6_3138
.LBB6_3137:                             ;   in Loop: Header=BB6_3138 Depth=3
	s_or_b32 exec_lo, exec_lo, s16
	v_add_nc_u32_e32 v99, v68, v99
	s_xor_b32 s16, s22, -1
	v_mov_b32_e32 v0, s23
	s_mov_b32 s22, 0
	s_mov_b32 s23, 2
	v_cmp_ge_i32_e32 vcc_lo, v99, v98
	s_or_b32 s16, s16, vcc_lo
	s_and_b32 s16, exec_lo, s16
	s_or_b32 s21, s16, s21
	s_andn2_b32 exec_lo, exec_lo, s21
	s_cbranch_execnz .LBB6_3138
; %bb.17789:                            ;   in Loop: Header=BB6_3135 Depth=2
	s_getpc_b64 s[34:35]
.Lpost_getpc32:
	s_add_u32 s34, s34, (.LBB6_7830-.Lpost_getpc32)&4294967295
	s_addc_u32 s35, s35, (.LBB6_7830-.Lpost_getpc32)>>32
	s_setpc_b64 s[34:35]
.LBB6_3138:                             ;   Parent Loop BB6_47 Depth=1
                                        ;     Parent Loop BB6_3135 Depth=2
                                        ; =>    This Loop Header: Depth=3
                                        ;         Child Loop BB6_3146 Depth 4
                                        ;         Child Loop BB6_3174 Depth 4
	;; [unrolled: 1-line block ×9, first 2 shown]
	s_and_saveexec_b32 s16, s4
	s_cbranch_execz .LBB6_3140
; %bb.3139:                             ;   in Loop: Header=BB6_3138 Depth=3
	s_trap 2
	buffer_load_dword v3, off, s[0:3], s33 offset:248 ; 4-byte Folded Reload
	ds_read_b64 v[0:1], v0
	s_waitcnt vmcnt(0) lgkmcnt(0)
	v_add_co_u32 v0, vcc_lo, v0, v3
	buffer_load_dword v3, off, s[0:3], s33 offset:252 ; 4-byte Folded Reload
	s_waitcnt vmcnt(0)
	v_add_co_ci_u32_e64 v1, null, v1, v3, vcc_lo
	v_add_co_u32 v0, vcc_lo, v0, v70
	v_ashrrev_i32_e32 v3, 31, v99
	v_add_co_ci_u32_e64 v1, null, v1, v71, vcc_lo
	v_add_co_u32 v0, vcc_lo, v0, v99
	v_add_co_ci_u32_e64 v1, null, v1, v3, vcc_lo
	v_mov_b32_e32 v3, v2
	ds_write_b64 v0, v[0:1]
	ds_write_b64 v0, v[2:3]
.LBB6_3140:                             ;   in Loop: Header=BB6_3138 Depth=3
	s_or_b32 exec_lo, exec_lo, s16
	v_sub_nc_u32_e32 v0, v98, v99
	v_and_b32_e32 v1, 12, v100
	s_mov_b32 s17, exec_lo
	v_min_i32_e32 v68, v68, v0
	v_cmpx_ne_u32_e32 0, v1
	s_cbranch_execz .LBB6_3166
; %bb.3141:                             ;   in Loop: Header=BB6_3138 Depth=3
	v_and_b32_e32 v0, 8, v100
	s_mov_b32 s61, exec_lo
	s_waitcnt vmcnt(0) lgkmcnt(1)
	v_add_co_u32 v3, vcc_lo, v48, v0
	v_add_co_ci_u32_e64 v4, null, 0, v49, vcc_lo
	v_add_co_u32 v8, vcc_lo, v64, 2
	v_add_co_ci_u32_e64 v9, null, 0, v65, vcc_lo
	v_cmpx_lt_u64_e64 v[3:4], v[8:9]
	s_cbranch_execz .LBB6_3153
; %bb.3142:                             ;   in Loop: Header=BB6_3138 Depth=3
	v_and_b32_e32 v1, 64, v100
	s_mov_b32 s62, 0
	s_mov_b32 s74, 0
                                        ; implicit-def: $sgpr63
                                        ; implicit-def: $sgpr72
                                        ; implicit-def: $sgpr73
	v_cmp_eq_u32_e32 vcc_lo, 0, v1
	s_branch .LBB6_3146
.LBB6_3143:                             ;   in Loop: Header=BB6_3146 Depth=4
	s_waitcnt vmcnt(0) lgkmcnt(0)
	v_add_co_u32 v3, s16, v48, v0
	v_add_co_ci_u32_e64 v4, null, 0, v49, s16
	s_or_b32 s77, s77, exec_lo
	v_cmp_ge_u64_e64 s16, v[3:4], v[8:9]
	s_orn2_b32 s76, s16, exec_lo
.LBB6_3144:                             ;   in Loop: Header=BB6_3146 Depth=4
	s_or_b32 exec_lo, exec_lo, s79
	s_andn2_b32 s16, s73, exec_lo
	s_and_b32 s73, s77, exec_lo
	s_andn2_b32 s72, s72, exec_lo
	s_and_b32 s76, s76, exec_lo
	s_or_b32 s73, s16, s73
	s_or_b32 s72, s72, s76
.LBB6_3145:                             ;   in Loop: Header=BB6_3146 Depth=4
	s_or_b32 exec_lo, exec_lo, s75
	s_and_b32 s16, exec_lo, s72
	s_or_b32 s62, s16, s62
	s_andn2_b32 s16, s63, exec_lo
	s_and_b32 s63, s73, exec_lo
	s_or_b32 s63, s16, s63
	s_andn2_b32 exec_lo, exec_lo, s62
	s_cbranch_execz .LBB6_3150
.LBB6_3146:                             ;   Parent Loop BB6_47 Depth=1
                                        ;     Parent Loop BB6_3135 Depth=2
                                        ;       Parent Loop BB6_3138 Depth=3
                                        ; =>      This Inner Loop Header: Depth=4
	s_sleep 1
	s_waitcnt vmcnt(0) lgkmcnt(0)
	flat_load_dwordx2 v[48:49], v[32:33] glc dlc
	s_or_b32 s73, s73, exec_lo
	s_or_b32 s72, s72, exec_lo
                                        ; implicit-def: $vgpr1
	s_and_saveexec_b32 s75, vcc_lo
	s_cbranch_execz .LBB6_3145
; %bb.3147:                             ;   in Loop: Header=BB6_3146 Depth=4
	s_cmpk_lt_i32 s74, 0x270f
	s_mov_b32 s76, -1
	s_cselect_b32 s78, -1, 0
	s_cmpk_gt_i32 s74, 0x270e
	s_cbranch_scc0 .LBB6_3149
; %bb.3148:                             ;   in Loop: Header=BB6_3146 Depth=4
	s_trap 2
	ds_read_b64 v[3:4], v0
	s_andn2_b32 s74, s78, exec_lo
	s_mov_b32 s77, 0
	s_waitcnt vmcnt(0) lgkmcnt(0)
	s_waitcnt_vscnt null, 0x0
	flat_load_dword v1, v[3:4] glc dlc
	s_waitcnt vmcnt(0) lgkmcnt(0)
	buffer_gl1_inv
	buffer_gl0_inv
	v_cmp_eq_u32_e64 s16, 0, v1
	s_and_b32 s16, s16, exec_lo
	s_or_b32 s78, s74, s16
	s_mov_b32 s74, 0
	s_and_saveexec_b32 s79, s78
	s_cbranch_execz .LBB6_3144
	s_branch .LBB6_3143
.LBB6_3149:                             ;   in Loop: Header=BB6_3146 Depth=4
	s_add_i32 s74, s74, 1
	s_mov_b32 s77, -1
                                        ; implicit-def: $vgpr1
	s_and_saveexec_b32 s79, s78
	s_cbranch_execz .LBB6_3144
	s_branch .LBB6_3143
.LBB6_3150:                             ;   in Loop: Header=BB6_3138 Depth=3
	s_or_b32 exec_lo, exec_lo, s62
	s_xor_b32 s16, s63, -1
	s_and_saveexec_b32 s62, s16
	s_xor_b32 s16, exec_lo, s62
	s_cbranch_execz .LBB6_3152
; %bb.3151:                             ;   in Loop: Header=BB6_3138 Depth=3
	v_or_b32_e32 v100, 64, v100
	s_waitcnt vmcnt(0) lgkmcnt(0)
	s_waitcnt_vscnt null, 0x0
	ds_write_b32 v0, v1
	s_trap 2
.LBB6_3152:                             ;   in Loop: Header=BB6_3138 Depth=3
	s_or_b32 exec_lo, exec_lo, s16
.LBB6_3153:                             ;   in Loop: Header=BB6_3138 Depth=3
	s_or_b32 exec_lo, exec_lo, s61
	v_and_b32_e32 v1, 0x108, v100
	s_mov_b32 s16, exec_lo
	;;#ASMSTART
	s_wakeup
	;;#ASMEND
                                        ; implicit-def: $vgpr10_vgpr11
	v_cmpx_ne_u32_e32 0x108, v1
	s_xor_b32 s16, exec_lo, s16
; %bb.3154:                             ;   in Loop: Header=BB6_3138 Depth=3
	v_and_b32_e32 v10, 7, v64
	v_mov_b32_e32 v11, v2
                                        ; implicit-def: $vgpr64_vgpr65
; %bb.3155:                             ;   in Loop: Header=BB6_3138 Depth=3
	s_andn2_saveexec_b32 s16, s16
	s_cbranch_execz .LBB6_3157
; %bb.3156:                             ;   in Loop: Header=BB6_3138 Depth=3
	s_clause 0x3
	buffer_load_dword v3, off, s[0:3], s33 offset:224
	buffer_load_dword v4, off, s[0:3], s33 offset:228
	;; [unrolled: 1-line block ×4, first 2 shown]
	v_and_b32_e32 v10, 7, v64
	v_ashrrev_i32_e32 v69, 31, v68
	v_mov_b32_e32 v11, v2
	s_waitcnt vmcnt(2)
	v_mad_u64_u32 v[3:4], null, v10, 24, v[3:4]
	flat_store_dwordx2 v[3:4], v[68:69] offset:8
.LBB6_3157:                             ;   in Loop: Header=BB6_3138 Depth=3
	s_or_b32 exec_lo, exec_lo, s16
	v_and_b32_e32 v1, 0x100, v100
	s_mov_b32 s16, -1
	s_mov_b32 s61, exec_lo
                                        ; implicit-def: $vgpr12_vgpr13
	v_cmpx_ne_u32_e32 0, v1
	s_cbranch_execz .LBB6_3161
; %bb.3158:                             ;   in Loop: Header=BB6_3138 Depth=3
	s_clause 0x3
	buffer_load_dword v3, off, s[0:3], s33 offset:224
	buffer_load_dword v4, off, s[0:3], s33 offset:228
	buffer_load_dword v5, off, s[0:3], s33 offset:232
	buffer_load_dword v6, off, s[0:3], s33 offset:236
	s_mov_b32 s62, exec_lo
                                        ; implicit-def: $vgpr12_vgpr13
	s_waitcnt vmcnt(2)
	v_mad_u64_u32 v[14:15], null, v10, 24, v[3:4]
	v_mov_b32_e32 v1, v15
	v_mad_u64_u32 v[3:4], null, v11, 24, v[1:2]
	v_mov_b32_e32 v15, v3
	flat_load_dword v1, v[14:15]
	s_waitcnt vmcnt(0) lgkmcnt(0)
	v_cmp_ne_u32_e32 vcc_lo, 1, v1
	v_cmpx_eq_u32_e32 1, v1
	s_cbranch_execz .LBB6_3160
; %bb.3159:                             ;   in Loop: Header=BB6_3138 Depth=3
	flat_load_dword v12, v[14:15] offset:4 glc dlc
	s_waitcnt vmcnt(0) lgkmcnt(0)
	v_ashrrev_i32_e32 v13, 31, v12
.LBB6_3160:                             ;   in Loop: Header=BB6_3138 Depth=3
	s_or_b32 exec_lo, exec_lo, s62
	s_orn2_b32 s16, vcc_lo, exec_lo
.LBB6_3161:                             ;   in Loop: Header=BB6_3138 Depth=3
	s_or_b32 exec_lo, exec_lo, s61
	s_and_saveexec_b32 s61, s16
	s_cbranch_execz .LBB6_3163
; %bb.3162:                             ;   in Loop: Header=BB6_3138 Depth=3
	s_clause 0x1
	buffer_load_dword v4, off, s[0:3], s33 offset:256
	buffer_load_dword v3, off, s[0:3], s33 offset:200
	s_waitcnt vmcnt(1)
	v_mul_lo_u32 v1, v11, v4
	s_waitcnt vmcnt(0)
	v_mul_lo_u32 v3, v10, v3
	v_mad_u64_u32 v[12:13], null, v10, v4, 0
	v_add3_u32 v13, v13, v3, v1
.LBB6_3163:                             ;   in Loop: Header=BB6_3138 Depth=3
	s_or_b32 exec_lo, exec_lo, s61
	v_cmp_eq_u32_e32 vcc_lo, 0, v0
	v_mov_b32_e32 v0, 0x90
	v_and_b32_e32 v4, 0x2000, v100
	s_mov_b32 s16, exec_lo
	v_cndmask_b32_e32 v3, 0xc8, v0, vcc_lo
	v_add_co_u32 v0, vcc_lo, v34, v12
	v_add_co_ci_u32_e64 v1, null, v35, v13, vcc_lo
	v_add_nc_u32_e32 v3, v0, v3
	ds_write_b64 v3, v[0:1] offset:584
	v_cmpx_ne_u32_e32 0, v4
	s_cbranch_execz .LBB6_3165
; %bb.3164:                             ;   in Loop: Header=BB6_3138 Depth=3
	ds_read_b64 v[0:1], v0 offset:872
	s_waitcnt lgkmcnt(0)
	v_add_co_u32 v0, vcc_lo, v0, 1
	v_add_co_ci_u32_e64 v1, null, 0, v1, vcc_lo
	ds_write_b64 v0, v[0:1] offset:872
.LBB6_3165:                             ;   in Loop: Header=BB6_3138 Depth=3
	s_or_b32 exec_lo, exec_lo, s16
	v_mov_b32_e32 v65, v9
	v_mov_b32_e32 v64, v8
.LBB6_3166:                             ;   in Loop: Header=BB6_3138 Depth=3
	s_or_b32 exec_lo, exec_lo, s17
	s_and_saveexec_b32 s16, s6
	s_cbranch_execz .LBB6_3185
; %bb.3167:                             ;   in Loop: Header=BB6_3138 Depth=3
	s_and_saveexec_b32 s17, s29
	s_xor_b32 s17, exec_lo, s17
	s_cbranch_execz .LBB6_3182
; %bb.3168:                             ;   in Loop: Header=BB6_3138 Depth=3
	s_and_saveexec_b32 s61, s11
	s_cbranch_execz .LBB6_3181
; %bb.3169:                             ;   in Loop: Header=BB6_3138 Depth=3
	s_mov_b32 s63, exec_lo
	s_mov_b32 s62, exec_lo
	v_mbcnt_lo_u32_b32 v0, s63, 0
	s_waitcnt vmcnt(0) lgkmcnt(0)
	s_waitcnt_vscnt null, 0x0
	buffer_gl1_inv
	buffer_gl0_inv
	v_cmpx_eq_u32_e32 0, v0
	s_cbranch_execz .LBB6_3171
; %bb.3170:                             ;   in Loop: Header=BB6_3138 Depth=3
	s_bcnt1_i32_b32 s63, s63
	v_mov_b32_e32 v1, v2
	v_mov_b32_e32 v0, s63
	ds_add_u64 v0, v[0:1]
	s_trap 2
.LBB6_3171:                             ;   in Loop: Header=BB6_3138 Depth=3
	s_or_b32 exec_lo, exec_lo, s62
	s_trap 2
	ds_read_b64 v[0:1], v0
	s_waitcnt lgkmcnt(0)
	buffer_gl0_inv
	v_add_co_u32 v38, vcc_lo, v38, v103
	v_add_co_ci_u32_e64 v39, null, 0, v39, vcc_lo
	s_mov_b32 s62, exec_lo
	v_cmpx_lt_u64_e64 v[0:1], v[38:39]
	s_cbranch_execz .LBB6_3180
; %bb.3172:                             ;   in Loop: Header=BB6_3138 Depth=3
	s_mov_b32 s63, 0
	s_mov_b32 s74, 0
                                        ; implicit-def: $sgpr72
                                        ; implicit-def: $sgpr73
	s_inst_prefetch 0x1
	s_branch .LBB6_3174
	.p2align	6
.LBB6_3173:                             ;   in Loop: Header=BB6_3174 Depth=4
	s_or_b32 exec_lo, exec_lo, s76
	s_and_b32 s75, exec_lo, s77
	s_or_b32 s63, s75, s63
	s_andn2_b32 s72, s72, exec_lo
	s_and_b32 s75, s73, exec_lo
	s_or_b32 s72, s72, s75
	s_andn2_b32 exec_lo, exec_lo, s63
	s_cbranch_execz .LBB6_3178
.LBB6_3174:                             ;   Parent Loop BB6_47 Depth=1
                                        ;     Parent Loop BB6_3135 Depth=2
                                        ;       Parent Loop BB6_3138 Depth=3
                                        ; =>      This Inner Loop Header: Depth=4
	s_add_i32 s74, s74, 1
	s_cmpk_lg_i32 s74, 0x2710
	s_cselect_b32 s75, -1, 0
	s_and_b32 vcc_lo, exec_lo, s75
	s_cbranch_vccz .LBB6_3176
; %bb.3175:                             ;   in Loop: Header=BB6_3174 Depth=4
	s_mov_b32 s77, -1
	s_or_b32 s73, s73, exec_lo
	s_and_saveexec_b32 s76, s75
	s_cbranch_execz .LBB6_3173
	s_branch .LBB6_3177
	.p2align	6
.LBB6_3176:                             ;   in Loop: Header=BB6_3174 Depth=4
	s_trap 2
	ds_read_b64 v[0:1], v0
	s_andn2_b32 s75, s75, exec_lo
	s_mov_b32 s74, 0
	s_waitcnt lgkmcnt(0)
	flat_load_dword v0, v[0:1] glc dlc
	s_waitcnt vmcnt(0) lgkmcnt(0)
	buffer_gl1_inv
	buffer_gl0_inv
	v_cmp_eq_u32_e32 vcc_lo, 0, v0
	s_and_b32 s76, vcc_lo, exec_lo
	s_or_b32 s75, s75, s76
	s_mov_b32 s77, -1
	s_or_b32 s73, s73, exec_lo
	s_and_saveexec_b32 s76, s75
	s_cbranch_execz .LBB6_3173
.LBB6_3177:                             ;   in Loop: Header=BB6_3174 Depth=4
	s_sleep 1
	s_trap 2
	ds_read_b64 v[0:1], v0
	s_waitcnt lgkmcnt(0)
	buffer_gl0_inv
	s_andn2_b32 s73, s73, exec_lo
	v_cmp_ge_u64_e32 vcc_lo, v[0:1], v[38:39]
	s_orn2_b32 s77, vcc_lo, exec_lo
	s_branch .LBB6_3173
.LBB6_3178:                             ;   in Loop: Header=BB6_3138 Depth=3
	s_inst_prefetch 0x2
	s_or_b32 exec_lo, exec_lo, s63
	s_and_saveexec_b32 s63, s72
	s_xor_b32 s63, exec_lo, s63
	s_cbranch_execz .LBB6_3180
; %bb.3179:                             ;   in Loop: Header=BB6_3138 Depth=3
	v_mov_b32_e32 v0, 1
	ds_write_b32 v0, v0
	s_trap 2
.LBB6_3180:                             ;   in Loop: Header=BB6_3138 Depth=3
	s_or_b32 exec_lo, exec_lo, s62
	;;#ASMSTART
	s_wakeup
	;;#ASMEND
.LBB6_3181:                             ;   in Loop: Header=BB6_3138 Depth=3
	s_or_b32 exec_lo, exec_lo, s61
.LBB6_3182:                             ;   in Loop: Header=BB6_3138 Depth=3
	s_andn2_saveexec_b32 s17, s17
	s_cbranch_execz .LBB6_3184
; %bb.3183:                             ;   in Loop: Header=BB6_3138 Depth=3
	s_waitcnt vmcnt(0) lgkmcnt(0)
	s_waitcnt_vscnt null, 0x0
	buffer_gl1_inv
	buffer_gl0_inv
	s_barrier
.LBB6_3184:                             ;   in Loop: Header=BB6_3138 Depth=3
	s_or_b32 exec_lo, exec_lo, s17
.LBB6_3185:                             ;   in Loop: Header=BB6_3138 Depth=3
	s_or_b32 exec_lo, exec_lo, s16
	s_trap 2
	ds_read_b32 v0, v0
	v_and_b32_e32 v1, 0x4000, v100
	s_xor_b32 s16, s5, -1
	v_cmp_ne_u32_e32 vcc_lo, 0, v1
	s_and_b32 s17, s16, vcc_lo
	s_and_saveexec_b32 s16, s17
	s_cbranch_execz .LBB6_3204
; %bb.3186:                             ;   in Loop: Header=BB6_3138 Depth=3
	s_and_saveexec_b32 s17, s29
	s_xor_b32 s17, exec_lo, s17
	s_cbranch_execz .LBB6_3201
; %bb.3187:                             ;   in Loop: Header=BB6_3138 Depth=3
	s_and_saveexec_b32 s61, s11
	s_cbranch_execz .LBB6_3200
; %bb.3188:                             ;   in Loop: Header=BB6_3138 Depth=3
	s_mov_b32 s63, exec_lo
	s_mov_b32 s62, exec_lo
	v_mbcnt_lo_u32_b32 v1, s63, 0
	s_waitcnt vmcnt(0) lgkmcnt(0)
	s_waitcnt_vscnt null, 0x0
	buffer_gl1_inv
	buffer_gl0_inv
	v_cmpx_eq_u32_e32 0, v1
	s_cbranch_execz .LBB6_3190
; %bb.3189:                             ;   in Loop: Header=BB6_3138 Depth=3
	s_bcnt1_i32_b32 s63, s63
	v_mov_b32_e32 v4, v2
	v_mov_b32_e32 v3, s63
	ds_add_u64 v0, v[3:4]
	s_trap 2
.LBB6_3190:                             ;   in Loop: Header=BB6_3138 Depth=3
	s_or_b32 exec_lo, exec_lo, s62
	s_trap 2
	ds_read_b64 v[3:4], v0
	s_waitcnt lgkmcnt(0)
	buffer_gl0_inv
	v_add_co_u32 v38, vcc_lo, v38, v103
	v_add_co_ci_u32_e64 v39, null, 0, v39, vcc_lo
	s_mov_b32 s62, exec_lo
	v_cmpx_lt_u64_e64 v[3:4], v[38:39]
	s_cbranch_execz .LBB6_3199
; %bb.3191:                             ;   in Loop: Header=BB6_3138 Depth=3
	s_mov_b32 s63, 0
	s_mov_b32 s74, 0
                                        ; implicit-def: $sgpr72
                                        ; implicit-def: $sgpr73
	s_inst_prefetch 0x1
	s_branch .LBB6_3193
	.p2align	6
.LBB6_3192:                             ;   in Loop: Header=BB6_3193 Depth=4
	s_or_b32 exec_lo, exec_lo, s76
	s_and_b32 s75, exec_lo, s77
	s_or_b32 s63, s75, s63
	s_andn2_b32 s72, s72, exec_lo
	s_and_b32 s75, s73, exec_lo
	s_or_b32 s72, s72, s75
	s_andn2_b32 exec_lo, exec_lo, s63
	s_cbranch_execz .LBB6_3197
.LBB6_3193:                             ;   Parent Loop BB6_47 Depth=1
                                        ;     Parent Loop BB6_3135 Depth=2
                                        ;       Parent Loop BB6_3138 Depth=3
                                        ; =>      This Inner Loop Header: Depth=4
	s_add_i32 s74, s74, 1
	s_cmpk_lg_i32 s74, 0x2710
	s_cselect_b32 s75, -1, 0
	s_and_b32 vcc_lo, exec_lo, s75
	s_cbranch_vccz .LBB6_3195
; %bb.3194:                             ;   in Loop: Header=BB6_3193 Depth=4
	s_mov_b32 s77, -1
	s_or_b32 s73, s73, exec_lo
	s_and_saveexec_b32 s76, s75
	s_cbranch_execz .LBB6_3192
	s_branch .LBB6_3196
	.p2align	6
.LBB6_3195:                             ;   in Loop: Header=BB6_3193 Depth=4
	s_trap 2
	ds_read_b64 v[3:4], v0
	s_andn2_b32 s75, s75, exec_lo
	s_mov_b32 s74, 0
	s_waitcnt lgkmcnt(0)
	flat_load_dword v1, v[3:4] glc dlc
	s_waitcnt vmcnt(0) lgkmcnt(0)
	buffer_gl1_inv
	buffer_gl0_inv
	v_cmp_eq_u32_e32 vcc_lo, 0, v1
	s_and_b32 s76, vcc_lo, exec_lo
	s_or_b32 s75, s75, s76
	s_mov_b32 s77, -1
	s_or_b32 s73, s73, exec_lo
	s_and_saveexec_b32 s76, s75
	s_cbranch_execz .LBB6_3192
.LBB6_3196:                             ;   in Loop: Header=BB6_3193 Depth=4
	s_sleep 1
	s_trap 2
	ds_read_b64 v[3:4], v0
	s_waitcnt lgkmcnt(0)
	buffer_gl0_inv
	s_andn2_b32 s73, s73, exec_lo
	v_cmp_ge_u64_e32 vcc_lo, v[3:4], v[38:39]
	s_orn2_b32 s77, vcc_lo, exec_lo
	s_branch .LBB6_3192
.LBB6_3197:                             ;   in Loop: Header=BB6_3138 Depth=3
	s_inst_prefetch 0x2
	s_or_b32 exec_lo, exec_lo, s63
	s_and_saveexec_b32 s63, s72
	s_xor_b32 s63, exec_lo, s63
	s_cbranch_execz .LBB6_3199
; %bb.3198:                             ;   in Loop: Header=BB6_3138 Depth=3
	v_mov_b32_e32 v1, 1
	ds_write_b32 v0, v1
	s_trap 2
.LBB6_3199:                             ;   in Loop: Header=BB6_3138 Depth=3
	s_or_b32 exec_lo, exec_lo, s62
	;;#ASMSTART
	s_wakeup
	;;#ASMEND
.LBB6_3200:                             ;   in Loop: Header=BB6_3138 Depth=3
	s_or_b32 exec_lo, exec_lo, s61
.LBB6_3201:                             ;   in Loop: Header=BB6_3138 Depth=3
	s_andn2_saveexec_b32 s17, s17
	s_cbranch_execz .LBB6_3203
; %bb.3202:                             ;   in Loop: Header=BB6_3138 Depth=3
	s_waitcnt vmcnt(0) lgkmcnt(0)
	s_waitcnt_vscnt null, 0x0
	buffer_gl1_inv
	buffer_gl0_inv
	s_barrier
.LBB6_3203:                             ;   in Loop: Header=BB6_3138 Depth=3
	s_or_b32 exec_lo, exec_lo, s17
.LBB6_3204:                             ;   in Loop: Header=BB6_3138 Depth=3
	s_or_b32 exec_lo, exec_lo, s16
	s_trap 2
	s_waitcnt lgkmcnt(0)
	ds_read_b64 v[80:81], v0
	s_waitcnt lgkmcnt(0)
	v_cmp_eq_u64_e32 vcc_lo, 0, v[80:81]
	s_cbranch_vccnz .LBB6_3212
; %bb.3205:                             ;   in Loop: Header=BB6_3138 Depth=3
	s_trap 2
	ds_read_b64 v[82:83], v0
	s_waitcnt lgkmcnt(0)
	v_cmp_eq_u64_e32 vcc_lo, 0, v[82:83]
	s_cbranch_vccnz .LBB6_3212
; %bb.3206:                             ;   in Loop: Header=BB6_3138 Depth=3
	s_mov_b32 s16, -1
	s_and_saveexec_b32 s17, s14
	s_cbranch_execz .LBB6_3208
; %bb.3207:                             ;   in Loop: Header=BB6_3138 Depth=3
	ds_read_b32 v1, v0 offset:720
	s_waitcnt lgkmcnt(0)
	v_and_b32_e32 v1, 15, v1
	v_cmp_eq_u32_e32 vcc_lo, 0, v1
	s_orn2_b32 s16, vcc_lo, exec_lo
.LBB6_3208:                             ;   in Loop: Header=BB6_3138 Depth=3
	s_or_b32 exec_lo, exec_lo, s17
	s_and_saveexec_b32 s17, s13
	s_cbranch_execz .LBB6_3210
; %bb.3209:                             ;   in Loop: Header=BB6_3138 Depth=3
	ds_read_b32 v1, v0 offset:784
	s_waitcnt lgkmcnt(0)
	v_and_b32_e32 v1, 15, v1
	v_cmp_eq_u32_e32 vcc_lo, 0, v1
	s_and_b32 s61, s16, vcc_lo
	s_andn2_b32 s16, s16, exec_lo
	s_and_b32 s61, s61, exec_lo
	s_or_b32 s16, s16, s61
.LBB6_3210:                             ;   in Loop: Header=BB6_3138 Depth=3
	s_or_b32 exec_lo, exec_lo, s17
	buffer_load_dword v4, off, s[0:3], s33 offset:204 ; 4-byte Folded Reload
	v_cmp_eq_u32_e32 vcc_lo, 0, v0
	s_xor_b32 s16, s16, -1
	v_mov_b32_e32 v0, 0
	v_cndmask_b32_e64 v1, 0, 1, s16
	s_mov_b32 s16, -1
	v_cndmask_b32_e32 v3, 0, v68, vcc_lo
	v_cmp_ne_u32_e32 vcc_lo, 0, v1
	v_mov_b32_e32 v1, v3
	s_cbranch_vccz .LBB6_3217
; %bb.3211:                             ;   in Loop: Header=BB6_3138 Depth=3
	s_and_saveexec_b32 s17, s16
	s_cbranch_execnz .LBB6_6444
; %bb.17765:                            ;   in Loop: Header=BB6_3138 Depth=3
	s_getpc_b64 s[34:35]
.Lpost_getpc20:
	s_add_u32 s34, s34, (.LBB6_7788-.Lpost_getpc20)&4294967295
	s_addc_u32 s35, s35, (.LBB6_7788-.Lpost_getpc20)>>32
	s_setpc_b64 s[34:35]
.LBB6_3212:                             ;   in Loop: Header=BB6_3138 Depth=3
	s_mov_b32 s16, 0
	s_and_saveexec_b32 s17, s6
	s_cbranch_execz .LBB6_3213
; %bb.17791:                            ;   in Loop: Header=BB6_3138 Depth=3
	s_getpc_b64 s[34:35]
.Lpost_getpc33:
	s_add_u32 s34, s34, (.LBB6_7789-.Lpost_getpc33)&4294967295
	s_addc_u32 s35, s35, (.LBB6_7789-.Lpost_getpc33)>>32
	s_setpc_b64 s[34:35]
.LBB6_3213:                             ;   in Loop: Header=BB6_3138 Depth=3
	s_or_b32 exec_lo, exec_lo, s17
                                        ; implicit-def: $vgpr0
	s_and_saveexec_b32 s17, s15
	s_xor_b32 s17, exec_lo, s17
	s_cbranch_execnz .LBB6_3214
; %bb.17793:                            ;   in Loop: Header=BB6_3138 Depth=3
	s_getpc_b64 s[34:35]
.Lpost_getpc34:
	s_add_u32 s34, s34, (.LBB6_7807-.Lpost_getpc34)&4294967295
	s_addc_u32 s35, s35, (.LBB6_7807-.Lpost_getpc34)>>32
	s_setpc_b64 s[34:35]
.LBB6_3214:                             ;   in Loop: Header=BB6_3138 Depth=3
	v_and_b32_e32 v0, 16, v100
	v_cmp_ne_u32_e32 vcc_lo, 0, v0
	v_and_b32_e32 v0, 16, v100
	s_and_b32 s61, vcc_lo, s16
	s_and_saveexec_b32 s16, s61
	s_cbranch_execz .LBB6_3216
; %bb.3215:                             ;   in Loop: Header=BB6_3138 Depth=3
	v_mov_b32_e32 v0, 1
	s_waitcnt vmcnt(0) lgkmcnt(0)
	s_waitcnt_vscnt null, 0x0
	buffer_gl1_inv
	buffer_gl0_inv
.LBB6_3216:                             ;   in Loop: Header=BB6_3138 Depth=3
	s_or_b32 exec_lo, exec_lo, s16
	s_andn2_saveexec_b32 s16, s17
	s_cbranch_execnz .LBB6_17767
; %bb.17795:                            ;   in Loop: Header=BB6_3138 Depth=3
	s_getpc_b64 s[34:35]
.Lpost_getpc35:
	s_add_u32 s34, s34, (.LBB6_7826-.Lpost_getpc35)&4294967295
	s_addc_u32 s35, s35, (.LBB6_7826-.Lpost_getpc35)>>32
	s_setpc_b64 s[34:35]
.LBB6_17767:                            ;   in Loop: Header=BB6_3138 Depth=3
	s_getpc_b64 s[34:35]
.Lpost_getpc21:
	s_add_u32 s34, s34, (.LBB6_7808-.Lpost_getpc21)&4294967295
	s_addc_u32 s35, s35, (.LBB6_7808-.Lpost_getpc21)>>32
	s_setpc_b64 s[34:35]
.LBB6_3217:                             ;   in Loop: Header=BB6_3138 Depth=3
	v_ashrrev_i32_e32 v0, 31, v3
	s_mov_b32 s17, exec_lo
	v_lshrrev_b32_e32 v0, 21, v0
	v_add_nc_u32_e32 v0, v3, v0
	v_ashrrev_i32_e32 v76, 11, v0
	buffer_load_dword v0, off, s[0:3], s33 offset:332 ; 4-byte Folded Reload
	s_waitcnt vmcnt(0)
	v_sub_nc_u32_e32 v69, v76, v0
	v_cmpx_lt_i32_e32 0, v69
	s_cbranch_execz .LBB6_5789
; %bb.3218:                             ;   in Loop: Header=BB6_3138 Depth=3
	s_trap 2
	buffer_load_dword v4, off, s[0:3], s33 offset:440 ; 4-byte Folded Reload
	ds_read_b64 v[0:1], v0
	s_waitcnt lgkmcnt(0)
	v_readfirstlane_b32 s16, v0
	s_and_b32 s61, s16, 3
	s_bfe_u32 s72, s16, 0x50002
	s_flbit_i32_b32 s62, s61
	s_min_u32 s62, s62, 32
	s_sub_i32 s63, s62, 29
	s_sub_i32 s62, 30, s62
	s_lshl_b32 s63, s16, s63
	s_and_b32 s63, s63, 3
	s_cmp_eq_u32 s72, 0
	s_cselect_b32 s62, s62, s72
	s_cselect_b32 s61, s63, s61
	s_lshl_b32 s63, s16, 24
	s_lshl_b32 s62, s62, 23
	s_and_b32 s63, s63, 0x80000000
	s_add_i32 s62, s62, 0x37800000
	s_lshl_b32 s72, s61, 21
	s_or_b32 s62, s63, s62
	s_mov_b32 s61, 0
	s_or_b32 s62, s62, s72
	s_and_b32 s63, s16, 0xff
	s_waitcnt vmcnt(0)
	v_add_co_u32 v84, vcc_lo, v80, v4
	v_add_co_ci_u32_e64 v85, null, 0, v81, vcc_lo
	v_add_co_u32 v86, vcc_lo, v82, v4
	v_add_co_ci_u32_e64 v87, null, 0, v83, vcc_lo
	;; [unrolled: 2-line block ×3, first 2 shown]
	s_branch .LBB6_3222
.LBB6_3219:                             ;   in Loop: Header=BB6_3222 Depth=4
	s_or_b32 exec_lo, exec_lo, s16
	v_lshrrev_b32_e32 v28, 21, v75
	v_min_i32_e32 v74, 31, v77
	v_cmp_gt_i32_e32 vcc_lo, 32, v77
	v_and_b32_sdwa v11, v11, v117 dst_sel:DWORD dst_unused:UNUSED_PAD src0_sel:BYTE_3 src1_sel:DWORD
	v_lshlrev_b32_e32 v74, 2, v74
	v_cndmask_b32_e32 v28, 3, v28, vcc_lo
	v_and_b32_e32 v74, 0xfc, v74
	v_or_b32_e32 v75, v77, v28
	v_and_b32_e32 v28, 3, v28
	v_cmp_ne_u32_e32 vcc_lo, 0, v75
	v_or3_b32 v11, v11, v74, v28
	v_lshlrev_b32_e32 v11, 8, v11
	v_cndmask_b32_e32 v28, 0, v11, vcc_lo
.LBB6_3220:                             ;   in Loop: Header=BB6_3222 Depth=4
	s_or_b32 exec_lo, exec_lo, s73
.LBB6_3221:                             ;   in Loop: Header=BB6_3222 Depth=4
	s_or_b32 exec_lo, exec_lo, s72
	v_or_b32_sdwa v11, v13, v113 dst_sel:WORD_1 dst_unused:UNUSED_PAD src0_sel:DWORD src1_sel:DWORD
	v_add_co_u32 v84, vcc_lo, v84, v47
	v_sub_nc_u32_e32 v69, v69, v103
	v_add_co_ci_u32_e64 v85, null, 0, v85, vcc_lo
	v_or3_b32 v13, v31, v1, v11
	v_or_b32_sdwa v1, v12, v101 dst_sel:WORD_1 dst_unused:UNUSED_PAD src0_sel:DWORD src1_sel:DWORD
	v_add_co_u32 v96, vcc_lo, v96, v47
	v_add_co_ci_u32_e64 v97, null, 0, v97, vcc_lo
	v_or3_b32 v12, v19, v7, v1
	v_or_b32_sdwa v1, v14, v112 dst_sel:WORD_1 dst_unused:UNUSED_PAD src0_sel:DWORD src1_sel:DWORD
	v_or3_b32 v14, v57, v42, v1
	v_or_b32_sdwa v1, v15, v62 dst_sel:WORD_1 dst_unused:UNUSED_PAD src0_sel:DWORD src1_sel:DWORD
	;; [unrolled: 2-line block ×14, first 2 shown]
	v_or3_b32 v8, v30, v25, v0
	global_store_dwordx4 v[86:87], v[20:23], off glc slc
	global_store_dwordx4 v[86:87], v[16:19], off offset:512 glc slc
	global_store_dwordx4 v[86:87], v[12:15], off offset:1024 glc slc
	;; [unrolled: 1-line block ×3, first 2 shown]
	v_add_co_u32 v86, vcc_lo, v86, v47
	v_add_co_ci_u32_e64 v87, null, 0, v87, vcc_lo
	v_cmp_gt_i32_e32 vcc_lo, 1, v69
	s_or_b32 s61, vcc_lo, s61
	s_andn2_b32 exec_lo, exec_lo, s61
	s_cbranch_execz .LBB6_5788
.LBB6_3222:                             ;   Parent Loop BB6_47 Depth=1
                                        ;     Parent Loop BB6_3135 Depth=2
                                        ;       Parent Loop BB6_3138 Depth=3
                                        ; =>      This Inner Loop Header: Depth=4
	s_cmpk_lt_i32 s63, 0x80
	s_cbranch_scc1 .LBB6_3226
; %bb.3223:                             ;   in Loop: Header=BB6_3222 Depth=4
	s_and_b32 s16, 0xffff, s63
	s_cmpk_eq_i32 s16, 0x80
	s_mov_b32 s16, -1
	s_cbranch_scc0 .LBB6_3225
; %bb.3224:                             ;   in Loop: Header=BB6_3222 Depth=4
	s_mov_b32 s16, 0
.LBB6_3225:                             ;   in Loop: Header=BB6_3222 Depth=4
	s_mov_b32 s72, 0x7f800001
	s_branch .LBB6_3228
.LBB6_3226:                             ;   in Loop: Header=BB6_3222 Depth=4
	s_mov_b32 s16, 0
	s_mov_b32 s72, 0x7f800001
	s_cbranch_execz .LBB6_3228
; %bb.3227:                             ;   in Loop: Header=BB6_3222 Depth=4
	s_and_b32 s16, 0xffff, s63
	s_mov_b32 s72, 0
	s_cmp_lg_u32 s16, 0
	s_cselect_b32 s16, -1, 0
.LBB6_3228:                             ;   in Loop: Header=BB6_3222 Depth=4
	s_andn2_b32 vcc_lo, exec_lo, s16
	s_cbranch_vccnz .LBB6_3230
; %bb.3229:                             ;   in Loop: Header=BB6_3222 Depth=4
	s_mov_b32 s72, s62
.LBB6_3230:                             ;   in Loop: Header=BB6_3222 Depth=4
	global_load_dwordx4 v[8:11], v[84:85], off slc
	s_mov_b32 s16, 0
	s_waitcnt vmcnt(0)
	v_cmp_gt_i16_sdwa s73, v8, v116 src0_sel:BYTE_0 src1_sel:DWORD
	s_and_saveexec_b32 s74, s73
	s_xor_b32 s73, exec_lo, s74
	s_cbranch_execz .LBB6_5404
; %bb.3231:                             ;   in Loop: Header=BB6_3222 Depth=4
	v_cmp_eq_u16_sdwa s75, v8, v117 src0_sel:BYTE_0 src1_sel:DWORD
	s_mov_b32 s16, -1
	s_and_saveexec_b32 s74, s75
; %bb.3232:                             ;   in Loop: Header=BB6_3222 Depth=4
	s_xor_b32 s16, exec_lo, -1
; %bb.3233:                             ;   in Loop: Header=BB6_3222 Depth=4
	s_or_b32 exec_lo, exec_lo, s74
	s_and_b32 s16, s16, exec_lo
	s_or_saveexec_b32 s73, s73
	v_mov_b32_e32 v0, 0x7f800001
	s_xor_b32 exec_lo, exec_lo, s73
	s_cbranch_execnz .LBB6_5405
.LBB6_3234:                             ;   in Loop: Header=BB6_3222 Depth=4
	s_or_b32 exec_lo, exec_lo, s73
	s_and_saveexec_b32 s73, s16
	s_cbranch_execz .LBB6_3236
.LBB6_3235:                             ;   in Loop: Header=BB6_3222 Depth=4
	v_and_b32_e32 v0, 3, v8
	v_bfe_u32 v5, v8, 2, 5
	v_lshlrev_b32_e32 v6, 24, v8
	v_ffbh_u32_e32 v1, v0
	v_cmp_eq_u32_e32 vcc_lo, 0, v5
	v_min_u32_e32 v1, 32, v1
	v_subrev_nc_u32_e32 v4, 29, v1
	v_sub_nc_u32_e32 v1, 30, v1
	v_lshlrev_b32_e32 v4, v4, v8
	v_cndmask_b32_e32 v1, v5, v1, vcc_lo
	v_and_b32_e32 v4, 3, v4
	v_lshl_add_u32 v1, v1, 23, 0x37800000
	v_cndmask_b32_e32 v0, v0, v4, vcc_lo
	v_and_b32_e32 v4, 0x80000000, v6
	v_lshlrev_b32_e32 v0, 21, v0
	v_or3_b32 v0, v4, v1, v0
.LBB6_3236:                             ;   in Loop: Header=BB6_3222 Depth=4
	s_or_b32 exec_lo, exec_lo, s73
	v_mul_f32_e32 v0, s72, v0
	v_mov_b32_e32 v12, 0x80
	s_mov_b32 s73, exec_lo
	v_and_b32_e32 v1, 0x7f800000, v0
	v_cmpx_ne_u32_e32 0x7f800000, v1
	s_cbranch_execz .LBB6_3244
; %bb.3237:                             ;   in Loop: Header=BB6_3222 Depth=4
	v_mov_b32_e32 v12, 0
	s_mov_b32 s74, exec_lo
	v_cmpx_ne_u32_e32 0, v0
	s_cbranch_execz .LBB6_3243
; %bb.3238:                             ;   in Loop: Header=BB6_3222 Depth=4
	v_bfe_u32 v1, v0, 23, 8
	v_and_b32_e32 v4, 0x7fffff, v0
	v_sub_nc_u32_e32 v5, 0x70, v1
	v_cmp_gt_u32_e32 vcc_lo, 0x71, v1
	v_or_b32_e32 v6, 0x800000, v4
	v_cndmask_b32_e32 v5, 0, v5, vcc_lo
	v_cmp_eq_u32_e32 vcc_lo, 0, v1
	v_add_nc_u32_e32 v1, 0xffffff91, v1
	v_cndmask_b32_e64 v5, v5, 0x6f, vcc_lo
	v_cndmask_b32_e32 v4, v6, v4, vcc_lo
	v_cndmask_b32_e64 v1, v1, 0xffffff92, vcc_lo
	v_lshl_add_u32 v6, 0x200000, v5, -1
	v_lshrrev_b32_e32 v7, v5, v4
	v_lshlrev_b32_e64 v13, v5, 0x100000
	v_add_nc_u32_e32 v5, v5, v1
	v_and_b32_e32 v4, v6, v4
	v_bfe_u32 v12, v7, 21, 1
	v_cmp_eq_u32_e64 s16, v4, v13
	v_add_nc_u32_e32 v6, -1, v12
	v_cndmask_b32_e64 v4, 0, v6, s16
	v_lshrrev_b32_e32 v6, 23, v7
	s_mov_b32 s16, exec_lo
	v_add_nc_u32_e32 v4, v4, v7
	v_xor_b32_e32 v6, 1, v6
	v_and_b32_e32 v1, 0x1fffff, v4
	v_add_nc_u32_e32 v4, v1, v7
                                        ; implicit-def: $vgpr1
	v_cmpx_ne_u32_e64 v5, v6
	s_xor_b32 s16, exec_lo, s16
; %bb.3239:                             ;   in Loop: Header=BB6_3222 Depth=4
	v_cmp_lt_u32_e32 vcc_lo, 0xffffff, v4
	v_sub_nc_u32_e32 v1, v5, v6
	v_cndmask_b32_e64 v5, 0, 1, vcc_lo
	v_add_co_ci_u32_e64 v1, null, 0, v1, vcc_lo
	v_lshrrev_b32_e32 v4, v5, v4
; %bb.3240:                             ;   in Loop: Header=BB6_3222 Depth=4
	s_andn2_saveexec_b32 s16, s16
; %bb.3241:                             ;   in Loop: Header=BB6_3222 Depth=4
	v_bfe_u32 v1, v4, 23, 1
; %bb.3242:                             ;   in Loop: Header=BB6_3222 Depth=4
	s_or_b32 exec_lo, exec_lo, s16
	v_lshrrev_b32_e32 v4, 21, v4
	v_min_i32_e32 v5, 31, v1
	v_cmp_gt_i32_e32 vcc_lo, 32, v1
	v_and_b32_sdwa v0, v0, v117 dst_sel:DWORD dst_unused:UNUSED_PAD src0_sel:BYTE_3 src1_sel:DWORD
	v_lshlrev_b32_e32 v5, 2, v5
	v_cndmask_b32_e32 v4, 3, v4, vcc_lo
	v_and_b32_e32 v5, 0xfc, v5
	v_and_b32_e32 v6, 3, v4
	v_or_b32_e32 v1, v1, v4
	v_or3_b32 v0, v5, v0, v6
	v_cmp_ne_u32_e32 vcc_lo, 0, v1
	v_cndmask_b32_e32 v12, 0, v0, vcc_lo
.LBB6_3243:                             ;   in Loop: Header=BB6_3222 Depth=4
	s_or_b32 exec_lo, exec_lo, s74
.LBB6_3244:                             ;   in Loop: Header=BB6_3222 Depth=4
	s_or_b32 exec_lo, exec_lo, s73
	v_cmp_gt_i16_sdwa s73, v8, v116 src0_sel:BYTE_1 src1_sel:DWORD
	s_mov_b32 s16, 0
	s_and_saveexec_b32 s74, s73
	s_xor_b32 s73, exec_lo, s74
	s_cbranch_execz .LBB6_5406
; %bb.3245:                             ;   in Loop: Header=BB6_3222 Depth=4
	v_cmp_eq_u16_sdwa s75, v8, v117 src0_sel:BYTE_1 src1_sel:DWORD
	s_mov_b32 s16, -1
	s_and_saveexec_b32 s74, s75
; %bb.3246:                             ;   in Loop: Header=BB6_3222 Depth=4
	s_xor_b32 s16, exec_lo, -1
; %bb.3247:                             ;   in Loop: Header=BB6_3222 Depth=4
	s_or_b32 exec_lo, exec_lo, s74
	s_and_b32 s16, s16, exec_lo
	s_or_saveexec_b32 s73, s73
	v_mov_b32_e32 v0, 0x7f800001
	s_xor_b32 exec_lo, exec_lo, s73
	s_cbranch_execnz .LBB6_5407
.LBB6_3248:                             ;   in Loop: Header=BB6_3222 Depth=4
	s_or_b32 exec_lo, exec_lo, s73
	s_and_saveexec_b32 s73, s16
	s_cbranch_execz .LBB6_3250
.LBB6_3249:                             ;   in Loop: Header=BB6_3222 Depth=4
	v_and_b32_sdwa v0, v118, v8 dst_sel:DWORD dst_unused:UNUSED_PAD src0_sel:DWORD src1_sel:BYTE_1
	v_and_b32_e32 v1, 3, v0
	v_bfe_u32 v6, v0, 2, 5
	v_ffbh_u32_e32 v4, v1
	v_cmp_eq_u32_e32 vcc_lo, 0, v6
	v_min_u32_e32 v4, 32, v4
	v_subrev_nc_u32_e32 v5, 29, v4
	v_sub_nc_u32_e32 v4, 30, v4
	v_lshlrev_b32_e32 v0, v5, v0
	v_lshlrev_b32_sdwa v5, v119, v8 dst_sel:DWORD dst_unused:UNUSED_PAD src0_sel:DWORD src1_sel:BYTE_1
	v_cndmask_b32_e32 v4, v6, v4, vcc_lo
	v_and_b32_e32 v0, 3, v0
	v_lshl_add_u32 v4, v4, 23, 0x37800000
	v_cndmask_b32_e32 v0, v1, v0, vcc_lo
	v_and_b32_e32 v1, 0x80000000, v5
	v_lshlrev_b32_e32 v0, 21, v0
	v_or3_b32 v0, v1, v4, v0
.LBB6_3250:                             ;   in Loop: Header=BB6_3222 Depth=4
	s_or_b32 exec_lo, exec_lo, s73
	v_mul_f32_e32 v0, s72, v0
	v_mov_b32_e32 v13, 0x8000
	s_mov_b32 s73, exec_lo
	v_and_b32_e32 v1, 0x7f800000, v0
	v_cmpx_ne_u32_e32 0x7f800000, v1
	s_cbranch_execz .LBB6_3258
; %bb.3251:                             ;   in Loop: Header=BB6_3222 Depth=4
	v_mov_b32_e32 v13, 0
	s_mov_b32 s74, exec_lo
	v_cmpx_ne_u32_e32 0, v0
	s_cbranch_execz .LBB6_3257
; %bb.3252:                             ;   in Loop: Header=BB6_3222 Depth=4
	v_bfe_u32 v1, v0, 23, 8
	v_and_b32_e32 v4, 0x7fffff, v0
	v_sub_nc_u32_e32 v5, 0x70, v1
	v_cmp_gt_u32_e32 vcc_lo, 0x71, v1
	v_or_b32_e32 v6, 0x800000, v4
	v_cndmask_b32_e32 v5, 0, v5, vcc_lo
	v_cmp_eq_u32_e32 vcc_lo, 0, v1
	v_add_nc_u32_e32 v1, 0xffffff91, v1
	v_cndmask_b32_e64 v5, v5, 0x6f, vcc_lo
	v_cndmask_b32_e32 v4, v6, v4, vcc_lo
	v_cndmask_b32_e64 v1, v1, 0xffffff92, vcc_lo
	v_lshl_add_u32 v6, 0x200000, v5, -1
	v_lshrrev_b32_e32 v7, v5, v4
	v_lshlrev_b32_e64 v14, v5, 0x100000
	v_add_nc_u32_e32 v5, v5, v1
	v_and_b32_e32 v4, v6, v4
	v_bfe_u32 v13, v7, 21, 1
	v_cmp_eq_u32_e64 s16, v4, v14
	v_add_nc_u32_e32 v6, -1, v13
	v_cndmask_b32_e64 v4, 0, v6, s16
	v_lshrrev_b32_e32 v6, 23, v7
	s_mov_b32 s16, exec_lo
	v_add_nc_u32_e32 v4, v4, v7
	v_xor_b32_e32 v6, 1, v6
	v_and_b32_e32 v1, 0x1fffff, v4
	v_add_nc_u32_e32 v4, v1, v7
                                        ; implicit-def: $vgpr1
	v_cmpx_ne_u32_e64 v5, v6
	s_xor_b32 s16, exec_lo, s16
; %bb.3253:                             ;   in Loop: Header=BB6_3222 Depth=4
	v_cmp_lt_u32_e32 vcc_lo, 0xffffff, v4
	v_sub_nc_u32_e32 v1, v5, v6
	v_cndmask_b32_e64 v5, 0, 1, vcc_lo
	v_add_co_ci_u32_e64 v1, null, 0, v1, vcc_lo
	v_lshrrev_b32_e32 v4, v5, v4
; %bb.3254:                             ;   in Loop: Header=BB6_3222 Depth=4
	s_andn2_saveexec_b32 s16, s16
; %bb.3255:                             ;   in Loop: Header=BB6_3222 Depth=4
	v_bfe_u32 v1, v4, 23, 1
; %bb.3256:                             ;   in Loop: Header=BB6_3222 Depth=4
	s_or_b32 exec_lo, exec_lo, s16
	v_lshrrev_b32_e32 v4, 21, v4
	v_min_i32_e32 v5, 31, v1
	v_cmp_gt_i32_e32 vcc_lo, 32, v1
	v_and_b32_sdwa v0, v0, v117 dst_sel:DWORD dst_unused:UNUSED_PAD src0_sel:BYTE_3 src1_sel:DWORD
	v_lshlrev_b32_e32 v5, 2, v5
	v_cndmask_b32_e32 v4, 3, v4, vcc_lo
	v_and_b32_e32 v5, 0xfc, v5
	v_and_b32_e32 v6, 3, v4
	v_or_b32_e32 v1, v1, v4
	v_or3_b32 v0, v0, v5, v6
	v_cmp_ne_u32_e32 vcc_lo, 0, v1
	v_lshlrev_b32_e32 v0, 8, v0
	v_cndmask_b32_e32 v13, 0, v0, vcc_lo
.LBB6_3257:                             ;   in Loop: Header=BB6_3222 Depth=4
	s_or_b32 exec_lo, exec_lo, s74
.LBB6_3258:                             ;   in Loop: Header=BB6_3222 Depth=4
	s_or_b32 exec_lo, exec_lo, s73
	v_and_b32_sdwa v1, v8, v40 dst_sel:DWORD dst_unused:UNUSED_PAD src0_sel:WORD_1 src1_sel:DWORD
	s_mov_b32 s16, 0
	s_mov_b32 s73, exec_lo
	v_cmpx_lt_i16_e32 0x7f, v1
	s_xor_b32 s73, exec_lo, s73
	s_cbranch_execz .LBB6_5408
; %bb.3259:                             ;   in Loop: Header=BB6_3222 Depth=4
	s_mov_b32 s16, -1
	s_mov_b32 s74, exec_lo
	v_cmpx_eq_u16_e32 0x80, v1
; %bb.3260:                             ;   in Loop: Header=BB6_3222 Depth=4
	s_xor_b32 s16, exec_lo, -1
; %bb.3261:                             ;   in Loop: Header=BB6_3222 Depth=4
	s_or_b32 exec_lo, exec_lo, s74
	s_and_b32 s16, s16, exec_lo
                                        ; implicit-def: $vgpr1
	s_or_saveexec_b32 s73, s73
	v_mov_b32_e32 v0, 0x7f800001
	s_xor_b32 exec_lo, exec_lo, s73
	s_cbranch_execnz .LBB6_5409
.LBB6_3262:                             ;   in Loop: Header=BB6_3222 Depth=4
	s_or_b32 exec_lo, exec_lo, s73
	s_and_saveexec_b32 s73, s16
	s_cbranch_execz .LBB6_3264
.LBB6_3263:                             ;   in Loop: Header=BB6_3222 Depth=4
	v_bfe_u32 v0, v8, 16, 2
	v_bfe_u32 v5, v8, 18, 5
	v_lshlrev_b32_e32 v6, 8, v8
	v_ffbh_u32_e32 v1, v0
	v_cmp_eq_u32_e32 vcc_lo, 0, v5
	v_min_u32_e32 v1, 32, v1
	v_subrev_nc_u32_e32 v4, 29, v1
	v_sub_nc_u32_e32 v1, 30, v1
	v_lshlrev_b32_sdwa v4, v4, v8 dst_sel:DWORD dst_unused:UNUSED_PAD src0_sel:DWORD src1_sel:WORD_1
	v_cndmask_b32_e32 v1, v5, v1, vcc_lo
	v_and_b32_e32 v4, 3, v4
	v_lshl_add_u32 v1, v1, 23, 0x37800000
	v_cndmask_b32_e32 v0, v0, v4, vcc_lo
	v_and_b32_e32 v4, 0x80000000, v6
	v_lshlrev_b32_e32 v0, 21, v0
	v_or3_b32 v0, v4, v1, v0
.LBB6_3264:                             ;   in Loop: Header=BB6_3222 Depth=4
	s_or_b32 exec_lo, exec_lo, s73
	v_mul_f32_e32 v0, s72, v0
	v_mov_b32_e32 v53, 0x80
	s_mov_b32 s73, exec_lo
	v_and_b32_e32 v1, 0x7f800000, v0
	v_cmpx_ne_u32_e32 0x7f800000, v1
	s_cbranch_execz .LBB6_3272
; %bb.3265:                             ;   in Loop: Header=BB6_3222 Depth=4
	v_mov_b32_e32 v53, 0
	s_mov_b32 s74, exec_lo
	v_cmpx_ne_u32_e32 0, v0
	s_cbranch_execz .LBB6_3271
; %bb.3266:                             ;   in Loop: Header=BB6_3222 Depth=4
	v_bfe_u32 v1, v0, 23, 8
	v_and_b32_e32 v4, 0x7fffff, v0
	v_sub_nc_u32_e32 v5, 0x70, v1
	v_cmp_gt_u32_e32 vcc_lo, 0x71, v1
	v_or_b32_e32 v6, 0x800000, v4
	v_cndmask_b32_e32 v5, 0, v5, vcc_lo
	v_cmp_eq_u32_e32 vcc_lo, 0, v1
	v_add_nc_u32_e32 v1, 0xffffff91, v1
	v_cndmask_b32_e64 v5, v5, 0x6f, vcc_lo
	v_cndmask_b32_e32 v4, v6, v4, vcc_lo
	v_cndmask_b32_e64 v1, v1, 0xffffff92, vcc_lo
	v_lshl_add_u32 v6, 0x200000, v5, -1
	v_lshrrev_b32_e32 v7, v5, v4
	v_lshlrev_b32_e64 v15, v5, 0x100000
	v_add_nc_u32_e32 v5, v5, v1
	v_and_b32_e32 v4, v6, v4
	v_bfe_u32 v14, v7, 21, 1
	v_cmp_eq_u32_e64 s16, v4, v15
	v_add_nc_u32_e32 v6, -1, v14
	v_cndmask_b32_e64 v4, 0, v6, s16
	v_lshrrev_b32_e32 v6, 23, v7
	s_mov_b32 s16, exec_lo
	v_add_nc_u32_e32 v4, v4, v7
	v_xor_b32_e32 v6, 1, v6
	v_and_b32_e32 v1, 0x1fffff, v4
	v_add_nc_u32_e32 v4, v1, v7
                                        ; implicit-def: $vgpr1
	v_cmpx_ne_u32_e64 v5, v6
	s_xor_b32 s16, exec_lo, s16
; %bb.3267:                             ;   in Loop: Header=BB6_3222 Depth=4
	v_cmp_lt_u32_e32 vcc_lo, 0xffffff, v4
	v_sub_nc_u32_e32 v1, v5, v6
	v_cndmask_b32_e64 v5, 0, 1, vcc_lo
	v_add_co_ci_u32_e64 v1, null, 0, v1, vcc_lo
	v_lshrrev_b32_e32 v4, v5, v4
; %bb.3268:                             ;   in Loop: Header=BB6_3222 Depth=4
	s_andn2_saveexec_b32 s16, s16
; %bb.3269:                             ;   in Loop: Header=BB6_3222 Depth=4
	v_bfe_u32 v1, v4, 23, 1
; %bb.3270:                             ;   in Loop: Header=BB6_3222 Depth=4
	s_or_b32 exec_lo, exec_lo, s16
	v_lshrrev_b32_e32 v4, 21, v4
	v_min_i32_e32 v5, 31, v1
	v_cmp_gt_i32_e32 vcc_lo, 32, v1
	v_and_b32_sdwa v0, v0, v117 dst_sel:DWORD dst_unused:UNUSED_PAD src0_sel:BYTE_3 src1_sel:DWORD
	v_lshlrev_b32_e32 v5, 2, v5
	v_cndmask_b32_e32 v4, 3, v4, vcc_lo
	v_and_b32_e32 v5, 0xfc, v5
	v_and_b32_e32 v6, 3, v4
	v_or_b32_e32 v1, v1, v4
	v_or3_b32 v0, v5, v0, v6
	v_cmp_ne_u32_e32 vcc_lo, 0, v1
	v_cndmask_b32_e32 v53, 0, v0, vcc_lo
.LBB6_3271:                             ;   in Loop: Header=BB6_3222 Depth=4
	s_or_b32 exec_lo, exec_lo, s74
.LBB6_3272:                             ;   in Loop: Header=BB6_3222 Depth=4
	s_or_b32 exec_lo, exec_lo, s73
	v_cmp_gt_i16_sdwa s73, v8, v116 src0_sel:BYTE_3 src1_sel:DWORD
	s_mov_b32 s16, 0
	s_and_saveexec_b32 s74, s73
	s_xor_b32 s73, exec_lo, s74
	s_cbranch_execz .LBB6_5410
; %bb.3273:                             ;   in Loop: Header=BB6_3222 Depth=4
	v_cmp_eq_u16_sdwa s75, v8, v117 src0_sel:BYTE_3 src1_sel:DWORD
	s_mov_b32 s16, -1
	s_and_saveexec_b32 s74, s75
; %bb.3274:                             ;   in Loop: Header=BB6_3222 Depth=4
	s_xor_b32 s16, exec_lo, -1
; %bb.3275:                             ;   in Loop: Header=BB6_3222 Depth=4
	s_or_b32 exec_lo, exec_lo, s74
	s_and_b32 s16, s16, exec_lo
	s_or_saveexec_b32 s73, s73
	v_mov_b32_e32 v0, 0x7f800001
	s_xor_b32 exec_lo, exec_lo, s73
	s_cbranch_execnz .LBB6_5411
.LBB6_3276:                             ;   in Loop: Header=BB6_3222 Depth=4
	s_or_b32 exec_lo, exec_lo, s73
	s_and_saveexec_b32 s73, s16
	s_cbranch_execz .LBB6_3278
.LBB6_3277:                             ;   in Loop: Header=BB6_3222 Depth=4
	v_bfe_u32 v0, v8, 24, 2
	v_bfe_u32 v5, v8, 26, 5
	v_ffbh_u32_e32 v1, v0
	v_cmp_eq_u32_e32 vcc_lo, 0, v5
	v_min_u32_e32 v1, 32, v1
	v_subrev_nc_u32_e32 v4, 29, v1
	v_sub_nc_u32_e32 v1, 30, v1
	v_lshlrev_b32_sdwa v4, v4, v8 dst_sel:DWORD dst_unused:UNUSED_PAD src0_sel:DWORD src1_sel:BYTE_3
	v_cndmask_b32_e32 v1, v5, v1, vcc_lo
	v_and_b32_e32 v4, 3, v4
	v_lshl_add_u32 v1, v1, 23, 0x37800000
	v_cndmask_b32_e32 v0, v0, v4, vcc_lo
	v_and_b32_e32 v4, 0x80000000, v8
	v_lshlrev_b32_e32 v0, 21, v0
	v_or3_b32 v0, v4, v1, v0
.LBB6_3278:                             ;   in Loop: Header=BB6_3222 Depth=4
	s_or_b32 exec_lo, exec_lo, s73
	v_mul_f32_e32 v0, s72, v0
	v_mov_b32_e32 v44, 0x8000
	s_mov_b32 s73, exec_lo
	v_and_b32_e32 v1, 0x7f800000, v0
	v_cmpx_ne_u32_e32 0x7f800000, v1
	s_cbranch_execz .LBB6_3286
; %bb.3279:                             ;   in Loop: Header=BB6_3222 Depth=4
	v_mov_b32_e32 v44, 0
	s_mov_b32 s74, exec_lo
	v_cmpx_ne_u32_e32 0, v0
	s_cbranch_execz .LBB6_3285
; %bb.3280:                             ;   in Loop: Header=BB6_3222 Depth=4
	v_bfe_u32 v1, v0, 23, 8
	v_and_b32_e32 v4, 0x7fffff, v0
	v_sub_nc_u32_e32 v5, 0x70, v1
	v_cmp_gt_u32_e32 vcc_lo, 0x71, v1
	v_or_b32_e32 v6, 0x800000, v4
	v_cndmask_b32_e32 v5, 0, v5, vcc_lo
	v_cmp_eq_u32_e32 vcc_lo, 0, v1
	v_add_nc_u32_e32 v1, 0xffffff91, v1
	v_cndmask_b32_e64 v5, v5, 0x6f, vcc_lo
	v_cndmask_b32_e32 v4, v6, v4, vcc_lo
	v_cndmask_b32_e64 v1, v1, 0xffffff92, vcc_lo
	v_lshl_add_u32 v6, 0x200000, v5, -1
	v_lshrrev_b32_e32 v7, v5, v4
	v_lshlrev_b32_e64 v14, v5, 0x100000
	v_add_nc_u32_e32 v5, v5, v1
	v_and_b32_e32 v4, v6, v4
	v_bfe_u32 v8, v7, 21, 1
	v_cmp_eq_u32_e64 s16, v4, v14
	v_add_nc_u32_e32 v6, -1, v8
	v_cndmask_b32_e64 v4, 0, v6, s16
	v_lshrrev_b32_e32 v6, 23, v7
	s_mov_b32 s16, exec_lo
	v_add_nc_u32_e32 v4, v4, v7
	v_xor_b32_e32 v6, 1, v6
	v_and_b32_e32 v1, 0x1fffff, v4
	v_add_nc_u32_e32 v4, v1, v7
                                        ; implicit-def: $vgpr1
	v_cmpx_ne_u32_e64 v5, v6
	s_xor_b32 s16, exec_lo, s16
; %bb.3281:                             ;   in Loop: Header=BB6_3222 Depth=4
	v_cmp_lt_u32_e32 vcc_lo, 0xffffff, v4
	v_sub_nc_u32_e32 v1, v5, v6
	v_cndmask_b32_e64 v5, 0, 1, vcc_lo
	v_add_co_ci_u32_e64 v1, null, 0, v1, vcc_lo
	v_lshrrev_b32_e32 v4, v5, v4
; %bb.3282:                             ;   in Loop: Header=BB6_3222 Depth=4
	s_andn2_saveexec_b32 s16, s16
; %bb.3283:                             ;   in Loop: Header=BB6_3222 Depth=4
	v_bfe_u32 v1, v4, 23, 1
; %bb.3284:                             ;   in Loop: Header=BB6_3222 Depth=4
	s_or_b32 exec_lo, exec_lo, s16
	v_lshrrev_b32_e32 v4, 21, v4
	v_min_i32_e32 v5, 31, v1
	v_cmp_gt_i32_e32 vcc_lo, 32, v1
	v_and_b32_sdwa v0, v0, v117 dst_sel:DWORD dst_unused:UNUSED_PAD src0_sel:BYTE_3 src1_sel:DWORD
	v_lshlrev_b32_e32 v5, 2, v5
	v_cndmask_b32_e32 v4, 3, v4, vcc_lo
	v_and_b32_e32 v5, 0xfc, v5
	v_and_b32_e32 v6, 3, v4
	v_or_b32_e32 v1, v1, v4
	v_or3_b32 v0, v0, v5, v6
	v_cmp_ne_u32_e32 vcc_lo, 0, v1
	v_lshlrev_b32_e32 v0, 8, v0
	v_cndmask_b32_e32 v44, 0, v0, vcc_lo
.LBB6_3285:                             ;   in Loop: Header=BB6_3222 Depth=4
	s_or_b32 exec_lo, exec_lo, s74
.LBB6_3286:                             ;   in Loop: Header=BB6_3222 Depth=4
	s_or_b32 exec_lo, exec_lo, s73
	v_cmp_gt_i16_sdwa s73, v9, v116 src0_sel:BYTE_0 src1_sel:DWORD
	s_mov_b32 s16, 0
	s_and_saveexec_b32 s74, s73
	s_xor_b32 s73, exec_lo, s74
	s_cbranch_execz .LBB6_5412
; %bb.3287:                             ;   in Loop: Header=BB6_3222 Depth=4
	v_cmp_eq_u16_sdwa s75, v9, v117 src0_sel:BYTE_0 src1_sel:DWORD
	s_mov_b32 s16, -1
	s_and_saveexec_b32 s74, s75
; %bb.3288:                             ;   in Loop: Header=BB6_3222 Depth=4
	s_xor_b32 s16, exec_lo, -1
; %bb.3289:                             ;   in Loop: Header=BB6_3222 Depth=4
	s_or_b32 exec_lo, exec_lo, s74
	s_and_b32 s16, s16, exec_lo
	s_or_saveexec_b32 s73, s73
	v_mov_b32_e32 v0, 0x7f800001
	s_xor_b32 exec_lo, exec_lo, s73
	s_cbranch_execnz .LBB6_5413
.LBB6_3290:                             ;   in Loop: Header=BB6_3222 Depth=4
	s_or_b32 exec_lo, exec_lo, s73
	s_and_saveexec_b32 s73, s16
	s_cbranch_execz .LBB6_3292
.LBB6_3291:                             ;   in Loop: Header=BB6_3222 Depth=4
	v_and_b32_e32 v0, 3, v9
	v_bfe_u32 v5, v9, 2, 5
	v_lshlrev_b32_e32 v6, 24, v9
	v_ffbh_u32_e32 v1, v0
	v_cmp_eq_u32_e32 vcc_lo, 0, v5
	v_min_u32_e32 v1, 32, v1
	v_subrev_nc_u32_e32 v4, 29, v1
	v_sub_nc_u32_e32 v1, 30, v1
	v_lshlrev_b32_e32 v4, v4, v9
	v_cndmask_b32_e32 v1, v5, v1, vcc_lo
	v_and_b32_e32 v4, 3, v4
	v_lshl_add_u32 v1, v1, 23, 0x37800000
	v_cndmask_b32_e32 v0, v0, v4, vcc_lo
	v_and_b32_e32 v4, 0x80000000, v6
	v_lshlrev_b32_e32 v0, 21, v0
	v_or3_b32 v0, v4, v1, v0
.LBB6_3292:                             ;   in Loop: Header=BB6_3222 Depth=4
	s_or_b32 exec_lo, exec_lo, s73
	v_mul_f32_e32 v0, s72, v0
	v_mov_b32_e32 v91, 0x80
	s_mov_b32 s73, exec_lo
	v_and_b32_e32 v1, 0x7f800000, v0
	v_cmpx_ne_u32_e32 0x7f800000, v1
	s_cbranch_execz .LBB6_3300
; %bb.3293:                             ;   in Loop: Header=BB6_3222 Depth=4
	v_mov_b32_e32 v91, 0
	s_mov_b32 s74, exec_lo
	v_cmpx_ne_u32_e32 0, v0
	s_cbranch_execz .LBB6_3299
; %bb.3294:                             ;   in Loop: Header=BB6_3222 Depth=4
	v_bfe_u32 v1, v0, 23, 8
	v_and_b32_e32 v4, 0x7fffff, v0
	v_sub_nc_u32_e32 v5, 0x70, v1
	v_cmp_gt_u32_e32 vcc_lo, 0x71, v1
	v_or_b32_e32 v6, 0x800000, v4
	v_cndmask_b32_e32 v5, 0, v5, vcc_lo
	v_cmp_eq_u32_e32 vcc_lo, 0, v1
	v_add_nc_u32_e32 v1, 0xffffff91, v1
	v_cndmask_b32_e64 v5, v5, 0x6f, vcc_lo
	v_cndmask_b32_e32 v4, v6, v4, vcc_lo
	v_cndmask_b32_e64 v1, v1, 0xffffff92, vcc_lo
	v_lshl_add_u32 v6, 0x200000, v5, -1
	v_lshrrev_b32_e32 v7, v5, v4
	v_lshlrev_b32_e64 v14, v5, 0x100000
	v_add_nc_u32_e32 v5, v5, v1
	v_and_b32_e32 v4, v6, v4
	v_bfe_u32 v8, v7, 21, 1
	v_cmp_eq_u32_e64 s16, v4, v14
	v_add_nc_u32_e32 v6, -1, v8
	v_cndmask_b32_e64 v4, 0, v6, s16
	v_lshrrev_b32_e32 v6, 23, v7
	s_mov_b32 s16, exec_lo
	v_add_nc_u32_e32 v4, v4, v7
	v_xor_b32_e32 v6, 1, v6
	v_and_b32_e32 v1, 0x1fffff, v4
	v_add_nc_u32_e32 v4, v1, v7
                                        ; implicit-def: $vgpr1
	v_cmpx_ne_u32_e64 v5, v6
	s_xor_b32 s16, exec_lo, s16
; %bb.3295:                             ;   in Loop: Header=BB6_3222 Depth=4
	v_cmp_lt_u32_e32 vcc_lo, 0xffffff, v4
	v_sub_nc_u32_e32 v1, v5, v6
	v_cndmask_b32_e64 v5, 0, 1, vcc_lo
	v_add_co_ci_u32_e64 v1, null, 0, v1, vcc_lo
	v_lshrrev_b32_e32 v4, v5, v4
; %bb.3296:                             ;   in Loop: Header=BB6_3222 Depth=4
	s_andn2_saveexec_b32 s16, s16
; %bb.3297:                             ;   in Loop: Header=BB6_3222 Depth=4
	v_bfe_u32 v1, v4, 23, 1
; %bb.3298:                             ;   in Loop: Header=BB6_3222 Depth=4
	s_or_b32 exec_lo, exec_lo, s16
	v_lshrrev_b32_e32 v4, 21, v4
	v_min_i32_e32 v5, 31, v1
	v_cmp_gt_i32_e32 vcc_lo, 32, v1
	v_and_b32_sdwa v0, v0, v117 dst_sel:DWORD dst_unused:UNUSED_PAD src0_sel:BYTE_3 src1_sel:DWORD
	v_lshlrev_b32_e32 v5, 2, v5
	v_cndmask_b32_e32 v4, 3, v4, vcc_lo
	v_and_b32_e32 v5, 0xfc, v5
	v_and_b32_e32 v6, 3, v4
	v_or_b32_e32 v1, v1, v4
	v_or3_b32 v0, v5, v0, v6
	v_cmp_ne_u32_e32 vcc_lo, 0, v1
	v_cndmask_b32_e32 v91, 0, v0, vcc_lo
.LBB6_3299:                             ;   in Loop: Header=BB6_3222 Depth=4
	s_or_b32 exec_lo, exec_lo, s74
.LBB6_3300:                             ;   in Loop: Header=BB6_3222 Depth=4
	s_or_b32 exec_lo, exec_lo, s73
	v_cmp_gt_i16_sdwa s73, v9, v116 src0_sel:BYTE_1 src1_sel:DWORD
	s_mov_b32 s16, 0
	s_and_saveexec_b32 s74, s73
	s_xor_b32 s73, exec_lo, s74
	s_cbranch_execz .LBB6_5414
; %bb.3301:                             ;   in Loop: Header=BB6_3222 Depth=4
	v_cmp_eq_u16_sdwa s75, v9, v117 src0_sel:BYTE_1 src1_sel:DWORD
	s_mov_b32 s16, -1
	s_and_saveexec_b32 s74, s75
; %bb.3302:                             ;   in Loop: Header=BB6_3222 Depth=4
	s_xor_b32 s16, exec_lo, -1
; %bb.3303:                             ;   in Loop: Header=BB6_3222 Depth=4
	s_or_b32 exec_lo, exec_lo, s74
	s_and_b32 s16, s16, exec_lo
	s_or_saveexec_b32 s73, s73
	v_mov_b32_e32 v0, 0x7f800001
	s_xor_b32 exec_lo, exec_lo, s73
	s_cbranch_execnz .LBB6_5415
.LBB6_3304:                             ;   in Loop: Header=BB6_3222 Depth=4
	s_or_b32 exec_lo, exec_lo, s73
	s_and_saveexec_b32 s73, s16
	s_cbranch_execz .LBB6_3306
.LBB6_3305:                             ;   in Loop: Header=BB6_3222 Depth=4
	v_and_b32_sdwa v0, v118, v9 dst_sel:DWORD dst_unused:UNUSED_PAD src0_sel:DWORD src1_sel:BYTE_1
	v_and_b32_e32 v1, 3, v0
	v_bfe_u32 v6, v0, 2, 5
	v_ffbh_u32_e32 v4, v1
	v_cmp_eq_u32_e32 vcc_lo, 0, v6
	v_min_u32_e32 v4, 32, v4
	v_subrev_nc_u32_e32 v5, 29, v4
	v_sub_nc_u32_e32 v4, 30, v4
	v_lshlrev_b32_e32 v0, v5, v0
	v_lshlrev_b32_sdwa v5, v119, v9 dst_sel:DWORD dst_unused:UNUSED_PAD src0_sel:DWORD src1_sel:BYTE_1
	v_cndmask_b32_e32 v4, v6, v4, vcc_lo
	v_and_b32_e32 v0, 3, v0
	v_lshl_add_u32 v4, v4, 23, 0x37800000
	v_cndmask_b32_e32 v0, v1, v0, vcc_lo
	v_and_b32_e32 v1, 0x80000000, v5
	v_lshlrev_b32_e32 v0, 21, v0
	v_or3_b32 v0, v1, v4, v0
.LBB6_3306:                             ;   in Loop: Header=BB6_3222 Depth=4
	s_or_b32 exec_lo, exec_lo, s73
	v_mul_f32_e32 v0, s72, v0
	v_mov_b32_e32 v94, 0x8000
	s_mov_b32 s73, exec_lo
	v_and_b32_e32 v1, 0x7f800000, v0
	v_cmpx_ne_u32_e32 0x7f800000, v1
	s_cbranch_execz .LBB6_3314
; %bb.3307:                             ;   in Loop: Header=BB6_3222 Depth=4
	v_mov_b32_e32 v94, 0
	s_mov_b32 s74, exec_lo
	v_cmpx_ne_u32_e32 0, v0
	s_cbranch_execz .LBB6_3313
; %bb.3308:                             ;   in Loop: Header=BB6_3222 Depth=4
	v_bfe_u32 v1, v0, 23, 8
	v_and_b32_e32 v4, 0x7fffff, v0
	v_sub_nc_u32_e32 v5, 0x70, v1
	v_cmp_gt_u32_e32 vcc_lo, 0x71, v1
	v_or_b32_e32 v6, 0x800000, v4
	v_cndmask_b32_e32 v5, 0, v5, vcc_lo
	v_cmp_eq_u32_e32 vcc_lo, 0, v1
	v_add_nc_u32_e32 v1, 0xffffff91, v1
	v_cndmask_b32_e64 v5, v5, 0x6f, vcc_lo
	v_cndmask_b32_e32 v4, v6, v4, vcc_lo
	v_cndmask_b32_e64 v1, v1, 0xffffff92, vcc_lo
	v_lshl_add_u32 v6, 0x200000, v5, -1
	v_lshrrev_b32_e32 v7, v5, v4
	v_lshlrev_b32_e64 v14, v5, 0x100000
	v_add_nc_u32_e32 v5, v5, v1
	v_and_b32_e32 v4, v6, v4
	v_bfe_u32 v8, v7, 21, 1
	v_cmp_eq_u32_e64 s16, v4, v14
	v_add_nc_u32_e32 v6, -1, v8
	v_cndmask_b32_e64 v4, 0, v6, s16
	v_lshrrev_b32_e32 v6, 23, v7
	s_mov_b32 s16, exec_lo
	v_add_nc_u32_e32 v4, v4, v7
	v_xor_b32_e32 v6, 1, v6
	v_and_b32_e32 v1, 0x1fffff, v4
	v_add_nc_u32_e32 v4, v1, v7
                                        ; implicit-def: $vgpr1
	v_cmpx_ne_u32_e64 v5, v6
	s_xor_b32 s16, exec_lo, s16
; %bb.3309:                             ;   in Loop: Header=BB6_3222 Depth=4
	v_cmp_lt_u32_e32 vcc_lo, 0xffffff, v4
	v_sub_nc_u32_e32 v1, v5, v6
	v_cndmask_b32_e64 v5, 0, 1, vcc_lo
	v_add_co_ci_u32_e64 v1, null, 0, v1, vcc_lo
	v_lshrrev_b32_e32 v4, v5, v4
; %bb.3310:                             ;   in Loop: Header=BB6_3222 Depth=4
	s_andn2_saveexec_b32 s16, s16
; %bb.3311:                             ;   in Loop: Header=BB6_3222 Depth=4
	v_bfe_u32 v1, v4, 23, 1
; %bb.3312:                             ;   in Loop: Header=BB6_3222 Depth=4
	s_or_b32 exec_lo, exec_lo, s16
	v_lshrrev_b32_e32 v4, 21, v4
	v_min_i32_e32 v5, 31, v1
	v_cmp_gt_i32_e32 vcc_lo, 32, v1
	v_and_b32_sdwa v0, v0, v117 dst_sel:DWORD dst_unused:UNUSED_PAD src0_sel:BYTE_3 src1_sel:DWORD
	v_lshlrev_b32_e32 v5, 2, v5
	v_cndmask_b32_e32 v4, 3, v4, vcc_lo
	v_and_b32_e32 v5, 0xfc, v5
	v_and_b32_e32 v6, 3, v4
	v_or_b32_e32 v1, v1, v4
	v_or3_b32 v0, v0, v5, v6
	v_cmp_ne_u32_e32 vcc_lo, 0, v1
	v_lshlrev_b32_e32 v0, 8, v0
	v_cndmask_b32_e32 v94, 0, v0, vcc_lo
.LBB6_3313:                             ;   in Loop: Header=BB6_3222 Depth=4
	s_or_b32 exec_lo, exec_lo, s74
.LBB6_3314:                             ;   in Loop: Header=BB6_3222 Depth=4
	s_or_b32 exec_lo, exec_lo, s73
	v_and_b32_sdwa v1, v9, v40 dst_sel:DWORD dst_unused:UNUSED_PAD src0_sel:WORD_1 src1_sel:DWORD
	s_mov_b32 s16, 0
	s_mov_b32 s73, exec_lo
	v_cmpx_lt_i16_e32 0x7f, v1
	s_xor_b32 s73, exec_lo, s73
	s_cbranch_execz .LBB6_5416
; %bb.3315:                             ;   in Loop: Header=BB6_3222 Depth=4
	s_mov_b32 s16, -1
	s_mov_b32 s74, exec_lo
	v_cmpx_eq_u16_e32 0x80, v1
; %bb.3316:                             ;   in Loop: Header=BB6_3222 Depth=4
	s_xor_b32 s16, exec_lo, -1
; %bb.3317:                             ;   in Loop: Header=BB6_3222 Depth=4
	s_or_b32 exec_lo, exec_lo, s74
	s_and_b32 s16, s16, exec_lo
                                        ; implicit-def: $vgpr1
	s_or_saveexec_b32 s73, s73
	v_mov_b32_e32 v0, 0x7f800001
	s_xor_b32 exec_lo, exec_lo, s73
	s_cbranch_execnz .LBB6_5417
.LBB6_3318:                             ;   in Loop: Header=BB6_3222 Depth=4
	s_or_b32 exec_lo, exec_lo, s73
	s_and_saveexec_b32 s73, s16
	s_cbranch_execz .LBB6_3320
.LBB6_3319:                             ;   in Loop: Header=BB6_3222 Depth=4
	v_bfe_u32 v0, v9, 16, 2
	v_bfe_u32 v5, v9, 18, 5
	v_lshlrev_b32_e32 v6, 8, v9
	v_ffbh_u32_e32 v1, v0
	v_cmp_eq_u32_e32 vcc_lo, 0, v5
	v_min_u32_e32 v1, 32, v1
	v_subrev_nc_u32_e32 v4, 29, v1
	v_sub_nc_u32_e32 v1, 30, v1
	v_lshlrev_b32_sdwa v4, v4, v9 dst_sel:DWORD dst_unused:UNUSED_PAD src0_sel:DWORD src1_sel:WORD_1
	v_cndmask_b32_e32 v1, v5, v1, vcc_lo
	v_and_b32_e32 v4, 3, v4
	v_lshl_add_u32 v1, v1, 23, 0x37800000
	v_cndmask_b32_e32 v0, v0, v4, vcc_lo
	v_and_b32_e32 v4, 0x80000000, v6
	v_lshlrev_b32_e32 v0, 21, v0
	v_or3_b32 v0, v4, v1, v0
.LBB6_3320:                             ;   in Loop: Header=BB6_3222 Depth=4
	s_or_b32 exec_lo, exec_lo, s73
	v_mul_f32_e32 v0, s72, v0
	v_mov_b32_e32 v107, 0x80
	s_mov_b32 s73, exec_lo
	v_and_b32_e32 v1, 0x7f800000, v0
	v_cmpx_ne_u32_e32 0x7f800000, v1
	s_cbranch_execz .LBB6_3328
; %bb.3321:                             ;   in Loop: Header=BB6_3222 Depth=4
	v_mov_b32_e32 v107, 0
	s_mov_b32 s74, exec_lo
	v_cmpx_ne_u32_e32 0, v0
	s_cbranch_execz .LBB6_3327
; %bb.3322:                             ;   in Loop: Header=BB6_3222 Depth=4
	v_bfe_u32 v1, v0, 23, 8
	v_and_b32_e32 v4, 0x7fffff, v0
	v_sub_nc_u32_e32 v5, 0x70, v1
	v_cmp_gt_u32_e32 vcc_lo, 0x71, v1
	v_or_b32_e32 v6, 0x800000, v4
	v_cndmask_b32_e32 v5, 0, v5, vcc_lo
	v_cmp_eq_u32_e32 vcc_lo, 0, v1
	v_add_nc_u32_e32 v1, 0xffffff91, v1
	v_cndmask_b32_e64 v5, v5, 0x6f, vcc_lo
	v_cndmask_b32_e32 v4, v6, v4, vcc_lo
	v_cndmask_b32_e64 v1, v1, 0xffffff92, vcc_lo
	v_lshl_add_u32 v6, 0x200000, v5, -1
	v_lshrrev_b32_e32 v7, v5, v4
	v_lshlrev_b32_e64 v14, v5, 0x100000
	v_add_nc_u32_e32 v5, v5, v1
	v_and_b32_e32 v4, v6, v4
	v_bfe_u32 v8, v7, 21, 1
	v_cmp_eq_u32_e64 s16, v4, v14
	v_add_nc_u32_e32 v6, -1, v8
	v_cndmask_b32_e64 v4, 0, v6, s16
	v_lshrrev_b32_e32 v6, 23, v7
	s_mov_b32 s16, exec_lo
	v_add_nc_u32_e32 v4, v4, v7
	v_xor_b32_e32 v6, 1, v6
	v_and_b32_e32 v1, 0x1fffff, v4
	v_add_nc_u32_e32 v4, v1, v7
                                        ; implicit-def: $vgpr1
	v_cmpx_ne_u32_e64 v5, v6
	s_xor_b32 s16, exec_lo, s16
; %bb.3323:                             ;   in Loop: Header=BB6_3222 Depth=4
	v_cmp_lt_u32_e32 vcc_lo, 0xffffff, v4
	v_sub_nc_u32_e32 v1, v5, v6
	v_cndmask_b32_e64 v5, 0, 1, vcc_lo
	v_add_co_ci_u32_e64 v1, null, 0, v1, vcc_lo
	v_lshrrev_b32_e32 v4, v5, v4
; %bb.3324:                             ;   in Loop: Header=BB6_3222 Depth=4
	s_andn2_saveexec_b32 s16, s16
; %bb.3325:                             ;   in Loop: Header=BB6_3222 Depth=4
	v_bfe_u32 v1, v4, 23, 1
; %bb.3326:                             ;   in Loop: Header=BB6_3222 Depth=4
	s_or_b32 exec_lo, exec_lo, s16
	v_lshrrev_b32_e32 v4, 21, v4
	v_min_i32_e32 v5, 31, v1
	v_cmp_gt_i32_e32 vcc_lo, 32, v1
	v_and_b32_sdwa v0, v0, v117 dst_sel:DWORD dst_unused:UNUSED_PAD src0_sel:BYTE_3 src1_sel:DWORD
	v_lshlrev_b32_e32 v5, 2, v5
	v_cndmask_b32_e32 v4, 3, v4, vcc_lo
	v_and_b32_e32 v5, 0xfc, v5
	v_and_b32_e32 v6, 3, v4
	v_or_b32_e32 v1, v1, v4
	v_or3_b32 v0, v5, v0, v6
	v_cmp_ne_u32_e32 vcc_lo, 0, v1
	v_cndmask_b32_e32 v107, 0, v0, vcc_lo
.LBB6_3327:                             ;   in Loop: Header=BB6_3222 Depth=4
	s_or_b32 exec_lo, exec_lo, s74
.LBB6_3328:                             ;   in Loop: Header=BB6_3222 Depth=4
	s_or_b32 exec_lo, exec_lo, s73
	v_cmp_gt_i16_sdwa s73, v9, v116 src0_sel:BYTE_3 src1_sel:DWORD
	s_mov_b32 s16, 0
	s_and_saveexec_b32 s74, s73
	s_xor_b32 s73, exec_lo, s74
	s_cbranch_execz .LBB6_5418
; %bb.3329:                             ;   in Loop: Header=BB6_3222 Depth=4
	v_cmp_eq_u16_sdwa s75, v9, v117 src0_sel:BYTE_3 src1_sel:DWORD
	s_mov_b32 s16, -1
	s_and_saveexec_b32 s74, s75
; %bb.3330:                             ;   in Loop: Header=BB6_3222 Depth=4
	s_xor_b32 s16, exec_lo, -1
; %bb.3331:                             ;   in Loop: Header=BB6_3222 Depth=4
	s_or_b32 exec_lo, exec_lo, s74
	s_and_b32 s16, s16, exec_lo
	s_or_saveexec_b32 s73, s73
	v_mov_b32_e32 v0, 0x7f800001
	s_xor_b32 exec_lo, exec_lo, s73
	s_cbranch_execnz .LBB6_5419
.LBB6_3332:                             ;   in Loop: Header=BB6_3222 Depth=4
	s_or_b32 exec_lo, exec_lo, s73
	s_and_saveexec_b32 s73, s16
	s_cbranch_execz .LBB6_3334
.LBB6_3333:                             ;   in Loop: Header=BB6_3222 Depth=4
	v_bfe_u32 v0, v9, 24, 2
	v_bfe_u32 v5, v9, 26, 5
	v_ffbh_u32_e32 v1, v0
	v_cmp_eq_u32_e32 vcc_lo, 0, v5
	v_min_u32_e32 v1, 32, v1
	v_subrev_nc_u32_e32 v4, 29, v1
	v_sub_nc_u32_e32 v1, 30, v1
	v_lshlrev_b32_sdwa v4, v4, v9 dst_sel:DWORD dst_unused:UNUSED_PAD src0_sel:DWORD src1_sel:BYTE_3
	v_cndmask_b32_e32 v1, v5, v1, vcc_lo
	v_and_b32_e32 v4, 3, v4
	v_lshl_add_u32 v1, v1, 23, 0x37800000
	v_cndmask_b32_e32 v0, v0, v4, vcc_lo
	v_and_b32_e32 v4, 0x80000000, v9
	v_lshlrev_b32_e32 v0, 21, v0
	v_or3_b32 v0, v4, v1, v0
.LBB6_3334:                             ;   in Loop: Header=BB6_3222 Depth=4
	s_or_b32 exec_lo, exec_lo, s73
	v_mul_f32_e32 v0, s72, v0
	v_mov_b32_e32 v115, 0x8000
	s_mov_b32 s73, exec_lo
	v_and_b32_e32 v1, 0x7f800000, v0
	v_cmpx_ne_u32_e32 0x7f800000, v1
	s_cbranch_execz .LBB6_3342
; %bb.3335:                             ;   in Loop: Header=BB6_3222 Depth=4
	v_mov_b32_e32 v115, 0
	s_mov_b32 s74, exec_lo
	v_cmpx_ne_u32_e32 0, v0
	s_cbranch_execz .LBB6_3341
; %bb.3336:                             ;   in Loop: Header=BB6_3222 Depth=4
	v_bfe_u32 v1, v0, 23, 8
	v_and_b32_e32 v4, 0x7fffff, v0
	v_sub_nc_u32_e32 v5, 0x70, v1
	v_cmp_gt_u32_e32 vcc_lo, 0x71, v1
	v_or_b32_e32 v6, 0x800000, v4
	v_cndmask_b32_e32 v5, 0, v5, vcc_lo
	v_cmp_eq_u32_e32 vcc_lo, 0, v1
	v_add_nc_u32_e32 v1, 0xffffff91, v1
	v_cndmask_b32_e64 v5, v5, 0x6f, vcc_lo
	v_cndmask_b32_e32 v4, v6, v4, vcc_lo
	v_cndmask_b32_e64 v1, v1, 0xffffff92, vcc_lo
	v_lshl_add_u32 v6, 0x200000, v5, -1
	v_lshrrev_b32_e32 v7, v5, v4
	v_lshlrev_b32_e64 v9, v5, 0x100000
	v_add_nc_u32_e32 v5, v5, v1
	v_and_b32_e32 v4, v6, v4
	v_bfe_u32 v8, v7, 21, 1
	v_cmp_eq_u32_e64 s16, v4, v9
	v_add_nc_u32_e32 v6, -1, v8
	v_cndmask_b32_e64 v4, 0, v6, s16
	v_lshrrev_b32_e32 v6, 23, v7
	s_mov_b32 s16, exec_lo
	v_add_nc_u32_e32 v4, v4, v7
	v_xor_b32_e32 v6, 1, v6
	v_and_b32_e32 v1, 0x1fffff, v4
	v_add_nc_u32_e32 v4, v1, v7
                                        ; implicit-def: $vgpr1
	v_cmpx_ne_u32_e64 v5, v6
	s_xor_b32 s16, exec_lo, s16
; %bb.3337:                             ;   in Loop: Header=BB6_3222 Depth=4
	v_cmp_lt_u32_e32 vcc_lo, 0xffffff, v4
	v_sub_nc_u32_e32 v1, v5, v6
	v_cndmask_b32_e64 v5, 0, 1, vcc_lo
	v_add_co_ci_u32_e64 v1, null, 0, v1, vcc_lo
	v_lshrrev_b32_e32 v4, v5, v4
; %bb.3338:                             ;   in Loop: Header=BB6_3222 Depth=4
	s_andn2_saveexec_b32 s16, s16
; %bb.3339:                             ;   in Loop: Header=BB6_3222 Depth=4
	v_bfe_u32 v1, v4, 23, 1
; %bb.3340:                             ;   in Loop: Header=BB6_3222 Depth=4
	s_or_b32 exec_lo, exec_lo, s16
	v_lshrrev_b32_e32 v4, 21, v4
	v_min_i32_e32 v5, 31, v1
	v_cmp_gt_i32_e32 vcc_lo, 32, v1
	v_and_b32_sdwa v0, v0, v117 dst_sel:DWORD dst_unused:UNUSED_PAD src0_sel:BYTE_3 src1_sel:DWORD
	v_lshlrev_b32_e32 v5, 2, v5
	v_cndmask_b32_e32 v4, 3, v4, vcc_lo
	v_and_b32_e32 v5, 0xfc, v5
	v_and_b32_e32 v6, 3, v4
	v_or_b32_e32 v1, v1, v4
	v_or3_b32 v0, v0, v5, v6
	v_cmp_ne_u32_e32 vcc_lo, 0, v1
	v_lshlrev_b32_e32 v0, 8, v0
	v_cndmask_b32_e32 v115, 0, v0, vcc_lo
.LBB6_3341:                             ;   in Loop: Header=BB6_3222 Depth=4
	s_or_b32 exec_lo, exec_lo, s74
.LBB6_3342:                             ;   in Loop: Header=BB6_3222 Depth=4
	s_or_b32 exec_lo, exec_lo, s73
	v_cmp_gt_i16_sdwa s73, v10, v116 src0_sel:BYTE_0 src1_sel:DWORD
	s_mov_b32 s16, 0
	s_and_saveexec_b32 s74, s73
	s_xor_b32 s73, exec_lo, s74
	s_cbranch_execz .LBB6_5420
; %bb.3343:                             ;   in Loop: Header=BB6_3222 Depth=4
	v_cmp_eq_u16_sdwa s75, v10, v117 src0_sel:BYTE_0 src1_sel:DWORD
	s_mov_b32 s16, -1
	s_and_saveexec_b32 s74, s75
; %bb.3344:                             ;   in Loop: Header=BB6_3222 Depth=4
	s_xor_b32 s16, exec_lo, -1
; %bb.3345:                             ;   in Loop: Header=BB6_3222 Depth=4
	s_or_b32 exec_lo, exec_lo, s74
	s_and_b32 s16, s16, exec_lo
	s_or_saveexec_b32 s73, s73
	v_mov_b32_e32 v0, 0x7f800001
	s_xor_b32 exec_lo, exec_lo, s73
	s_cbranch_execnz .LBB6_5421
.LBB6_3346:                             ;   in Loop: Header=BB6_3222 Depth=4
	s_or_b32 exec_lo, exec_lo, s73
	s_and_saveexec_b32 s73, s16
	s_cbranch_execz .LBB6_3348
.LBB6_3347:                             ;   in Loop: Header=BB6_3222 Depth=4
	v_and_b32_e32 v0, 3, v10
	v_bfe_u32 v5, v10, 2, 5
	v_lshlrev_b32_e32 v6, 24, v10
	v_ffbh_u32_e32 v1, v0
	v_cmp_eq_u32_e32 vcc_lo, 0, v5
	v_min_u32_e32 v1, 32, v1
	v_subrev_nc_u32_e32 v4, 29, v1
	v_sub_nc_u32_e32 v1, 30, v1
	v_lshlrev_b32_e32 v4, v4, v10
	v_cndmask_b32_e32 v1, v5, v1, vcc_lo
	v_and_b32_e32 v4, 3, v4
	v_lshl_add_u32 v1, v1, 23, 0x37800000
	v_cndmask_b32_e32 v0, v0, v4, vcc_lo
	v_and_b32_e32 v4, 0x80000000, v6
	v_lshlrev_b32_e32 v0, 21, v0
	v_or3_b32 v0, v4, v1, v0
.LBB6_3348:                             ;   in Loop: Header=BB6_3222 Depth=4
	s_or_b32 exec_lo, exec_lo, s73
	v_mul_f32_e32 v0, s72, v0
	v_mov_b32_e32 v121, 0x80
	s_mov_b32 s73, exec_lo
	v_and_b32_e32 v1, 0x7f800000, v0
	v_cmpx_ne_u32_e32 0x7f800000, v1
	s_cbranch_execz .LBB6_3356
; %bb.3349:                             ;   in Loop: Header=BB6_3222 Depth=4
	v_mov_b32_e32 v121, 0
	s_mov_b32 s74, exec_lo
	v_cmpx_ne_u32_e32 0, v0
	s_cbranch_execz .LBB6_3355
; %bb.3350:                             ;   in Loop: Header=BB6_3222 Depth=4
	v_bfe_u32 v1, v0, 23, 8
	v_and_b32_e32 v4, 0x7fffff, v0
	v_sub_nc_u32_e32 v5, 0x70, v1
	v_cmp_gt_u32_e32 vcc_lo, 0x71, v1
	v_or_b32_e32 v6, 0x800000, v4
	v_cndmask_b32_e32 v5, 0, v5, vcc_lo
	v_cmp_eq_u32_e32 vcc_lo, 0, v1
	v_add_nc_u32_e32 v1, 0xffffff91, v1
	v_cndmask_b32_e64 v5, v5, 0x6f, vcc_lo
	v_cndmask_b32_e32 v4, v6, v4, vcc_lo
	v_cndmask_b32_e64 v1, v1, 0xffffff92, vcc_lo
	v_lshl_add_u32 v6, 0x200000, v5, -1
	v_lshrrev_b32_e32 v7, v5, v4
	v_lshlrev_b32_e64 v9, v5, 0x100000
	v_add_nc_u32_e32 v5, v5, v1
	v_and_b32_e32 v4, v6, v4
	v_bfe_u32 v8, v7, 21, 1
	v_cmp_eq_u32_e64 s16, v4, v9
	v_add_nc_u32_e32 v6, -1, v8
	v_cndmask_b32_e64 v4, 0, v6, s16
	v_lshrrev_b32_e32 v6, 23, v7
	s_mov_b32 s16, exec_lo
	v_add_nc_u32_e32 v4, v4, v7
	v_xor_b32_e32 v6, 1, v6
	v_and_b32_e32 v1, 0x1fffff, v4
	v_add_nc_u32_e32 v4, v1, v7
                                        ; implicit-def: $vgpr1
	v_cmpx_ne_u32_e64 v5, v6
	s_xor_b32 s16, exec_lo, s16
; %bb.3351:                             ;   in Loop: Header=BB6_3222 Depth=4
	v_cmp_lt_u32_e32 vcc_lo, 0xffffff, v4
	v_sub_nc_u32_e32 v1, v5, v6
	v_cndmask_b32_e64 v5, 0, 1, vcc_lo
	v_add_co_ci_u32_e64 v1, null, 0, v1, vcc_lo
	v_lshrrev_b32_e32 v4, v5, v4
; %bb.3352:                             ;   in Loop: Header=BB6_3222 Depth=4
	s_andn2_saveexec_b32 s16, s16
; %bb.3353:                             ;   in Loop: Header=BB6_3222 Depth=4
	v_bfe_u32 v1, v4, 23, 1
; %bb.3354:                             ;   in Loop: Header=BB6_3222 Depth=4
	s_or_b32 exec_lo, exec_lo, s16
	v_lshrrev_b32_e32 v4, 21, v4
	v_min_i32_e32 v5, 31, v1
	v_cmp_gt_i32_e32 vcc_lo, 32, v1
	v_and_b32_sdwa v0, v0, v117 dst_sel:DWORD dst_unused:UNUSED_PAD src0_sel:BYTE_3 src1_sel:DWORD
	v_lshlrev_b32_e32 v5, 2, v5
	v_cndmask_b32_e32 v4, 3, v4, vcc_lo
	v_and_b32_e32 v5, 0xfc, v5
	v_and_b32_e32 v6, 3, v4
	v_or_b32_e32 v1, v1, v4
	v_or3_b32 v0, v5, v0, v6
	v_cmp_ne_u32_e32 vcc_lo, 0, v1
	v_cndmask_b32_e32 v121, 0, v0, vcc_lo
.LBB6_3355:                             ;   in Loop: Header=BB6_3222 Depth=4
	s_or_b32 exec_lo, exec_lo, s74
.LBB6_3356:                             ;   in Loop: Header=BB6_3222 Depth=4
	s_or_b32 exec_lo, exec_lo, s73
	v_cmp_gt_i16_sdwa s73, v10, v116 src0_sel:BYTE_1 src1_sel:DWORD
	s_mov_b32 s16, 0
	s_and_saveexec_b32 s74, s73
	s_xor_b32 s73, exec_lo, s74
	s_cbranch_execz .LBB6_5422
; %bb.3357:                             ;   in Loop: Header=BB6_3222 Depth=4
	v_cmp_eq_u16_sdwa s75, v10, v117 src0_sel:BYTE_1 src1_sel:DWORD
	s_mov_b32 s16, -1
	s_and_saveexec_b32 s74, s75
; %bb.3358:                             ;   in Loop: Header=BB6_3222 Depth=4
	s_xor_b32 s16, exec_lo, -1
; %bb.3359:                             ;   in Loop: Header=BB6_3222 Depth=4
	s_or_b32 exec_lo, exec_lo, s74
	s_and_b32 s16, s16, exec_lo
	s_or_saveexec_b32 s73, s73
	v_mov_b32_e32 v0, 0x7f800001
	s_xor_b32 exec_lo, exec_lo, s73
	s_cbranch_execnz .LBB6_5423
.LBB6_3360:                             ;   in Loop: Header=BB6_3222 Depth=4
	s_or_b32 exec_lo, exec_lo, s73
	s_and_saveexec_b32 s73, s16
	s_cbranch_execz .LBB6_3362
.LBB6_3361:                             ;   in Loop: Header=BB6_3222 Depth=4
	v_and_b32_sdwa v0, v118, v10 dst_sel:DWORD dst_unused:UNUSED_PAD src0_sel:DWORD src1_sel:BYTE_1
	v_and_b32_e32 v1, 3, v0
	v_bfe_u32 v6, v0, 2, 5
	v_ffbh_u32_e32 v4, v1
	v_cmp_eq_u32_e32 vcc_lo, 0, v6
	v_min_u32_e32 v4, 32, v4
	v_subrev_nc_u32_e32 v5, 29, v4
	v_sub_nc_u32_e32 v4, 30, v4
	v_lshlrev_b32_e32 v0, v5, v0
	v_lshlrev_b32_sdwa v5, v119, v10 dst_sel:DWORD dst_unused:UNUSED_PAD src0_sel:DWORD src1_sel:BYTE_1
	v_cndmask_b32_e32 v4, v6, v4, vcc_lo
	v_and_b32_e32 v0, 3, v0
	v_lshl_add_u32 v4, v4, 23, 0x37800000
	v_cndmask_b32_e32 v0, v1, v0, vcc_lo
	v_and_b32_e32 v1, 0x80000000, v5
	v_lshlrev_b32_e32 v0, 21, v0
	v_or3_b32 v0, v1, v4, v0
.LBB6_3362:                             ;   in Loop: Header=BB6_3222 Depth=4
	s_or_b32 exec_lo, exec_lo, s73
	v_mul_f32_e32 v0, s72, v0
	v_mov_b32_e32 v124, 0x8000
	s_mov_b32 s73, exec_lo
	v_and_b32_e32 v1, 0x7f800000, v0
	v_cmpx_ne_u32_e32 0x7f800000, v1
	s_cbranch_execz .LBB6_3370
; %bb.3363:                             ;   in Loop: Header=BB6_3222 Depth=4
	v_mov_b32_e32 v124, 0
	s_mov_b32 s74, exec_lo
	v_cmpx_ne_u32_e32 0, v0
	s_cbranch_execz .LBB6_3369
; %bb.3364:                             ;   in Loop: Header=BB6_3222 Depth=4
	v_bfe_u32 v1, v0, 23, 8
	v_and_b32_e32 v4, 0x7fffff, v0
	v_sub_nc_u32_e32 v5, 0x70, v1
	v_cmp_gt_u32_e32 vcc_lo, 0x71, v1
	v_or_b32_e32 v6, 0x800000, v4
	v_cndmask_b32_e32 v5, 0, v5, vcc_lo
	v_cmp_eq_u32_e32 vcc_lo, 0, v1
	v_add_nc_u32_e32 v1, 0xffffff91, v1
	v_cndmask_b32_e64 v5, v5, 0x6f, vcc_lo
	v_cndmask_b32_e32 v4, v6, v4, vcc_lo
	v_cndmask_b32_e64 v1, v1, 0xffffff92, vcc_lo
	v_lshl_add_u32 v6, 0x200000, v5, -1
	v_lshrrev_b32_e32 v7, v5, v4
	v_lshlrev_b32_e64 v9, v5, 0x100000
	v_add_nc_u32_e32 v5, v5, v1
	v_and_b32_e32 v4, v6, v4
	v_bfe_u32 v8, v7, 21, 1
	v_cmp_eq_u32_e64 s16, v4, v9
	v_add_nc_u32_e32 v6, -1, v8
	v_cndmask_b32_e64 v4, 0, v6, s16
	v_lshrrev_b32_e32 v6, 23, v7
	s_mov_b32 s16, exec_lo
	v_add_nc_u32_e32 v4, v4, v7
	v_xor_b32_e32 v6, 1, v6
	v_and_b32_e32 v1, 0x1fffff, v4
	v_add_nc_u32_e32 v4, v1, v7
                                        ; implicit-def: $vgpr1
	v_cmpx_ne_u32_e64 v5, v6
	s_xor_b32 s16, exec_lo, s16
; %bb.3365:                             ;   in Loop: Header=BB6_3222 Depth=4
	v_cmp_lt_u32_e32 vcc_lo, 0xffffff, v4
	v_sub_nc_u32_e32 v1, v5, v6
	v_cndmask_b32_e64 v5, 0, 1, vcc_lo
	v_add_co_ci_u32_e64 v1, null, 0, v1, vcc_lo
	v_lshrrev_b32_e32 v4, v5, v4
; %bb.3366:                             ;   in Loop: Header=BB6_3222 Depth=4
	s_andn2_saveexec_b32 s16, s16
; %bb.3367:                             ;   in Loop: Header=BB6_3222 Depth=4
	v_bfe_u32 v1, v4, 23, 1
; %bb.3368:                             ;   in Loop: Header=BB6_3222 Depth=4
	s_or_b32 exec_lo, exec_lo, s16
	v_lshrrev_b32_e32 v4, 21, v4
	v_min_i32_e32 v5, 31, v1
	v_cmp_gt_i32_e32 vcc_lo, 32, v1
	v_and_b32_sdwa v0, v0, v117 dst_sel:DWORD dst_unused:UNUSED_PAD src0_sel:BYTE_3 src1_sel:DWORD
	v_lshlrev_b32_e32 v5, 2, v5
	v_cndmask_b32_e32 v4, 3, v4, vcc_lo
	v_and_b32_e32 v5, 0xfc, v5
	v_and_b32_e32 v6, 3, v4
	v_or_b32_e32 v1, v1, v4
	v_or3_b32 v0, v0, v5, v6
	v_cmp_ne_u32_e32 vcc_lo, 0, v1
	v_lshlrev_b32_e32 v0, 8, v0
	v_cndmask_b32_e32 v124, 0, v0, vcc_lo
.LBB6_3369:                             ;   in Loop: Header=BB6_3222 Depth=4
	s_or_b32 exec_lo, exec_lo, s74
.LBB6_3370:                             ;   in Loop: Header=BB6_3222 Depth=4
	s_or_b32 exec_lo, exec_lo, s73
	v_and_b32_sdwa v1, v10, v40 dst_sel:DWORD dst_unused:UNUSED_PAD src0_sel:WORD_1 src1_sel:DWORD
	s_mov_b32 s16, 0
	s_mov_b32 s73, exec_lo
	v_cmpx_lt_i16_e32 0x7f, v1
	s_xor_b32 s73, exec_lo, s73
	s_cbranch_execz .LBB6_5424
; %bb.3371:                             ;   in Loop: Header=BB6_3222 Depth=4
	s_mov_b32 s16, -1
	s_mov_b32 s74, exec_lo
	v_cmpx_eq_u16_e32 0x80, v1
; %bb.3372:                             ;   in Loop: Header=BB6_3222 Depth=4
	s_xor_b32 s16, exec_lo, -1
; %bb.3373:                             ;   in Loop: Header=BB6_3222 Depth=4
	s_or_b32 exec_lo, exec_lo, s74
	s_and_b32 s16, s16, exec_lo
                                        ; implicit-def: $vgpr1
	s_or_saveexec_b32 s73, s73
	v_mov_b32_e32 v0, 0x7f800001
	s_xor_b32 exec_lo, exec_lo, s73
	s_cbranch_execnz .LBB6_5425
.LBB6_3374:                             ;   in Loop: Header=BB6_3222 Depth=4
	s_or_b32 exec_lo, exec_lo, s73
	s_and_saveexec_b32 s73, s16
	s_cbranch_execz .LBB6_3376
.LBB6_3375:                             ;   in Loop: Header=BB6_3222 Depth=4
	v_bfe_u32 v0, v10, 16, 2
	v_bfe_u32 v5, v10, 18, 5
	v_lshlrev_b32_e32 v6, 8, v10
	v_ffbh_u32_e32 v1, v0
	v_cmp_eq_u32_e32 vcc_lo, 0, v5
	v_min_u32_e32 v1, 32, v1
	v_subrev_nc_u32_e32 v4, 29, v1
	v_sub_nc_u32_e32 v1, 30, v1
	v_lshlrev_b32_sdwa v4, v4, v10 dst_sel:DWORD dst_unused:UNUSED_PAD src0_sel:DWORD src1_sel:WORD_1
	v_cndmask_b32_e32 v1, v5, v1, vcc_lo
	v_and_b32_e32 v4, 3, v4
	v_lshl_add_u32 v1, v1, 23, 0x37800000
	v_cndmask_b32_e32 v0, v0, v4, vcc_lo
	v_and_b32_e32 v4, 0x80000000, v6
	v_lshlrev_b32_e32 v0, 21, v0
	v_or3_b32 v0, v4, v1, v0
.LBB6_3376:                             ;   in Loop: Header=BB6_3222 Depth=4
	s_or_b32 exec_lo, exec_lo, s73
	v_mul_f32_e32 v0, s72, v0
	v_mov_b32_e32 v66, 0x80
	s_mov_b32 s73, exec_lo
	v_and_b32_e32 v1, 0x7f800000, v0
	v_cmpx_ne_u32_e32 0x7f800000, v1
	s_cbranch_execz .LBB6_3384
; %bb.3377:                             ;   in Loop: Header=BB6_3222 Depth=4
	v_mov_b32_e32 v66, 0
	s_mov_b32 s74, exec_lo
	v_cmpx_ne_u32_e32 0, v0
	s_cbranch_execz .LBB6_3383
; %bb.3378:                             ;   in Loop: Header=BB6_3222 Depth=4
	v_bfe_u32 v1, v0, 23, 8
	v_and_b32_e32 v4, 0x7fffff, v0
	v_sub_nc_u32_e32 v5, 0x70, v1
	v_cmp_gt_u32_e32 vcc_lo, 0x71, v1
	v_or_b32_e32 v6, 0x800000, v4
	v_cndmask_b32_e32 v5, 0, v5, vcc_lo
	v_cmp_eq_u32_e32 vcc_lo, 0, v1
	v_add_nc_u32_e32 v1, 0xffffff91, v1
	v_cndmask_b32_e64 v5, v5, 0x6f, vcc_lo
	v_cndmask_b32_e32 v4, v6, v4, vcc_lo
	v_cndmask_b32_e64 v1, v1, 0xffffff92, vcc_lo
	v_lshl_add_u32 v6, 0x200000, v5, -1
	v_lshrrev_b32_e32 v7, v5, v4
	v_lshlrev_b32_e64 v9, v5, 0x100000
	v_add_nc_u32_e32 v5, v5, v1
	v_and_b32_e32 v4, v6, v4
	v_bfe_u32 v8, v7, 21, 1
	v_cmp_eq_u32_e64 s16, v4, v9
	v_add_nc_u32_e32 v6, -1, v8
	v_cndmask_b32_e64 v4, 0, v6, s16
	v_lshrrev_b32_e32 v6, 23, v7
	s_mov_b32 s16, exec_lo
	v_add_nc_u32_e32 v4, v4, v7
	v_xor_b32_e32 v6, 1, v6
	v_and_b32_e32 v1, 0x1fffff, v4
	v_add_nc_u32_e32 v4, v1, v7
                                        ; implicit-def: $vgpr1
	v_cmpx_ne_u32_e64 v5, v6
	s_xor_b32 s16, exec_lo, s16
; %bb.3379:                             ;   in Loop: Header=BB6_3222 Depth=4
	v_cmp_lt_u32_e32 vcc_lo, 0xffffff, v4
	v_sub_nc_u32_e32 v1, v5, v6
	v_cndmask_b32_e64 v5, 0, 1, vcc_lo
	v_add_co_ci_u32_e64 v1, null, 0, v1, vcc_lo
	v_lshrrev_b32_e32 v4, v5, v4
; %bb.3380:                             ;   in Loop: Header=BB6_3222 Depth=4
	s_andn2_saveexec_b32 s16, s16
; %bb.3381:                             ;   in Loop: Header=BB6_3222 Depth=4
	v_bfe_u32 v1, v4, 23, 1
; %bb.3382:                             ;   in Loop: Header=BB6_3222 Depth=4
	s_or_b32 exec_lo, exec_lo, s16
	v_lshrrev_b32_e32 v4, 21, v4
	v_min_i32_e32 v5, 31, v1
	v_cmp_gt_i32_e32 vcc_lo, 32, v1
	v_and_b32_sdwa v0, v0, v117 dst_sel:DWORD dst_unused:UNUSED_PAD src0_sel:BYTE_3 src1_sel:DWORD
	v_lshlrev_b32_e32 v5, 2, v5
	v_cndmask_b32_e32 v4, 3, v4, vcc_lo
	v_and_b32_e32 v5, 0xfc, v5
	v_and_b32_e32 v6, 3, v4
	v_or_b32_e32 v1, v1, v4
	v_or3_b32 v0, v5, v0, v6
	v_cmp_ne_u32_e32 vcc_lo, 0, v1
	v_cndmask_b32_e32 v66, 0, v0, vcc_lo
.LBB6_3383:                             ;   in Loop: Header=BB6_3222 Depth=4
	s_or_b32 exec_lo, exec_lo, s74
.LBB6_3384:                             ;   in Loop: Header=BB6_3222 Depth=4
	s_or_b32 exec_lo, exec_lo, s73
	v_cmp_gt_i16_sdwa s73, v10, v116 src0_sel:BYTE_3 src1_sel:DWORD
	s_mov_b32 s16, 0
	s_and_saveexec_b32 s74, s73
	s_xor_b32 s73, exec_lo, s74
	s_cbranch_execz .LBB6_5426
; %bb.3385:                             ;   in Loop: Header=BB6_3222 Depth=4
	v_cmp_eq_u16_sdwa s75, v10, v117 src0_sel:BYTE_3 src1_sel:DWORD
	s_mov_b32 s16, -1
	s_and_saveexec_b32 s74, s75
; %bb.3386:                             ;   in Loop: Header=BB6_3222 Depth=4
	s_xor_b32 s16, exec_lo, -1
; %bb.3387:                             ;   in Loop: Header=BB6_3222 Depth=4
	s_or_b32 exec_lo, exec_lo, s74
	s_and_b32 s16, s16, exec_lo
	s_or_saveexec_b32 s73, s73
	v_mov_b32_e32 v0, 0x7f800001
	s_xor_b32 exec_lo, exec_lo, s73
	s_cbranch_execnz .LBB6_5427
.LBB6_3388:                             ;   in Loop: Header=BB6_3222 Depth=4
	s_or_b32 exec_lo, exec_lo, s73
	s_and_saveexec_b32 s73, s16
	s_cbranch_execz .LBB6_3390
.LBB6_3389:                             ;   in Loop: Header=BB6_3222 Depth=4
	v_bfe_u32 v0, v10, 24, 2
	v_bfe_u32 v5, v10, 26, 5
	v_ffbh_u32_e32 v1, v0
	v_cmp_eq_u32_e32 vcc_lo, 0, v5
	v_min_u32_e32 v1, 32, v1
	v_subrev_nc_u32_e32 v4, 29, v1
	v_sub_nc_u32_e32 v1, 30, v1
	v_lshlrev_b32_sdwa v4, v4, v10 dst_sel:DWORD dst_unused:UNUSED_PAD src0_sel:DWORD src1_sel:BYTE_3
	v_cndmask_b32_e32 v1, v5, v1, vcc_lo
	v_and_b32_e32 v4, 3, v4
	v_lshl_add_u32 v1, v1, 23, 0x37800000
	v_cndmask_b32_e32 v0, v0, v4, vcc_lo
	v_and_b32_e32 v4, 0x80000000, v10
	v_lshlrev_b32_e32 v0, 21, v0
	v_or3_b32 v0, v4, v1, v0
.LBB6_3390:                             ;   in Loop: Header=BB6_3222 Depth=4
	s_or_b32 exec_lo, exec_lo, s73
	v_mul_f32_e32 v0, s72, v0
	v_mov_b32_e32 v63, 0x8000
	s_mov_b32 s73, exec_lo
	v_and_b32_e32 v1, 0x7f800000, v0
	v_cmpx_ne_u32_e32 0x7f800000, v1
	s_cbranch_execz .LBB6_3398
; %bb.3391:                             ;   in Loop: Header=BB6_3222 Depth=4
	v_mov_b32_e32 v63, 0
	s_mov_b32 s74, exec_lo
	v_cmpx_ne_u32_e32 0, v0
	s_cbranch_execz .LBB6_3397
; %bb.3392:                             ;   in Loop: Header=BB6_3222 Depth=4
	v_bfe_u32 v1, v0, 23, 8
	v_and_b32_e32 v4, 0x7fffff, v0
	v_sub_nc_u32_e32 v5, 0x70, v1
	v_cmp_gt_u32_e32 vcc_lo, 0x71, v1
	v_or_b32_e32 v6, 0x800000, v4
	v_cndmask_b32_e32 v5, 0, v5, vcc_lo
	v_cmp_eq_u32_e32 vcc_lo, 0, v1
	v_add_nc_u32_e32 v1, 0xffffff91, v1
	v_cndmask_b32_e64 v5, v5, 0x6f, vcc_lo
	v_cndmask_b32_e32 v4, v6, v4, vcc_lo
	v_cndmask_b32_e64 v1, v1, 0xffffff92, vcc_lo
	v_lshl_add_u32 v6, 0x200000, v5, -1
	v_lshrrev_b32_e32 v7, v5, v4
	v_lshlrev_b32_e64 v9, v5, 0x100000
	v_add_nc_u32_e32 v5, v5, v1
	v_and_b32_e32 v4, v6, v4
	v_bfe_u32 v8, v7, 21, 1
	v_cmp_eq_u32_e64 s16, v4, v9
	v_add_nc_u32_e32 v6, -1, v8
	v_cndmask_b32_e64 v4, 0, v6, s16
	v_lshrrev_b32_e32 v6, 23, v7
	s_mov_b32 s16, exec_lo
	v_add_nc_u32_e32 v4, v4, v7
	v_xor_b32_e32 v6, 1, v6
	v_and_b32_e32 v1, 0x1fffff, v4
	v_add_nc_u32_e32 v4, v1, v7
                                        ; implicit-def: $vgpr1
	v_cmpx_ne_u32_e64 v5, v6
	s_xor_b32 s16, exec_lo, s16
; %bb.3393:                             ;   in Loop: Header=BB6_3222 Depth=4
	v_cmp_lt_u32_e32 vcc_lo, 0xffffff, v4
	v_sub_nc_u32_e32 v1, v5, v6
	v_cndmask_b32_e64 v5, 0, 1, vcc_lo
	v_add_co_ci_u32_e64 v1, null, 0, v1, vcc_lo
	v_lshrrev_b32_e32 v4, v5, v4
; %bb.3394:                             ;   in Loop: Header=BB6_3222 Depth=4
	s_andn2_saveexec_b32 s16, s16
; %bb.3395:                             ;   in Loop: Header=BB6_3222 Depth=4
	v_bfe_u32 v1, v4, 23, 1
; %bb.3396:                             ;   in Loop: Header=BB6_3222 Depth=4
	s_or_b32 exec_lo, exec_lo, s16
	v_lshrrev_b32_e32 v4, 21, v4
	v_min_i32_e32 v5, 31, v1
	v_cmp_gt_i32_e32 vcc_lo, 32, v1
	v_and_b32_sdwa v0, v0, v117 dst_sel:DWORD dst_unused:UNUSED_PAD src0_sel:BYTE_3 src1_sel:DWORD
	v_lshlrev_b32_e32 v5, 2, v5
	v_cndmask_b32_e32 v4, 3, v4, vcc_lo
	v_and_b32_e32 v5, 0xfc, v5
	v_and_b32_e32 v6, 3, v4
	v_or_b32_e32 v1, v1, v4
	v_or3_b32 v0, v0, v5, v6
	v_cmp_ne_u32_e32 vcc_lo, 0, v1
	v_lshlrev_b32_e32 v0, 8, v0
	v_cndmask_b32_e32 v63, 0, v0, vcc_lo
.LBB6_3397:                             ;   in Loop: Header=BB6_3222 Depth=4
	s_or_b32 exec_lo, exec_lo, s74
.LBB6_3398:                             ;   in Loop: Header=BB6_3222 Depth=4
	s_or_b32 exec_lo, exec_lo, s73
	v_cmp_gt_i16_sdwa s73, v11, v116 src0_sel:BYTE_0 src1_sel:DWORD
	s_mov_b32 s16, 0
	s_and_saveexec_b32 s74, s73
	s_xor_b32 s73, exec_lo, s74
	s_cbranch_execz .LBB6_5428
; %bb.3399:                             ;   in Loop: Header=BB6_3222 Depth=4
	v_cmp_eq_u16_sdwa s75, v11, v117 src0_sel:BYTE_0 src1_sel:DWORD
	s_mov_b32 s16, -1
	s_and_saveexec_b32 s74, s75
; %bb.3400:                             ;   in Loop: Header=BB6_3222 Depth=4
	s_xor_b32 s16, exec_lo, -1
; %bb.3401:                             ;   in Loop: Header=BB6_3222 Depth=4
	s_or_b32 exec_lo, exec_lo, s74
	s_and_b32 s16, s16, exec_lo
	s_or_saveexec_b32 s73, s73
	v_mov_b32_e32 v0, 0x7f800001
	s_xor_b32 exec_lo, exec_lo, s73
	s_cbranch_execnz .LBB6_5429
.LBB6_3402:                             ;   in Loop: Header=BB6_3222 Depth=4
	s_or_b32 exec_lo, exec_lo, s73
	s_and_saveexec_b32 s73, s16
	s_cbranch_execz .LBB6_3404
.LBB6_3403:                             ;   in Loop: Header=BB6_3222 Depth=4
	v_and_b32_e32 v0, 3, v11
	v_bfe_u32 v5, v11, 2, 5
	v_lshlrev_b32_e32 v6, 24, v11
	v_ffbh_u32_e32 v1, v0
	v_cmp_eq_u32_e32 vcc_lo, 0, v5
	v_min_u32_e32 v1, 32, v1
	v_subrev_nc_u32_e32 v4, 29, v1
	v_sub_nc_u32_e32 v1, 30, v1
	v_lshlrev_b32_e32 v4, v4, v11
	v_cndmask_b32_e32 v1, v5, v1, vcc_lo
	v_and_b32_e32 v4, 3, v4
	v_lshl_add_u32 v1, v1, 23, 0x37800000
	v_cndmask_b32_e32 v0, v0, v4, vcc_lo
	v_and_b32_e32 v4, 0x80000000, v6
	v_lshlrev_b32_e32 v0, 21, v0
	v_or3_b32 v0, v4, v1, v0
.LBB6_3404:                             ;   in Loop: Header=BB6_3222 Depth=4
	s_or_b32 exec_lo, exec_lo, s73
	v_mul_f32_e32 v0, s72, v0
	v_mov_b32_e32 v54, 0x80
	s_mov_b32 s73, exec_lo
	v_and_b32_e32 v1, 0x7f800000, v0
	v_cmpx_ne_u32_e32 0x7f800000, v1
	s_cbranch_execz .LBB6_3412
; %bb.3405:                             ;   in Loop: Header=BB6_3222 Depth=4
	v_mov_b32_e32 v54, 0
	s_mov_b32 s74, exec_lo
	v_cmpx_ne_u32_e32 0, v0
	s_cbranch_execz .LBB6_3411
; %bb.3406:                             ;   in Loop: Header=BB6_3222 Depth=4
	v_bfe_u32 v1, v0, 23, 8
	v_and_b32_e32 v4, 0x7fffff, v0
	v_sub_nc_u32_e32 v5, 0x70, v1
	v_cmp_gt_u32_e32 vcc_lo, 0x71, v1
	v_or_b32_e32 v6, 0x800000, v4
	v_cndmask_b32_e32 v5, 0, v5, vcc_lo
	v_cmp_eq_u32_e32 vcc_lo, 0, v1
	v_add_nc_u32_e32 v1, 0xffffff91, v1
	v_cndmask_b32_e64 v5, v5, 0x6f, vcc_lo
	v_cndmask_b32_e32 v4, v6, v4, vcc_lo
	v_cndmask_b32_e64 v1, v1, 0xffffff92, vcc_lo
	v_lshl_add_u32 v6, 0x200000, v5, -1
	v_lshrrev_b32_e32 v7, v5, v4
	v_lshlrev_b32_e64 v9, v5, 0x100000
	v_add_nc_u32_e32 v5, v5, v1
	v_and_b32_e32 v4, v6, v4
	v_bfe_u32 v8, v7, 21, 1
	v_cmp_eq_u32_e64 s16, v4, v9
	v_add_nc_u32_e32 v6, -1, v8
	v_cndmask_b32_e64 v4, 0, v6, s16
	v_lshrrev_b32_e32 v6, 23, v7
	s_mov_b32 s16, exec_lo
	v_add_nc_u32_e32 v4, v4, v7
	v_xor_b32_e32 v6, 1, v6
	v_and_b32_e32 v1, 0x1fffff, v4
	v_add_nc_u32_e32 v4, v1, v7
                                        ; implicit-def: $vgpr1
	v_cmpx_ne_u32_e64 v5, v6
	s_xor_b32 s16, exec_lo, s16
; %bb.3407:                             ;   in Loop: Header=BB6_3222 Depth=4
	v_cmp_lt_u32_e32 vcc_lo, 0xffffff, v4
	v_sub_nc_u32_e32 v1, v5, v6
	v_cndmask_b32_e64 v5, 0, 1, vcc_lo
	v_add_co_ci_u32_e64 v1, null, 0, v1, vcc_lo
	v_lshrrev_b32_e32 v4, v5, v4
; %bb.3408:                             ;   in Loop: Header=BB6_3222 Depth=4
	s_andn2_saveexec_b32 s16, s16
; %bb.3409:                             ;   in Loop: Header=BB6_3222 Depth=4
	v_bfe_u32 v1, v4, 23, 1
; %bb.3410:                             ;   in Loop: Header=BB6_3222 Depth=4
	s_or_b32 exec_lo, exec_lo, s16
	v_lshrrev_b32_e32 v4, 21, v4
	v_min_i32_e32 v5, 31, v1
	v_cmp_gt_i32_e32 vcc_lo, 32, v1
	v_and_b32_sdwa v0, v0, v117 dst_sel:DWORD dst_unused:UNUSED_PAD src0_sel:BYTE_3 src1_sel:DWORD
	v_lshlrev_b32_e32 v5, 2, v5
	v_cndmask_b32_e32 v4, 3, v4, vcc_lo
	v_and_b32_e32 v5, 0xfc, v5
	v_and_b32_e32 v6, 3, v4
	v_or_b32_e32 v1, v1, v4
	v_or3_b32 v0, v5, v0, v6
	v_cmp_ne_u32_e32 vcc_lo, 0, v1
	v_cndmask_b32_e32 v54, 0, v0, vcc_lo
.LBB6_3411:                             ;   in Loop: Header=BB6_3222 Depth=4
	s_or_b32 exec_lo, exec_lo, s74
.LBB6_3412:                             ;   in Loop: Header=BB6_3222 Depth=4
	s_or_b32 exec_lo, exec_lo, s73
	v_cmp_gt_i16_sdwa s73, v11, v116 src0_sel:BYTE_1 src1_sel:DWORD
	s_mov_b32 s16, 0
	s_and_saveexec_b32 s74, s73
	s_xor_b32 s73, exec_lo, s74
	s_cbranch_execz .LBB6_5430
; %bb.3413:                             ;   in Loop: Header=BB6_3222 Depth=4
	v_cmp_eq_u16_sdwa s75, v11, v117 src0_sel:BYTE_1 src1_sel:DWORD
	s_mov_b32 s16, -1
	s_and_saveexec_b32 s74, s75
; %bb.3414:                             ;   in Loop: Header=BB6_3222 Depth=4
	s_xor_b32 s16, exec_lo, -1
; %bb.3415:                             ;   in Loop: Header=BB6_3222 Depth=4
	s_or_b32 exec_lo, exec_lo, s74
	s_and_b32 s16, s16, exec_lo
	s_or_saveexec_b32 s73, s73
	v_mov_b32_e32 v0, 0x7f800001
	s_xor_b32 exec_lo, exec_lo, s73
	s_cbranch_execnz .LBB6_5431
.LBB6_3416:                             ;   in Loop: Header=BB6_3222 Depth=4
	s_or_b32 exec_lo, exec_lo, s73
	s_and_saveexec_b32 s73, s16
	s_cbranch_execz .LBB6_3418
.LBB6_3417:                             ;   in Loop: Header=BB6_3222 Depth=4
	v_and_b32_sdwa v0, v118, v11 dst_sel:DWORD dst_unused:UNUSED_PAD src0_sel:DWORD src1_sel:BYTE_1
	v_and_b32_e32 v1, 3, v0
	v_bfe_u32 v6, v0, 2, 5
	v_ffbh_u32_e32 v4, v1
	v_cmp_eq_u32_e32 vcc_lo, 0, v6
	v_min_u32_e32 v4, 32, v4
	v_subrev_nc_u32_e32 v5, 29, v4
	v_sub_nc_u32_e32 v4, 30, v4
	v_lshlrev_b32_e32 v0, v5, v0
	v_lshlrev_b32_sdwa v5, v119, v11 dst_sel:DWORD dst_unused:UNUSED_PAD src0_sel:DWORD src1_sel:BYTE_1
	v_cndmask_b32_e32 v4, v6, v4, vcc_lo
	v_and_b32_e32 v0, 3, v0
	v_lshl_add_u32 v4, v4, 23, 0x37800000
	v_cndmask_b32_e32 v0, v1, v0, vcc_lo
	v_and_b32_e32 v1, 0x80000000, v5
	v_lshlrev_b32_e32 v0, 21, v0
	v_or3_b32 v0, v1, v4, v0
.LBB6_3418:                             ;   in Loop: Header=BB6_3222 Depth=4
	s_or_b32 exec_lo, exec_lo, s73
	v_mul_f32_e32 v0, s72, v0
	v_mov_b32_e32 v41, 0x8000
	s_mov_b32 s73, exec_lo
	v_and_b32_e32 v1, 0x7f800000, v0
	v_cmpx_ne_u32_e32 0x7f800000, v1
	s_cbranch_execz .LBB6_3426
; %bb.3419:                             ;   in Loop: Header=BB6_3222 Depth=4
	v_mov_b32_e32 v41, 0
	s_mov_b32 s74, exec_lo
	v_cmpx_ne_u32_e32 0, v0
	s_cbranch_execz .LBB6_3425
; %bb.3420:                             ;   in Loop: Header=BB6_3222 Depth=4
	v_bfe_u32 v1, v0, 23, 8
	v_and_b32_e32 v4, 0x7fffff, v0
	v_sub_nc_u32_e32 v5, 0x70, v1
	v_cmp_gt_u32_e32 vcc_lo, 0x71, v1
	v_or_b32_e32 v6, 0x800000, v4
	v_cndmask_b32_e32 v5, 0, v5, vcc_lo
	v_cmp_eq_u32_e32 vcc_lo, 0, v1
	v_add_nc_u32_e32 v1, 0xffffff91, v1
	v_cndmask_b32_e64 v5, v5, 0x6f, vcc_lo
	v_cndmask_b32_e32 v4, v6, v4, vcc_lo
	v_cndmask_b32_e64 v1, v1, 0xffffff92, vcc_lo
	v_lshl_add_u32 v6, 0x200000, v5, -1
	v_lshrrev_b32_e32 v7, v5, v4
	v_lshlrev_b32_e64 v9, v5, 0x100000
	v_add_nc_u32_e32 v5, v5, v1
	v_and_b32_e32 v4, v6, v4
	v_bfe_u32 v8, v7, 21, 1
	v_cmp_eq_u32_e64 s16, v4, v9
	v_add_nc_u32_e32 v6, -1, v8
	v_cndmask_b32_e64 v4, 0, v6, s16
	v_lshrrev_b32_e32 v6, 23, v7
	s_mov_b32 s16, exec_lo
	v_add_nc_u32_e32 v4, v4, v7
	v_xor_b32_e32 v6, 1, v6
	v_and_b32_e32 v1, 0x1fffff, v4
	v_add_nc_u32_e32 v4, v1, v7
                                        ; implicit-def: $vgpr1
	v_cmpx_ne_u32_e64 v5, v6
	s_xor_b32 s16, exec_lo, s16
; %bb.3421:                             ;   in Loop: Header=BB6_3222 Depth=4
	v_cmp_lt_u32_e32 vcc_lo, 0xffffff, v4
	v_sub_nc_u32_e32 v1, v5, v6
	v_cndmask_b32_e64 v5, 0, 1, vcc_lo
	v_add_co_ci_u32_e64 v1, null, 0, v1, vcc_lo
	v_lshrrev_b32_e32 v4, v5, v4
; %bb.3422:                             ;   in Loop: Header=BB6_3222 Depth=4
	s_andn2_saveexec_b32 s16, s16
; %bb.3423:                             ;   in Loop: Header=BB6_3222 Depth=4
	v_bfe_u32 v1, v4, 23, 1
; %bb.3424:                             ;   in Loop: Header=BB6_3222 Depth=4
	s_or_b32 exec_lo, exec_lo, s16
	v_lshrrev_b32_e32 v4, 21, v4
	v_min_i32_e32 v5, 31, v1
	v_cmp_gt_i32_e32 vcc_lo, 32, v1
	v_and_b32_sdwa v0, v0, v117 dst_sel:DWORD dst_unused:UNUSED_PAD src0_sel:BYTE_3 src1_sel:DWORD
	v_lshlrev_b32_e32 v5, 2, v5
	v_cndmask_b32_e32 v4, 3, v4, vcc_lo
	v_and_b32_e32 v5, 0xfc, v5
	v_and_b32_e32 v6, 3, v4
	v_or_b32_e32 v1, v1, v4
	v_or3_b32 v0, v0, v5, v6
	v_cmp_ne_u32_e32 vcc_lo, 0, v1
	v_lshlrev_b32_e32 v0, 8, v0
	v_cndmask_b32_e32 v41, 0, v0, vcc_lo
.LBB6_3425:                             ;   in Loop: Header=BB6_3222 Depth=4
	s_or_b32 exec_lo, exec_lo, s74
.LBB6_3426:                             ;   in Loop: Header=BB6_3222 Depth=4
	s_or_b32 exec_lo, exec_lo, s73
	v_and_b32_sdwa v1, v11, v40 dst_sel:DWORD dst_unused:UNUSED_PAD src0_sel:WORD_1 src1_sel:DWORD
	s_mov_b32 s16, 0
	s_mov_b32 s73, exec_lo
	v_cmpx_lt_i16_e32 0x7f, v1
	s_xor_b32 s73, exec_lo, s73
	s_cbranch_execz .LBB6_5432
; %bb.3427:                             ;   in Loop: Header=BB6_3222 Depth=4
	s_mov_b32 s16, -1
	s_mov_b32 s74, exec_lo
	v_cmpx_eq_u16_e32 0x80, v1
; %bb.3428:                             ;   in Loop: Header=BB6_3222 Depth=4
	s_xor_b32 s16, exec_lo, -1
; %bb.3429:                             ;   in Loop: Header=BB6_3222 Depth=4
	s_or_b32 exec_lo, exec_lo, s74
	s_and_b32 s16, s16, exec_lo
                                        ; implicit-def: $vgpr1
	s_or_saveexec_b32 s73, s73
	v_mov_b32_e32 v0, 0x7f800001
	s_xor_b32 exec_lo, exec_lo, s73
	s_cbranch_execnz .LBB6_5433
.LBB6_3430:                             ;   in Loop: Header=BB6_3222 Depth=4
	s_or_b32 exec_lo, exec_lo, s73
	s_and_saveexec_b32 s73, s16
	s_cbranch_execz .LBB6_3432
.LBB6_3431:                             ;   in Loop: Header=BB6_3222 Depth=4
	v_bfe_u32 v0, v11, 16, 2
	v_bfe_u32 v5, v11, 18, 5
	v_lshlrev_b32_e32 v6, 8, v11
	v_ffbh_u32_e32 v1, v0
	v_cmp_eq_u32_e32 vcc_lo, 0, v5
	v_min_u32_e32 v1, 32, v1
	v_subrev_nc_u32_e32 v4, 29, v1
	v_sub_nc_u32_e32 v1, 30, v1
	v_lshlrev_b32_sdwa v4, v4, v11 dst_sel:DWORD dst_unused:UNUSED_PAD src0_sel:DWORD src1_sel:WORD_1
	v_cndmask_b32_e32 v1, v5, v1, vcc_lo
	v_and_b32_e32 v4, 3, v4
	v_lshl_add_u32 v1, v1, 23, 0x37800000
	v_cndmask_b32_e32 v0, v0, v4, vcc_lo
	v_and_b32_e32 v4, 0x80000000, v6
	v_lshlrev_b32_e32 v0, 21, v0
	v_or3_b32 v0, v4, v1, v0
.LBB6_3432:                             ;   in Loop: Header=BB6_3222 Depth=4
	s_or_b32 exec_lo, exec_lo, s73
	v_mul_f32_e32 v0, s72, v0
	v_mov_b32_e32 v58, 0x80
	s_mov_b32 s73, exec_lo
	v_and_b32_e32 v1, 0x7f800000, v0
	v_cmpx_ne_u32_e32 0x7f800000, v1
	s_cbranch_execz .LBB6_3440
; %bb.3433:                             ;   in Loop: Header=BB6_3222 Depth=4
	v_mov_b32_e32 v58, 0
	s_mov_b32 s74, exec_lo
	v_cmpx_ne_u32_e32 0, v0
	s_cbranch_execz .LBB6_3439
; %bb.3434:                             ;   in Loop: Header=BB6_3222 Depth=4
	v_bfe_u32 v1, v0, 23, 8
	v_and_b32_e32 v4, 0x7fffff, v0
	v_sub_nc_u32_e32 v5, 0x70, v1
	v_cmp_gt_u32_e32 vcc_lo, 0x71, v1
	v_or_b32_e32 v6, 0x800000, v4
	v_cndmask_b32_e32 v5, 0, v5, vcc_lo
	v_cmp_eq_u32_e32 vcc_lo, 0, v1
	v_add_nc_u32_e32 v1, 0xffffff91, v1
	v_cndmask_b32_e64 v5, v5, 0x6f, vcc_lo
	v_cndmask_b32_e32 v4, v6, v4, vcc_lo
	v_cndmask_b32_e64 v1, v1, 0xffffff92, vcc_lo
	v_lshl_add_u32 v6, 0x200000, v5, -1
	v_lshrrev_b32_e32 v7, v5, v4
	v_lshlrev_b32_e64 v9, v5, 0x100000
	v_add_nc_u32_e32 v5, v5, v1
	v_and_b32_e32 v4, v6, v4
	v_bfe_u32 v8, v7, 21, 1
	v_cmp_eq_u32_e64 s16, v4, v9
	v_add_nc_u32_e32 v6, -1, v8
	v_cndmask_b32_e64 v4, 0, v6, s16
	v_lshrrev_b32_e32 v6, 23, v7
	s_mov_b32 s16, exec_lo
	v_add_nc_u32_e32 v4, v4, v7
	v_xor_b32_e32 v6, 1, v6
	v_and_b32_e32 v1, 0x1fffff, v4
	v_add_nc_u32_e32 v4, v1, v7
                                        ; implicit-def: $vgpr1
	v_cmpx_ne_u32_e64 v5, v6
	s_xor_b32 s16, exec_lo, s16
; %bb.3435:                             ;   in Loop: Header=BB6_3222 Depth=4
	v_cmp_lt_u32_e32 vcc_lo, 0xffffff, v4
	v_sub_nc_u32_e32 v1, v5, v6
	v_cndmask_b32_e64 v5, 0, 1, vcc_lo
	v_add_co_ci_u32_e64 v1, null, 0, v1, vcc_lo
	v_lshrrev_b32_e32 v4, v5, v4
; %bb.3436:                             ;   in Loop: Header=BB6_3222 Depth=4
	s_andn2_saveexec_b32 s16, s16
; %bb.3437:                             ;   in Loop: Header=BB6_3222 Depth=4
	v_bfe_u32 v1, v4, 23, 1
; %bb.3438:                             ;   in Loop: Header=BB6_3222 Depth=4
	s_or_b32 exec_lo, exec_lo, s16
	v_lshrrev_b32_e32 v4, 21, v4
	v_min_i32_e32 v5, 31, v1
	v_cmp_gt_i32_e32 vcc_lo, 32, v1
	v_and_b32_sdwa v0, v0, v117 dst_sel:DWORD dst_unused:UNUSED_PAD src0_sel:BYTE_3 src1_sel:DWORD
	v_lshlrev_b32_e32 v5, 2, v5
	v_cndmask_b32_e32 v4, 3, v4, vcc_lo
	v_and_b32_e32 v5, 0xfc, v5
	v_and_b32_e32 v6, 3, v4
	v_or_b32_e32 v1, v1, v4
	v_or3_b32 v0, v5, v0, v6
	v_cmp_ne_u32_e32 vcc_lo, 0, v1
	v_cndmask_b32_e32 v58, 0, v0, vcc_lo
.LBB6_3439:                             ;   in Loop: Header=BB6_3222 Depth=4
	s_or_b32 exec_lo, exec_lo, s74
.LBB6_3440:                             ;   in Loop: Header=BB6_3222 Depth=4
	s_or_b32 exec_lo, exec_lo, s73
	v_cmp_gt_i16_sdwa s73, v11, v116 src0_sel:BYTE_3 src1_sel:DWORD
	s_mov_b32 s16, 0
	s_and_saveexec_b32 s74, s73
	s_xor_b32 s73, exec_lo, s74
	s_cbranch_execz .LBB6_5434
; %bb.3441:                             ;   in Loop: Header=BB6_3222 Depth=4
	v_cmp_eq_u16_sdwa s75, v11, v117 src0_sel:BYTE_3 src1_sel:DWORD
	s_mov_b32 s16, -1
	s_and_saveexec_b32 s74, s75
; %bb.3442:                             ;   in Loop: Header=BB6_3222 Depth=4
	s_xor_b32 s16, exec_lo, -1
; %bb.3443:                             ;   in Loop: Header=BB6_3222 Depth=4
	s_or_b32 exec_lo, exec_lo, s74
	s_and_b32 s16, s16, exec_lo
	s_or_saveexec_b32 s73, s73
	v_mov_b32_e32 v0, 0x7f800001
	s_xor_b32 exec_lo, exec_lo, s73
	s_cbranch_execnz .LBB6_5435
.LBB6_3444:                             ;   in Loop: Header=BB6_3222 Depth=4
	s_or_b32 exec_lo, exec_lo, s73
	s_and_saveexec_b32 s73, s16
	s_cbranch_execz .LBB6_3446
.LBB6_3445:                             ;   in Loop: Header=BB6_3222 Depth=4
	v_bfe_u32 v0, v11, 24, 2
	v_bfe_u32 v5, v11, 26, 5
	v_ffbh_u32_e32 v1, v0
	v_cmp_eq_u32_e32 vcc_lo, 0, v5
	v_min_u32_e32 v1, 32, v1
	v_subrev_nc_u32_e32 v4, 29, v1
	v_sub_nc_u32_e32 v1, 30, v1
	v_lshlrev_b32_sdwa v4, v4, v11 dst_sel:DWORD dst_unused:UNUSED_PAD src0_sel:DWORD src1_sel:BYTE_3
	v_cndmask_b32_e32 v1, v5, v1, vcc_lo
	v_and_b32_e32 v4, 3, v4
	v_lshl_add_u32 v1, v1, 23, 0x37800000
	v_cndmask_b32_e32 v0, v0, v4, vcc_lo
	v_and_b32_e32 v4, 0x80000000, v11
	v_lshlrev_b32_e32 v0, 21, v0
	v_or3_b32 v0, v4, v1, v0
.LBB6_3446:                             ;   in Loop: Header=BB6_3222 Depth=4
	s_or_b32 exec_lo, exec_lo, s73
	v_mul_f32_e32 v0, s72, v0
	v_mov_b32_e32 v62, 0x8000
	s_mov_b32 s73, exec_lo
	v_and_b32_e32 v1, 0x7f800000, v0
	v_cmpx_ne_u32_e32 0x7f800000, v1
	s_cbranch_execz .LBB6_3454
; %bb.3447:                             ;   in Loop: Header=BB6_3222 Depth=4
	v_mov_b32_e32 v62, 0
	s_mov_b32 s74, exec_lo
	v_cmpx_ne_u32_e32 0, v0
	s_cbranch_execz .LBB6_3453
; %bb.3448:                             ;   in Loop: Header=BB6_3222 Depth=4
	v_bfe_u32 v1, v0, 23, 8
	v_and_b32_e32 v4, 0x7fffff, v0
	v_sub_nc_u32_e32 v5, 0x70, v1
	v_cmp_gt_u32_e32 vcc_lo, 0x71, v1
	v_or_b32_e32 v6, 0x800000, v4
	v_cndmask_b32_e32 v5, 0, v5, vcc_lo
	v_cmp_eq_u32_e32 vcc_lo, 0, v1
	v_add_nc_u32_e32 v1, 0xffffff91, v1
	v_cndmask_b32_e64 v5, v5, 0x6f, vcc_lo
	v_cndmask_b32_e32 v4, v6, v4, vcc_lo
	v_cndmask_b32_e64 v1, v1, 0xffffff92, vcc_lo
	v_lshl_add_u32 v6, 0x200000, v5, -1
	v_lshrrev_b32_e32 v7, v5, v4
	v_lshlrev_b32_e64 v9, v5, 0x100000
	v_add_nc_u32_e32 v5, v5, v1
	v_and_b32_e32 v4, v6, v4
	v_bfe_u32 v8, v7, 21, 1
	v_cmp_eq_u32_e64 s16, v4, v9
	v_add_nc_u32_e32 v6, -1, v8
	v_cndmask_b32_e64 v4, 0, v6, s16
	v_lshrrev_b32_e32 v6, 23, v7
	s_mov_b32 s16, exec_lo
	v_add_nc_u32_e32 v4, v4, v7
	v_xor_b32_e32 v6, 1, v6
	v_and_b32_e32 v1, 0x1fffff, v4
	v_add_nc_u32_e32 v4, v1, v7
                                        ; implicit-def: $vgpr1
	v_cmpx_ne_u32_e64 v5, v6
	s_xor_b32 s16, exec_lo, s16
; %bb.3449:                             ;   in Loop: Header=BB6_3222 Depth=4
	v_cmp_lt_u32_e32 vcc_lo, 0xffffff, v4
	v_sub_nc_u32_e32 v1, v5, v6
	v_cndmask_b32_e64 v5, 0, 1, vcc_lo
	v_add_co_ci_u32_e64 v1, null, 0, v1, vcc_lo
	v_lshrrev_b32_e32 v4, v5, v4
; %bb.3450:                             ;   in Loop: Header=BB6_3222 Depth=4
	s_andn2_saveexec_b32 s16, s16
; %bb.3451:                             ;   in Loop: Header=BB6_3222 Depth=4
	v_bfe_u32 v1, v4, 23, 1
; %bb.3452:                             ;   in Loop: Header=BB6_3222 Depth=4
	s_or_b32 exec_lo, exec_lo, s16
	v_lshrrev_b32_e32 v4, 21, v4
	v_min_i32_e32 v5, 31, v1
	v_cmp_gt_i32_e32 vcc_lo, 32, v1
	v_and_b32_sdwa v0, v0, v117 dst_sel:DWORD dst_unused:UNUSED_PAD src0_sel:BYTE_3 src1_sel:DWORD
	v_lshlrev_b32_e32 v5, 2, v5
	v_cndmask_b32_e32 v4, 3, v4, vcc_lo
	v_and_b32_e32 v5, 0xfc, v5
	v_and_b32_e32 v6, 3, v4
	v_or_b32_e32 v1, v1, v4
	v_or3_b32 v0, v0, v5, v6
	v_cmp_ne_u32_e32 vcc_lo, 0, v1
	v_lshlrev_b32_e32 v0, 8, v0
	v_cndmask_b32_e32 v62, 0, v0, vcc_lo
.LBB6_3453:                             ;   in Loop: Header=BB6_3222 Depth=4
	s_or_b32 exec_lo, exec_lo, s74
.LBB6_3454:                             ;   in Loop: Header=BB6_3222 Depth=4
	s_or_b32 exec_lo, exec_lo, s73
	global_load_dwordx4 v[8:11], v[84:85], off offset:512 slc
	s_mov_b32 s16, 0
	s_waitcnt vmcnt(0)
	v_cmp_gt_i16_sdwa s73, v8, v116 src0_sel:BYTE_0 src1_sel:DWORD
	s_and_saveexec_b32 s74, s73
	s_xor_b32 s73, exec_lo, s74
	s_cbranch_execz .LBB6_5436
; %bb.3455:                             ;   in Loop: Header=BB6_3222 Depth=4
	v_cmp_eq_u16_sdwa s75, v8, v117 src0_sel:BYTE_0 src1_sel:DWORD
	s_mov_b32 s16, -1
	s_and_saveexec_b32 s74, s75
; %bb.3456:                             ;   in Loop: Header=BB6_3222 Depth=4
	s_xor_b32 s16, exec_lo, -1
; %bb.3457:                             ;   in Loop: Header=BB6_3222 Depth=4
	s_or_b32 exec_lo, exec_lo, s74
	s_and_b32 s16, s16, exec_lo
	s_or_saveexec_b32 s73, s73
	v_mov_b32_e32 v0, 0x7f800001
	s_xor_b32 exec_lo, exec_lo, s73
	s_cbranch_execnz .LBB6_5437
.LBB6_3458:                             ;   in Loop: Header=BB6_3222 Depth=4
	s_or_b32 exec_lo, exec_lo, s73
	s_and_saveexec_b32 s73, s16
	s_cbranch_execz .LBB6_3460
.LBB6_3459:                             ;   in Loop: Header=BB6_3222 Depth=4
	v_and_b32_e32 v0, 3, v8
	v_bfe_u32 v5, v8, 2, 5
	v_lshlrev_b32_e32 v6, 24, v8
	v_ffbh_u32_e32 v1, v0
	v_cmp_eq_u32_e32 vcc_lo, 0, v5
	v_min_u32_e32 v1, 32, v1
	v_subrev_nc_u32_e32 v4, 29, v1
	v_sub_nc_u32_e32 v1, 30, v1
	v_lshlrev_b32_e32 v4, v4, v8
	v_cndmask_b32_e32 v1, v5, v1, vcc_lo
	v_and_b32_e32 v4, 3, v4
	v_lshl_add_u32 v1, v1, 23, 0x37800000
	v_cndmask_b32_e32 v0, v0, v4, vcc_lo
	v_and_b32_e32 v4, 0x80000000, v6
	v_lshlrev_b32_e32 v0, 21, v0
	v_or3_b32 v0, v4, v1, v0
.LBB6_3460:                             ;   in Loop: Header=BB6_3222 Depth=4
	s_or_b32 exec_lo, exec_lo, s73
	v_mul_f32_e32 v1, s72, v0
	v_and_b32_e32 v0, 0x7f800000, v1
	v_cmp_ne_u32_e32 vcc_lo, 0x7f800000, v0
	v_mov_b32_e32 v0, 0x80
	s_and_saveexec_b32 s73, vcc_lo
	s_cbranch_execz .LBB6_3468
; %bb.3461:                             ;   in Loop: Header=BB6_3222 Depth=4
	v_mov_b32_e32 v0, 0
	s_mov_b32 s74, exec_lo
	v_cmpx_ne_u32_e32 0, v1
	s_cbranch_execz .LBB6_3467
; %bb.3462:                             ;   in Loop: Header=BB6_3222 Depth=4
	v_bfe_u32 v0, v1, 23, 8
	v_and_b32_e32 v4, 0x7fffff, v1
	v_sub_nc_u32_e32 v5, 0x70, v0
	v_cmp_gt_u32_e32 vcc_lo, 0x71, v0
	v_or_b32_e32 v6, 0x800000, v4
	v_cndmask_b32_e32 v5, 0, v5, vcc_lo
	v_cmp_eq_u32_e32 vcc_lo, 0, v0
	v_add_nc_u32_e32 v0, 0xffffff91, v0
	v_cndmask_b32_e64 v5, v5, 0x6f, vcc_lo
	v_cndmask_b32_e32 v4, v6, v4, vcc_lo
	v_cndmask_b32_e64 v0, v0, 0xffffff92, vcc_lo
	v_lshl_add_u32 v6, 0x200000, v5, -1
	v_lshrrev_b32_e32 v7, v5, v4
	v_lshlrev_b32_e64 v15, v5, 0x100000
	v_add_nc_u32_e32 v5, v5, v0
	v_and_b32_e32 v4, v6, v4
	v_bfe_u32 v14, v7, 21, 1
	v_cmp_eq_u32_e64 s16, v4, v15
	v_add_nc_u32_e32 v6, -1, v14
	v_cndmask_b32_e64 v4, 0, v6, s16
	v_lshrrev_b32_e32 v6, 23, v7
	s_mov_b32 s16, exec_lo
	v_add_nc_u32_e32 v4, v4, v7
	v_xor_b32_e32 v6, 1, v6
	v_and_b32_e32 v0, 0x1fffff, v4
	v_add_nc_u32_e32 v4, v0, v7
                                        ; implicit-def: $vgpr0
	v_cmpx_ne_u32_e64 v5, v6
	s_xor_b32 s16, exec_lo, s16
; %bb.3463:                             ;   in Loop: Header=BB6_3222 Depth=4
	v_cmp_lt_u32_e32 vcc_lo, 0xffffff, v4
	v_sub_nc_u32_e32 v0, v5, v6
	v_cndmask_b32_e64 v5, 0, 1, vcc_lo
	v_add_co_ci_u32_e64 v0, null, 0, v0, vcc_lo
	v_lshrrev_b32_e32 v4, v5, v4
; %bb.3464:                             ;   in Loop: Header=BB6_3222 Depth=4
	s_andn2_saveexec_b32 s16, s16
; %bb.3465:                             ;   in Loop: Header=BB6_3222 Depth=4
	v_bfe_u32 v0, v4, 23, 1
; %bb.3466:                             ;   in Loop: Header=BB6_3222 Depth=4
	s_or_b32 exec_lo, exec_lo, s16
	v_lshrrev_b32_e32 v4, 21, v4
	v_min_i32_e32 v5, 31, v0
	v_cmp_gt_i32_e32 vcc_lo, 32, v0
	v_and_b32_sdwa v1, v1, v117 dst_sel:DWORD dst_unused:UNUSED_PAD src0_sel:BYTE_3 src1_sel:DWORD
	v_lshlrev_b32_e32 v5, 2, v5
	v_cndmask_b32_e32 v4, 3, v4, vcc_lo
	v_and_b32_e32 v5, 0xfc, v5
	v_and_b32_e32 v6, 3, v4
	v_or_b32_e32 v0, v0, v4
	v_or3_b32 v1, v5, v1, v6
	v_cmp_ne_u32_e32 vcc_lo, 0, v0
	v_cndmask_b32_e32 v0, 0, v1, vcc_lo
.LBB6_3467:                             ;   in Loop: Header=BB6_3222 Depth=4
	s_or_b32 exec_lo, exec_lo, s74
.LBB6_3468:                             ;   in Loop: Header=BB6_3222 Depth=4
	s_or_b32 exec_lo, exec_lo, s73
	v_cmp_gt_i16_sdwa s73, v8, v116 src0_sel:BYTE_1 src1_sel:DWORD
	s_mov_b32 s16, 0
	s_and_saveexec_b32 s74, s73
	s_xor_b32 s73, exec_lo, s74
	s_cbranch_execz .LBB6_5438
; %bb.3469:                             ;   in Loop: Header=BB6_3222 Depth=4
	v_cmp_eq_u16_sdwa s75, v8, v117 src0_sel:BYTE_1 src1_sel:DWORD
	s_mov_b32 s16, -1
	s_and_saveexec_b32 s74, s75
; %bb.3470:                             ;   in Loop: Header=BB6_3222 Depth=4
	s_xor_b32 s16, exec_lo, -1
; %bb.3471:                             ;   in Loop: Header=BB6_3222 Depth=4
	s_or_b32 exec_lo, exec_lo, s74
	s_and_b32 s16, s16, exec_lo
	s_or_saveexec_b32 s73, s73
	v_mov_b32_e32 v1, 0x7f800001
	s_xor_b32 exec_lo, exec_lo, s73
	s_cbranch_execnz .LBB6_5439
.LBB6_3472:                             ;   in Loop: Header=BB6_3222 Depth=4
	s_or_b32 exec_lo, exec_lo, s73
	s_and_saveexec_b32 s73, s16
	s_cbranch_execz .LBB6_3474
.LBB6_3473:                             ;   in Loop: Header=BB6_3222 Depth=4
	v_and_b32_sdwa v1, v118, v8 dst_sel:DWORD dst_unused:UNUSED_PAD src0_sel:DWORD src1_sel:BYTE_1
	v_and_b32_e32 v4, 3, v1
	v_bfe_u32 v7, v1, 2, 5
	v_ffbh_u32_e32 v5, v4
	v_cmp_eq_u32_e32 vcc_lo, 0, v7
	v_min_u32_e32 v5, 32, v5
	v_subrev_nc_u32_e32 v6, 29, v5
	v_sub_nc_u32_e32 v5, 30, v5
	v_lshlrev_b32_e32 v1, v6, v1
	v_lshlrev_b32_sdwa v6, v119, v8 dst_sel:DWORD dst_unused:UNUSED_PAD src0_sel:DWORD src1_sel:BYTE_1
	v_cndmask_b32_e32 v5, v7, v5, vcc_lo
	v_and_b32_e32 v1, 3, v1
	v_lshl_add_u32 v5, v5, 23, 0x37800000
	v_cndmask_b32_e32 v1, v4, v1, vcc_lo
	v_and_b32_e32 v4, 0x80000000, v6
	v_lshlrev_b32_e32 v1, 21, v1
	v_or3_b32 v1, v4, v5, v1
.LBB6_3474:                             ;   in Loop: Header=BB6_3222 Depth=4
	s_or_b32 exec_lo, exec_lo, s73
	v_mul_f32_e32 v1, s72, v1
	v_mov_b32_e32 v56, 0x8000
	s_mov_b32 s73, exec_lo
	v_and_b32_e32 v4, 0x7f800000, v1
	v_cmpx_ne_u32_e32 0x7f800000, v4
	s_cbranch_execz .LBB6_3482
; %bb.3475:                             ;   in Loop: Header=BB6_3222 Depth=4
	v_mov_b32_e32 v56, 0
	s_mov_b32 s74, exec_lo
	v_cmpx_ne_u32_e32 0, v1
	s_cbranch_execz .LBB6_3481
; %bb.3476:                             ;   in Loop: Header=BB6_3222 Depth=4
	v_bfe_u32 v4, v1, 23, 8
	v_and_b32_e32 v5, 0x7fffff, v1
	v_sub_nc_u32_e32 v6, 0x70, v4
	v_cmp_gt_u32_e32 vcc_lo, 0x71, v4
	v_or_b32_e32 v7, 0x800000, v5
	v_cndmask_b32_e32 v6, 0, v6, vcc_lo
	v_cmp_eq_u32_e32 vcc_lo, 0, v4
	v_add_nc_u32_e32 v4, 0xffffff91, v4
	v_cndmask_b32_e64 v6, v6, 0x6f, vcc_lo
	v_cndmask_b32_e32 v5, v7, v5, vcc_lo
	v_cndmask_b32_e64 v4, v4, 0xffffff92, vcc_lo
	v_lshl_add_u32 v7, 0x200000, v6, -1
	v_lshrrev_b32_e32 v14, v6, v5
	v_lshlrev_b32_e64 v16, v6, 0x100000
	v_add_nc_u32_e32 v6, v6, v4
	v_and_b32_e32 v5, v7, v5
	v_bfe_u32 v15, v14, 21, 1
	v_cmp_eq_u32_e64 s16, v5, v16
	v_add_nc_u32_e32 v7, -1, v15
	v_cndmask_b32_e64 v5, 0, v7, s16
	v_lshrrev_b32_e32 v7, 23, v14
	s_mov_b32 s16, exec_lo
	v_add_nc_u32_e32 v5, v5, v14
	v_xor_b32_e32 v7, 1, v7
	v_and_b32_e32 v4, 0x1fffff, v5
	v_add_nc_u32_e32 v5, v4, v14
                                        ; implicit-def: $vgpr4
	v_cmpx_ne_u32_e64 v6, v7
	s_xor_b32 s16, exec_lo, s16
; %bb.3477:                             ;   in Loop: Header=BB6_3222 Depth=4
	v_cmp_lt_u32_e32 vcc_lo, 0xffffff, v5
	v_sub_nc_u32_e32 v4, v6, v7
	v_cndmask_b32_e64 v6, 0, 1, vcc_lo
	v_add_co_ci_u32_e64 v4, null, 0, v4, vcc_lo
	v_lshrrev_b32_e32 v5, v6, v5
; %bb.3478:                             ;   in Loop: Header=BB6_3222 Depth=4
	s_andn2_saveexec_b32 s16, s16
; %bb.3479:                             ;   in Loop: Header=BB6_3222 Depth=4
	v_bfe_u32 v4, v5, 23, 1
; %bb.3480:                             ;   in Loop: Header=BB6_3222 Depth=4
	s_or_b32 exec_lo, exec_lo, s16
	v_lshrrev_b32_e32 v5, 21, v5
	v_min_i32_e32 v6, 31, v4
	v_cmp_gt_i32_e32 vcc_lo, 32, v4
	v_and_b32_sdwa v1, v1, v117 dst_sel:DWORD dst_unused:UNUSED_PAD src0_sel:BYTE_3 src1_sel:DWORD
	v_lshlrev_b32_e32 v6, 2, v6
	v_cndmask_b32_e32 v5, 3, v5, vcc_lo
	v_and_b32_e32 v6, 0xfc, v6
	v_and_b32_e32 v7, 3, v5
	v_or_b32_e32 v4, v4, v5
	v_or3_b32 v1, v1, v6, v7
	v_cmp_ne_u32_e32 vcc_lo, 0, v4
	v_lshlrev_b32_e32 v1, 8, v1
	v_cndmask_b32_e32 v56, 0, v1, vcc_lo
.LBB6_3481:                             ;   in Loop: Header=BB6_3222 Depth=4
	s_or_b32 exec_lo, exec_lo, s74
.LBB6_3482:                             ;   in Loop: Header=BB6_3222 Depth=4
	s_or_b32 exec_lo, exec_lo, s73
	v_and_b32_sdwa v4, v8, v40 dst_sel:DWORD dst_unused:UNUSED_PAD src0_sel:WORD_1 src1_sel:DWORD
	s_mov_b32 s16, 0
	s_mov_b32 s73, exec_lo
	v_cmpx_lt_i16_e32 0x7f, v4
	s_xor_b32 s73, exec_lo, s73
	s_cbranch_execz .LBB6_5440
; %bb.3483:                             ;   in Loop: Header=BB6_3222 Depth=4
	s_mov_b32 s16, -1
	s_mov_b32 s74, exec_lo
	v_cmpx_eq_u16_e32 0x80, v4
; %bb.3484:                             ;   in Loop: Header=BB6_3222 Depth=4
	s_xor_b32 s16, exec_lo, -1
; %bb.3485:                             ;   in Loop: Header=BB6_3222 Depth=4
	s_or_b32 exec_lo, exec_lo, s74
	s_and_b32 s16, s16, exec_lo
                                        ; implicit-def: $vgpr4
	s_or_saveexec_b32 s73, s73
	v_mov_b32_e32 v1, 0x7f800001
	s_xor_b32 exec_lo, exec_lo, s73
	s_cbranch_execnz .LBB6_5441
.LBB6_3486:                             ;   in Loop: Header=BB6_3222 Depth=4
	s_or_b32 exec_lo, exec_lo, s73
	s_and_saveexec_b32 s73, s16
	s_cbranch_execz .LBB6_3488
.LBB6_3487:                             ;   in Loop: Header=BB6_3222 Depth=4
	v_bfe_u32 v1, v8, 16, 2
	v_bfe_u32 v6, v8, 18, 5
	v_lshlrev_b32_e32 v7, 8, v8
	v_ffbh_u32_e32 v4, v1
	v_cmp_eq_u32_e32 vcc_lo, 0, v6
	v_min_u32_e32 v4, 32, v4
	v_subrev_nc_u32_e32 v5, 29, v4
	v_sub_nc_u32_e32 v4, 30, v4
	v_lshlrev_b32_sdwa v5, v5, v8 dst_sel:DWORD dst_unused:UNUSED_PAD src0_sel:DWORD src1_sel:WORD_1
	v_cndmask_b32_e32 v4, v6, v4, vcc_lo
	v_and_b32_e32 v5, 3, v5
	v_lshl_add_u32 v4, v4, 23, 0x37800000
	v_cndmask_b32_e32 v1, v1, v5, vcc_lo
	v_and_b32_e32 v5, 0x80000000, v7
	v_lshlrev_b32_e32 v1, 21, v1
	v_or3_b32 v1, v5, v4, v1
.LBB6_3488:                             ;   in Loop: Header=BB6_3222 Depth=4
	s_or_b32 exec_lo, exec_lo, s73
	v_mul_f32_e32 v1, s72, v1
	v_mov_b32_e32 v73, 0x80
	s_mov_b32 s73, exec_lo
	v_and_b32_e32 v4, 0x7f800000, v1
	v_cmpx_ne_u32_e32 0x7f800000, v4
	s_cbranch_execz .LBB6_3496
; %bb.3489:                             ;   in Loop: Header=BB6_3222 Depth=4
	v_mov_b32_e32 v73, 0
	s_mov_b32 s74, exec_lo
	v_cmpx_ne_u32_e32 0, v1
	s_cbranch_execz .LBB6_3495
; %bb.3490:                             ;   in Loop: Header=BB6_3222 Depth=4
	v_bfe_u32 v4, v1, 23, 8
	v_and_b32_e32 v5, 0x7fffff, v1
	v_sub_nc_u32_e32 v6, 0x70, v4
	v_cmp_gt_u32_e32 vcc_lo, 0x71, v4
	v_or_b32_e32 v7, 0x800000, v5
	v_cndmask_b32_e32 v6, 0, v6, vcc_lo
	v_cmp_eq_u32_e32 vcc_lo, 0, v4
	v_add_nc_u32_e32 v4, 0xffffff91, v4
	v_cndmask_b32_e64 v6, v6, 0x6f, vcc_lo
	v_cndmask_b32_e32 v5, v7, v5, vcc_lo
	v_cndmask_b32_e64 v4, v4, 0xffffff92, vcc_lo
	v_lshl_add_u32 v7, 0x200000, v6, -1
	v_lshrrev_b32_e32 v14, v6, v5
	v_lshlrev_b32_e64 v16, v6, 0x100000
	v_add_nc_u32_e32 v6, v6, v4
	v_and_b32_e32 v5, v7, v5
	v_bfe_u32 v15, v14, 21, 1
	v_cmp_eq_u32_e64 s16, v5, v16
	v_add_nc_u32_e32 v7, -1, v15
	v_cndmask_b32_e64 v5, 0, v7, s16
	v_lshrrev_b32_e32 v7, 23, v14
	s_mov_b32 s16, exec_lo
	v_add_nc_u32_e32 v5, v5, v14
	v_xor_b32_e32 v7, 1, v7
	v_and_b32_e32 v4, 0x1fffff, v5
	v_add_nc_u32_e32 v5, v4, v14
                                        ; implicit-def: $vgpr4
	v_cmpx_ne_u32_e64 v6, v7
	s_xor_b32 s16, exec_lo, s16
; %bb.3491:                             ;   in Loop: Header=BB6_3222 Depth=4
	v_cmp_lt_u32_e32 vcc_lo, 0xffffff, v5
	v_sub_nc_u32_e32 v4, v6, v7
	v_cndmask_b32_e64 v6, 0, 1, vcc_lo
	v_add_co_ci_u32_e64 v4, null, 0, v4, vcc_lo
	v_lshrrev_b32_e32 v5, v6, v5
; %bb.3492:                             ;   in Loop: Header=BB6_3222 Depth=4
	s_andn2_saveexec_b32 s16, s16
; %bb.3493:                             ;   in Loop: Header=BB6_3222 Depth=4
	v_bfe_u32 v4, v5, 23, 1
; %bb.3494:                             ;   in Loop: Header=BB6_3222 Depth=4
	s_or_b32 exec_lo, exec_lo, s16
	v_lshrrev_b32_e32 v5, 21, v5
	v_min_i32_e32 v6, 31, v4
	v_cmp_gt_i32_e32 vcc_lo, 32, v4
	v_and_b32_sdwa v1, v1, v117 dst_sel:DWORD dst_unused:UNUSED_PAD src0_sel:BYTE_3 src1_sel:DWORD
	v_lshlrev_b32_e32 v6, 2, v6
	v_cndmask_b32_e32 v5, 3, v5, vcc_lo
	v_and_b32_e32 v6, 0xfc, v6
	v_and_b32_e32 v7, 3, v5
	v_or_b32_e32 v4, v4, v5
	v_or3_b32 v1, v6, v1, v7
	v_cmp_ne_u32_e32 vcc_lo, 0, v4
	v_cndmask_b32_e32 v73, 0, v1, vcc_lo
.LBB6_3495:                             ;   in Loop: Header=BB6_3222 Depth=4
	s_or_b32 exec_lo, exec_lo, s74
.LBB6_3496:                             ;   in Loop: Header=BB6_3222 Depth=4
	s_or_b32 exec_lo, exec_lo, s73
	v_cmp_gt_i16_sdwa s73, v8, v116 src0_sel:BYTE_3 src1_sel:DWORD
	s_mov_b32 s16, 0
	s_and_saveexec_b32 s74, s73
	s_xor_b32 s73, exec_lo, s74
	s_cbranch_execz .LBB6_5442
; %bb.3497:                             ;   in Loop: Header=BB6_3222 Depth=4
	v_cmp_eq_u16_sdwa s75, v8, v117 src0_sel:BYTE_3 src1_sel:DWORD
	s_mov_b32 s16, -1
	s_and_saveexec_b32 s74, s75
; %bb.3498:                             ;   in Loop: Header=BB6_3222 Depth=4
	s_xor_b32 s16, exec_lo, -1
; %bb.3499:                             ;   in Loop: Header=BB6_3222 Depth=4
	s_or_b32 exec_lo, exec_lo, s74
	s_and_b32 s16, s16, exec_lo
	s_or_saveexec_b32 s73, s73
	v_mov_b32_e32 v1, 0x7f800001
	s_xor_b32 exec_lo, exec_lo, s73
	s_cbranch_execnz .LBB6_5443
.LBB6_3500:                             ;   in Loop: Header=BB6_3222 Depth=4
	s_or_b32 exec_lo, exec_lo, s73
	s_and_saveexec_b32 s73, s16
	s_cbranch_execz .LBB6_3502
.LBB6_3501:                             ;   in Loop: Header=BB6_3222 Depth=4
	v_bfe_u32 v1, v8, 24, 2
	v_bfe_u32 v6, v8, 26, 5
	v_ffbh_u32_e32 v4, v1
	v_cmp_eq_u32_e32 vcc_lo, 0, v6
	v_min_u32_e32 v4, 32, v4
	v_subrev_nc_u32_e32 v5, 29, v4
	v_sub_nc_u32_e32 v4, 30, v4
	v_lshlrev_b32_sdwa v5, v5, v8 dst_sel:DWORD dst_unused:UNUSED_PAD src0_sel:DWORD src1_sel:BYTE_3
	v_cndmask_b32_e32 v4, v6, v4, vcc_lo
	v_and_b32_e32 v5, 3, v5
	v_lshl_add_u32 v4, v4, 23, 0x37800000
	v_cndmask_b32_e32 v1, v1, v5, vcc_lo
	v_and_b32_e32 v5, 0x80000000, v8
	v_lshlrev_b32_e32 v1, 21, v1
	v_or3_b32 v1, v5, v4, v1
.LBB6_3502:                             ;   in Loop: Header=BB6_3222 Depth=4
	s_or_b32 exec_lo, exec_lo, s73
	v_mul_f32_e32 v1, s72, v1
	v_mov_b32_e32 v59, 0x8000
	s_mov_b32 s73, exec_lo
	v_and_b32_e32 v4, 0x7f800000, v1
	v_cmpx_ne_u32_e32 0x7f800000, v4
	s_cbranch_execz .LBB6_3510
; %bb.3503:                             ;   in Loop: Header=BB6_3222 Depth=4
	v_mov_b32_e32 v59, 0
	s_mov_b32 s74, exec_lo
	v_cmpx_ne_u32_e32 0, v1
	s_cbranch_execz .LBB6_3509
; %bb.3504:                             ;   in Loop: Header=BB6_3222 Depth=4
	v_bfe_u32 v4, v1, 23, 8
	v_and_b32_e32 v5, 0x7fffff, v1
	v_sub_nc_u32_e32 v6, 0x70, v4
	v_cmp_gt_u32_e32 vcc_lo, 0x71, v4
	v_or_b32_e32 v7, 0x800000, v5
	v_cndmask_b32_e32 v6, 0, v6, vcc_lo
	v_cmp_eq_u32_e32 vcc_lo, 0, v4
	v_add_nc_u32_e32 v4, 0xffffff91, v4
	v_cndmask_b32_e64 v6, v6, 0x6f, vcc_lo
	v_cndmask_b32_e32 v5, v7, v5, vcc_lo
	v_cndmask_b32_e64 v4, v4, 0xffffff92, vcc_lo
	v_lshl_add_u32 v7, 0x200000, v6, -1
	v_lshrrev_b32_e32 v8, v6, v5
	v_lshlrev_b32_e64 v15, v6, 0x100000
	v_add_nc_u32_e32 v6, v6, v4
	v_and_b32_e32 v5, v7, v5
	v_bfe_u32 v14, v8, 21, 1
	v_cmp_eq_u32_e64 s16, v5, v15
	v_add_nc_u32_e32 v7, -1, v14
	v_cndmask_b32_e64 v5, 0, v7, s16
	v_lshrrev_b32_e32 v7, 23, v8
	s_mov_b32 s16, exec_lo
	v_add_nc_u32_e32 v5, v5, v8
	v_xor_b32_e32 v7, 1, v7
	v_and_b32_e32 v4, 0x1fffff, v5
	v_add_nc_u32_e32 v5, v4, v8
                                        ; implicit-def: $vgpr4
	v_cmpx_ne_u32_e64 v6, v7
	s_xor_b32 s16, exec_lo, s16
; %bb.3505:                             ;   in Loop: Header=BB6_3222 Depth=4
	v_cmp_lt_u32_e32 vcc_lo, 0xffffff, v5
	v_sub_nc_u32_e32 v4, v6, v7
	v_cndmask_b32_e64 v6, 0, 1, vcc_lo
	v_add_co_ci_u32_e64 v4, null, 0, v4, vcc_lo
	v_lshrrev_b32_e32 v5, v6, v5
; %bb.3506:                             ;   in Loop: Header=BB6_3222 Depth=4
	s_andn2_saveexec_b32 s16, s16
; %bb.3507:                             ;   in Loop: Header=BB6_3222 Depth=4
	v_bfe_u32 v4, v5, 23, 1
; %bb.3508:                             ;   in Loop: Header=BB6_3222 Depth=4
	s_or_b32 exec_lo, exec_lo, s16
	v_lshrrev_b32_e32 v5, 21, v5
	v_min_i32_e32 v6, 31, v4
	v_cmp_gt_i32_e32 vcc_lo, 32, v4
	v_and_b32_sdwa v1, v1, v117 dst_sel:DWORD dst_unused:UNUSED_PAD src0_sel:BYTE_3 src1_sel:DWORD
	v_lshlrev_b32_e32 v6, 2, v6
	v_cndmask_b32_e32 v5, 3, v5, vcc_lo
	v_and_b32_e32 v6, 0xfc, v6
	v_and_b32_e32 v7, 3, v5
	v_or_b32_e32 v4, v4, v5
	v_or3_b32 v1, v1, v6, v7
	v_cmp_ne_u32_e32 vcc_lo, 0, v4
	v_lshlrev_b32_e32 v1, 8, v1
	v_cndmask_b32_e32 v59, 0, v1, vcc_lo
.LBB6_3509:                             ;   in Loop: Header=BB6_3222 Depth=4
	s_or_b32 exec_lo, exec_lo, s74
.LBB6_3510:                             ;   in Loop: Header=BB6_3222 Depth=4
	s_or_b32 exec_lo, exec_lo, s73
	v_cmp_gt_i16_sdwa s73, v9, v116 src0_sel:BYTE_0 src1_sel:DWORD
	s_mov_b32 s16, 0
	s_and_saveexec_b32 s74, s73
	s_xor_b32 s73, exec_lo, s74
	s_cbranch_execz .LBB6_5444
; %bb.3511:                             ;   in Loop: Header=BB6_3222 Depth=4
	v_cmp_eq_u16_sdwa s75, v9, v117 src0_sel:BYTE_0 src1_sel:DWORD
	s_mov_b32 s16, -1
	s_and_saveexec_b32 s74, s75
; %bb.3512:                             ;   in Loop: Header=BB6_3222 Depth=4
	s_xor_b32 s16, exec_lo, -1
; %bb.3513:                             ;   in Loop: Header=BB6_3222 Depth=4
	s_or_b32 exec_lo, exec_lo, s74
	s_and_b32 s16, s16, exec_lo
	s_or_saveexec_b32 s73, s73
	v_mov_b32_e32 v1, 0x7f800001
	s_xor_b32 exec_lo, exec_lo, s73
	s_cbranch_execnz .LBB6_5445
.LBB6_3514:                             ;   in Loop: Header=BB6_3222 Depth=4
	s_or_b32 exec_lo, exec_lo, s73
	s_and_saveexec_b32 s73, s16
	s_cbranch_execz .LBB6_3516
.LBB6_3515:                             ;   in Loop: Header=BB6_3222 Depth=4
	v_and_b32_e32 v1, 3, v9
	v_bfe_u32 v6, v9, 2, 5
	v_lshlrev_b32_e32 v7, 24, v9
	v_ffbh_u32_e32 v4, v1
	v_cmp_eq_u32_e32 vcc_lo, 0, v6
	v_min_u32_e32 v4, 32, v4
	v_subrev_nc_u32_e32 v5, 29, v4
	v_sub_nc_u32_e32 v4, 30, v4
	v_lshlrev_b32_e32 v5, v5, v9
	v_cndmask_b32_e32 v4, v6, v4, vcc_lo
	v_and_b32_e32 v5, 3, v5
	v_lshl_add_u32 v4, v4, 23, 0x37800000
	v_cndmask_b32_e32 v1, v1, v5, vcc_lo
	v_and_b32_e32 v5, 0x80000000, v7
	v_lshlrev_b32_e32 v1, 21, v1
	v_or3_b32 v1, v5, v4, v1
.LBB6_3516:                             ;   in Loop: Header=BB6_3222 Depth=4
	s_or_b32 exec_lo, exec_lo, s73
	v_mul_f32_e32 v1, s72, v1
	v_mov_b32_e32 v61, 0x80
	s_mov_b32 s73, exec_lo
	v_and_b32_e32 v4, 0x7f800000, v1
	v_cmpx_ne_u32_e32 0x7f800000, v4
	s_cbranch_execz .LBB6_3524
; %bb.3517:                             ;   in Loop: Header=BB6_3222 Depth=4
	v_mov_b32_e32 v61, 0
	s_mov_b32 s74, exec_lo
	v_cmpx_ne_u32_e32 0, v1
	s_cbranch_execz .LBB6_3523
; %bb.3518:                             ;   in Loop: Header=BB6_3222 Depth=4
	v_bfe_u32 v4, v1, 23, 8
	v_and_b32_e32 v5, 0x7fffff, v1
	v_sub_nc_u32_e32 v6, 0x70, v4
	v_cmp_gt_u32_e32 vcc_lo, 0x71, v4
	v_or_b32_e32 v7, 0x800000, v5
	v_cndmask_b32_e32 v6, 0, v6, vcc_lo
	v_cmp_eq_u32_e32 vcc_lo, 0, v4
	v_add_nc_u32_e32 v4, 0xffffff91, v4
	v_cndmask_b32_e64 v6, v6, 0x6f, vcc_lo
	v_cndmask_b32_e32 v5, v7, v5, vcc_lo
	v_cndmask_b32_e64 v4, v4, 0xffffff92, vcc_lo
	v_lshl_add_u32 v7, 0x200000, v6, -1
	v_lshrrev_b32_e32 v8, v6, v5
	v_lshlrev_b32_e64 v15, v6, 0x100000
	v_add_nc_u32_e32 v6, v6, v4
	v_and_b32_e32 v5, v7, v5
	v_bfe_u32 v14, v8, 21, 1
	v_cmp_eq_u32_e64 s16, v5, v15
	v_add_nc_u32_e32 v7, -1, v14
	v_cndmask_b32_e64 v5, 0, v7, s16
	v_lshrrev_b32_e32 v7, 23, v8
	s_mov_b32 s16, exec_lo
	v_add_nc_u32_e32 v5, v5, v8
	v_xor_b32_e32 v7, 1, v7
	v_and_b32_e32 v4, 0x1fffff, v5
	v_add_nc_u32_e32 v5, v4, v8
                                        ; implicit-def: $vgpr4
	v_cmpx_ne_u32_e64 v6, v7
	s_xor_b32 s16, exec_lo, s16
; %bb.3519:                             ;   in Loop: Header=BB6_3222 Depth=4
	v_cmp_lt_u32_e32 vcc_lo, 0xffffff, v5
	v_sub_nc_u32_e32 v4, v6, v7
	v_cndmask_b32_e64 v6, 0, 1, vcc_lo
	v_add_co_ci_u32_e64 v4, null, 0, v4, vcc_lo
	v_lshrrev_b32_e32 v5, v6, v5
; %bb.3520:                             ;   in Loop: Header=BB6_3222 Depth=4
	s_andn2_saveexec_b32 s16, s16
; %bb.3521:                             ;   in Loop: Header=BB6_3222 Depth=4
	v_bfe_u32 v4, v5, 23, 1
; %bb.3522:                             ;   in Loop: Header=BB6_3222 Depth=4
	s_or_b32 exec_lo, exec_lo, s16
	v_lshrrev_b32_e32 v5, 21, v5
	v_min_i32_e32 v6, 31, v4
	v_cmp_gt_i32_e32 vcc_lo, 32, v4
	v_and_b32_sdwa v1, v1, v117 dst_sel:DWORD dst_unused:UNUSED_PAD src0_sel:BYTE_3 src1_sel:DWORD
	v_lshlrev_b32_e32 v6, 2, v6
	v_cndmask_b32_e32 v5, 3, v5, vcc_lo
	v_and_b32_e32 v6, 0xfc, v6
	v_and_b32_e32 v7, 3, v5
	v_or_b32_e32 v4, v4, v5
	v_or3_b32 v1, v6, v1, v7
	v_cmp_ne_u32_e32 vcc_lo, 0, v4
	v_cndmask_b32_e32 v61, 0, v1, vcc_lo
.LBB6_3523:                             ;   in Loop: Header=BB6_3222 Depth=4
	s_or_b32 exec_lo, exec_lo, s74
.LBB6_3524:                             ;   in Loop: Header=BB6_3222 Depth=4
	s_or_b32 exec_lo, exec_lo, s73
	v_cmp_gt_i16_sdwa s73, v9, v116 src0_sel:BYTE_1 src1_sel:DWORD
	s_mov_b32 s16, 0
	s_and_saveexec_b32 s74, s73
	s_xor_b32 s73, exec_lo, s74
	s_cbranch_execz .LBB6_5446
; %bb.3525:                             ;   in Loop: Header=BB6_3222 Depth=4
	v_cmp_eq_u16_sdwa s75, v9, v117 src0_sel:BYTE_1 src1_sel:DWORD
	s_mov_b32 s16, -1
	s_and_saveexec_b32 s74, s75
; %bb.3526:                             ;   in Loop: Header=BB6_3222 Depth=4
	s_xor_b32 s16, exec_lo, -1
; %bb.3527:                             ;   in Loop: Header=BB6_3222 Depth=4
	s_or_b32 exec_lo, exec_lo, s74
	s_and_b32 s16, s16, exec_lo
	s_or_saveexec_b32 s73, s73
	v_mov_b32_e32 v1, 0x7f800001
	s_xor_b32 exec_lo, exec_lo, s73
	s_cbranch_execnz .LBB6_5447
.LBB6_3528:                             ;   in Loop: Header=BB6_3222 Depth=4
	s_or_b32 exec_lo, exec_lo, s73
	s_and_saveexec_b32 s73, s16
	s_cbranch_execz .LBB6_3530
.LBB6_3529:                             ;   in Loop: Header=BB6_3222 Depth=4
	v_and_b32_sdwa v1, v118, v9 dst_sel:DWORD dst_unused:UNUSED_PAD src0_sel:DWORD src1_sel:BYTE_1
	v_and_b32_e32 v4, 3, v1
	v_bfe_u32 v7, v1, 2, 5
	v_ffbh_u32_e32 v5, v4
	v_cmp_eq_u32_e32 vcc_lo, 0, v7
	v_min_u32_e32 v5, 32, v5
	v_subrev_nc_u32_e32 v6, 29, v5
	v_sub_nc_u32_e32 v5, 30, v5
	v_lshlrev_b32_e32 v1, v6, v1
	v_lshlrev_b32_sdwa v6, v119, v9 dst_sel:DWORD dst_unused:UNUSED_PAD src0_sel:DWORD src1_sel:BYTE_1
	v_cndmask_b32_e32 v5, v7, v5, vcc_lo
	v_and_b32_e32 v1, 3, v1
	v_lshl_add_u32 v5, v5, 23, 0x37800000
	v_cndmask_b32_e32 v1, v4, v1, vcc_lo
	v_and_b32_e32 v4, 0x80000000, v6
	v_lshlrev_b32_e32 v1, 21, v1
	v_or3_b32 v1, v4, v5, v1
.LBB6_3530:                             ;   in Loop: Header=BB6_3222 Depth=4
	s_or_b32 exec_lo, exec_lo, s73
	v_mul_f32_e32 v1, s72, v1
	v_mov_b32_e32 v72, 0x8000
	s_mov_b32 s73, exec_lo
	v_and_b32_e32 v4, 0x7f800000, v1
	v_cmpx_ne_u32_e32 0x7f800000, v4
	s_cbranch_execz .LBB6_3538
; %bb.3531:                             ;   in Loop: Header=BB6_3222 Depth=4
	v_mov_b32_e32 v72, 0
	s_mov_b32 s74, exec_lo
	v_cmpx_ne_u32_e32 0, v1
	s_cbranch_execz .LBB6_3537
; %bb.3532:                             ;   in Loop: Header=BB6_3222 Depth=4
	v_bfe_u32 v4, v1, 23, 8
	v_and_b32_e32 v5, 0x7fffff, v1
	v_sub_nc_u32_e32 v6, 0x70, v4
	v_cmp_gt_u32_e32 vcc_lo, 0x71, v4
	v_or_b32_e32 v7, 0x800000, v5
	v_cndmask_b32_e32 v6, 0, v6, vcc_lo
	v_cmp_eq_u32_e32 vcc_lo, 0, v4
	v_add_nc_u32_e32 v4, 0xffffff91, v4
	v_cndmask_b32_e64 v6, v6, 0x6f, vcc_lo
	v_cndmask_b32_e32 v5, v7, v5, vcc_lo
	v_cndmask_b32_e64 v4, v4, 0xffffff92, vcc_lo
	v_lshl_add_u32 v7, 0x200000, v6, -1
	v_lshrrev_b32_e32 v8, v6, v5
	v_lshlrev_b32_e64 v15, v6, 0x100000
	v_add_nc_u32_e32 v6, v6, v4
	v_and_b32_e32 v5, v7, v5
	v_bfe_u32 v14, v8, 21, 1
	v_cmp_eq_u32_e64 s16, v5, v15
	v_add_nc_u32_e32 v7, -1, v14
	v_cndmask_b32_e64 v5, 0, v7, s16
	v_lshrrev_b32_e32 v7, 23, v8
	s_mov_b32 s16, exec_lo
	v_add_nc_u32_e32 v5, v5, v8
	v_xor_b32_e32 v7, 1, v7
	v_and_b32_e32 v4, 0x1fffff, v5
	v_add_nc_u32_e32 v5, v4, v8
                                        ; implicit-def: $vgpr4
	v_cmpx_ne_u32_e64 v6, v7
	s_xor_b32 s16, exec_lo, s16
; %bb.3533:                             ;   in Loop: Header=BB6_3222 Depth=4
	v_cmp_lt_u32_e32 vcc_lo, 0xffffff, v5
	v_sub_nc_u32_e32 v4, v6, v7
	v_cndmask_b32_e64 v6, 0, 1, vcc_lo
	v_add_co_ci_u32_e64 v4, null, 0, v4, vcc_lo
	v_lshrrev_b32_e32 v5, v6, v5
; %bb.3534:                             ;   in Loop: Header=BB6_3222 Depth=4
	s_andn2_saveexec_b32 s16, s16
; %bb.3535:                             ;   in Loop: Header=BB6_3222 Depth=4
	v_bfe_u32 v4, v5, 23, 1
; %bb.3536:                             ;   in Loop: Header=BB6_3222 Depth=4
	s_or_b32 exec_lo, exec_lo, s16
	v_lshrrev_b32_e32 v5, 21, v5
	v_min_i32_e32 v6, 31, v4
	v_cmp_gt_i32_e32 vcc_lo, 32, v4
	v_and_b32_sdwa v1, v1, v117 dst_sel:DWORD dst_unused:UNUSED_PAD src0_sel:BYTE_3 src1_sel:DWORD
	v_lshlrev_b32_e32 v6, 2, v6
	v_cndmask_b32_e32 v5, 3, v5, vcc_lo
	v_and_b32_e32 v6, 0xfc, v6
	v_and_b32_e32 v7, 3, v5
	v_or_b32_e32 v4, v4, v5
	v_or3_b32 v1, v1, v6, v7
	v_cmp_ne_u32_e32 vcc_lo, 0, v4
	v_lshlrev_b32_e32 v1, 8, v1
	v_cndmask_b32_e32 v72, 0, v1, vcc_lo
.LBB6_3537:                             ;   in Loop: Header=BB6_3222 Depth=4
	s_or_b32 exec_lo, exec_lo, s74
.LBB6_3538:                             ;   in Loop: Header=BB6_3222 Depth=4
	s_or_b32 exec_lo, exec_lo, s73
	v_and_b32_sdwa v4, v9, v40 dst_sel:DWORD dst_unused:UNUSED_PAD src0_sel:WORD_1 src1_sel:DWORD
	s_mov_b32 s16, 0
	s_mov_b32 s73, exec_lo
	v_cmpx_lt_i16_e32 0x7f, v4
	s_xor_b32 s73, exec_lo, s73
	s_cbranch_execz .LBB6_5448
; %bb.3539:                             ;   in Loop: Header=BB6_3222 Depth=4
	s_mov_b32 s16, -1
	s_mov_b32 s74, exec_lo
	v_cmpx_eq_u16_e32 0x80, v4
; %bb.3540:                             ;   in Loop: Header=BB6_3222 Depth=4
	s_xor_b32 s16, exec_lo, -1
; %bb.3541:                             ;   in Loop: Header=BB6_3222 Depth=4
	s_or_b32 exec_lo, exec_lo, s74
	s_and_b32 s16, s16, exec_lo
                                        ; implicit-def: $vgpr4
	s_or_saveexec_b32 s73, s73
	v_mov_b32_e32 v1, 0x7f800001
	s_xor_b32 exec_lo, exec_lo, s73
	s_cbranch_execnz .LBB6_5449
.LBB6_3542:                             ;   in Loop: Header=BB6_3222 Depth=4
	s_or_b32 exec_lo, exec_lo, s73
	s_and_saveexec_b32 s73, s16
	s_cbranch_execz .LBB6_3544
.LBB6_3543:                             ;   in Loop: Header=BB6_3222 Depth=4
	v_bfe_u32 v1, v9, 16, 2
	v_bfe_u32 v6, v9, 18, 5
	v_lshlrev_b32_e32 v7, 8, v9
	v_ffbh_u32_e32 v4, v1
	v_cmp_eq_u32_e32 vcc_lo, 0, v6
	v_min_u32_e32 v4, 32, v4
	v_subrev_nc_u32_e32 v5, 29, v4
	v_sub_nc_u32_e32 v4, 30, v4
	v_lshlrev_b32_sdwa v5, v5, v9 dst_sel:DWORD dst_unused:UNUSED_PAD src0_sel:DWORD src1_sel:WORD_1
	v_cndmask_b32_e32 v4, v6, v4, vcc_lo
	v_and_b32_e32 v5, 3, v5
	v_lshl_add_u32 v4, v4, 23, 0x37800000
	v_cndmask_b32_e32 v1, v1, v5, vcc_lo
	v_and_b32_e32 v5, 0x80000000, v7
	v_lshlrev_b32_e32 v1, 21, v1
	v_or3_b32 v1, v5, v4, v1
.LBB6_3544:                             ;   in Loop: Header=BB6_3222 Depth=4
	s_or_b32 exec_lo, exec_lo, s73
	v_mul_f32_e32 v1, s72, v1
	v_mov_b32_e32 v75, 0x80
	s_mov_b32 s73, exec_lo
	v_and_b32_e32 v4, 0x7f800000, v1
	v_cmpx_ne_u32_e32 0x7f800000, v4
	s_cbranch_execz .LBB6_3552
; %bb.3545:                             ;   in Loop: Header=BB6_3222 Depth=4
	v_mov_b32_e32 v75, 0
	s_mov_b32 s74, exec_lo
	v_cmpx_ne_u32_e32 0, v1
	s_cbranch_execz .LBB6_3551
; %bb.3546:                             ;   in Loop: Header=BB6_3222 Depth=4
	v_bfe_u32 v4, v1, 23, 8
	v_and_b32_e32 v5, 0x7fffff, v1
	v_sub_nc_u32_e32 v6, 0x70, v4
	v_cmp_gt_u32_e32 vcc_lo, 0x71, v4
	v_or_b32_e32 v7, 0x800000, v5
	v_cndmask_b32_e32 v6, 0, v6, vcc_lo
	v_cmp_eq_u32_e32 vcc_lo, 0, v4
	v_add_nc_u32_e32 v4, 0xffffff91, v4
	v_cndmask_b32_e64 v6, v6, 0x6f, vcc_lo
	v_cndmask_b32_e32 v5, v7, v5, vcc_lo
	v_cndmask_b32_e64 v4, v4, 0xffffff92, vcc_lo
	v_lshl_add_u32 v7, 0x200000, v6, -1
	v_lshrrev_b32_e32 v8, v6, v5
	v_lshlrev_b32_e64 v15, v6, 0x100000
	v_add_nc_u32_e32 v6, v6, v4
	v_and_b32_e32 v5, v7, v5
	v_bfe_u32 v14, v8, 21, 1
	v_cmp_eq_u32_e64 s16, v5, v15
	v_add_nc_u32_e32 v7, -1, v14
	v_cndmask_b32_e64 v5, 0, v7, s16
	v_lshrrev_b32_e32 v7, 23, v8
	s_mov_b32 s16, exec_lo
	v_add_nc_u32_e32 v5, v5, v8
	v_xor_b32_e32 v7, 1, v7
	v_and_b32_e32 v4, 0x1fffff, v5
	v_add_nc_u32_e32 v5, v4, v8
                                        ; implicit-def: $vgpr4
	v_cmpx_ne_u32_e64 v6, v7
	s_xor_b32 s16, exec_lo, s16
; %bb.3547:                             ;   in Loop: Header=BB6_3222 Depth=4
	v_cmp_lt_u32_e32 vcc_lo, 0xffffff, v5
	v_sub_nc_u32_e32 v4, v6, v7
	v_cndmask_b32_e64 v6, 0, 1, vcc_lo
	v_add_co_ci_u32_e64 v4, null, 0, v4, vcc_lo
	v_lshrrev_b32_e32 v5, v6, v5
; %bb.3548:                             ;   in Loop: Header=BB6_3222 Depth=4
	s_andn2_saveexec_b32 s16, s16
; %bb.3549:                             ;   in Loop: Header=BB6_3222 Depth=4
	v_bfe_u32 v4, v5, 23, 1
; %bb.3550:                             ;   in Loop: Header=BB6_3222 Depth=4
	s_or_b32 exec_lo, exec_lo, s16
	v_lshrrev_b32_e32 v5, 21, v5
	v_min_i32_e32 v6, 31, v4
	v_cmp_gt_i32_e32 vcc_lo, 32, v4
	v_and_b32_sdwa v1, v1, v117 dst_sel:DWORD dst_unused:UNUSED_PAD src0_sel:BYTE_3 src1_sel:DWORD
	v_lshlrev_b32_e32 v6, 2, v6
	v_cndmask_b32_e32 v5, 3, v5, vcc_lo
	v_and_b32_e32 v6, 0xfc, v6
	v_and_b32_e32 v7, 3, v5
	v_or_b32_e32 v4, v4, v5
	v_or3_b32 v1, v6, v1, v7
	v_cmp_ne_u32_e32 vcc_lo, 0, v4
	v_cndmask_b32_e32 v75, 0, v1, vcc_lo
.LBB6_3551:                             ;   in Loop: Header=BB6_3222 Depth=4
	s_or_b32 exec_lo, exec_lo, s74
.LBB6_3552:                             ;   in Loop: Header=BB6_3222 Depth=4
	s_or_b32 exec_lo, exec_lo, s73
	v_cmp_gt_i16_sdwa s73, v9, v116 src0_sel:BYTE_3 src1_sel:DWORD
	s_mov_b32 s16, 0
	s_and_saveexec_b32 s74, s73
	s_xor_b32 s73, exec_lo, s74
	s_cbranch_execz .LBB6_5450
; %bb.3553:                             ;   in Loop: Header=BB6_3222 Depth=4
	v_cmp_eq_u16_sdwa s75, v9, v117 src0_sel:BYTE_3 src1_sel:DWORD
	s_mov_b32 s16, -1
	s_and_saveexec_b32 s74, s75
; %bb.3554:                             ;   in Loop: Header=BB6_3222 Depth=4
	s_xor_b32 s16, exec_lo, -1
; %bb.3555:                             ;   in Loop: Header=BB6_3222 Depth=4
	s_or_b32 exec_lo, exec_lo, s74
	s_and_b32 s16, s16, exec_lo
	s_or_saveexec_b32 s73, s73
	v_mov_b32_e32 v1, 0x7f800001
	s_xor_b32 exec_lo, exec_lo, s73
	s_cbranch_execnz .LBB6_5451
.LBB6_3556:                             ;   in Loop: Header=BB6_3222 Depth=4
	s_or_b32 exec_lo, exec_lo, s73
	s_and_saveexec_b32 s73, s16
	s_cbranch_execz .LBB6_3558
.LBB6_3557:                             ;   in Loop: Header=BB6_3222 Depth=4
	v_bfe_u32 v1, v9, 24, 2
	v_bfe_u32 v6, v9, 26, 5
	v_ffbh_u32_e32 v4, v1
	v_cmp_eq_u32_e32 vcc_lo, 0, v6
	v_min_u32_e32 v4, 32, v4
	v_subrev_nc_u32_e32 v5, 29, v4
	v_sub_nc_u32_e32 v4, 30, v4
	v_lshlrev_b32_sdwa v5, v5, v9 dst_sel:DWORD dst_unused:UNUSED_PAD src0_sel:DWORD src1_sel:BYTE_3
	v_cndmask_b32_e32 v4, v6, v4, vcc_lo
	v_and_b32_e32 v5, 3, v5
	v_lshl_add_u32 v4, v4, 23, 0x37800000
	v_cndmask_b32_e32 v1, v1, v5, vcc_lo
	v_and_b32_e32 v5, 0x80000000, v9
	v_lshlrev_b32_e32 v1, 21, v1
	v_or3_b32 v1, v5, v4, v1
.LBB6_3558:                             ;   in Loop: Header=BB6_3222 Depth=4
	s_or_b32 exec_lo, exec_lo, s73
	v_mul_f32_e32 v1, s72, v1
	v_mov_b32_e32 v55, 0x8000
	s_mov_b32 s73, exec_lo
	v_and_b32_e32 v4, 0x7f800000, v1
	v_cmpx_ne_u32_e32 0x7f800000, v4
	s_cbranch_execz .LBB6_3566
; %bb.3559:                             ;   in Loop: Header=BB6_3222 Depth=4
	v_mov_b32_e32 v55, 0
	s_mov_b32 s74, exec_lo
	v_cmpx_ne_u32_e32 0, v1
	s_cbranch_execz .LBB6_3565
; %bb.3560:                             ;   in Loop: Header=BB6_3222 Depth=4
	v_bfe_u32 v4, v1, 23, 8
	v_and_b32_e32 v5, 0x7fffff, v1
	v_sub_nc_u32_e32 v6, 0x70, v4
	v_cmp_gt_u32_e32 vcc_lo, 0x71, v4
	v_or_b32_e32 v7, 0x800000, v5
	v_cndmask_b32_e32 v6, 0, v6, vcc_lo
	v_cmp_eq_u32_e32 vcc_lo, 0, v4
	v_add_nc_u32_e32 v4, 0xffffff91, v4
	v_cndmask_b32_e64 v6, v6, 0x6f, vcc_lo
	v_cndmask_b32_e32 v5, v7, v5, vcc_lo
	v_cndmask_b32_e64 v4, v4, 0xffffff92, vcc_lo
	v_lshl_add_u32 v7, 0x200000, v6, -1
	v_lshrrev_b32_e32 v8, v6, v5
	v_lshlrev_b32_e64 v14, v6, 0x100000
	v_add_nc_u32_e32 v6, v6, v4
	v_and_b32_e32 v5, v7, v5
	v_bfe_u32 v9, v8, 21, 1
	v_cmp_eq_u32_e64 s16, v5, v14
	v_add_nc_u32_e32 v7, -1, v9
	v_cndmask_b32_e64 v5, 0, v7, s16
	v_lshrrev_b32_e32 v7, 23, v8
	s_mov_b32 s16, exec_lo
	v_add_nc_u32_e32 v5, v5, v8
	v_xor_b32_e32 v7, 1, v7
	v_and_b32_e32 v4, 0x1fffff, v5
	v_add_nc_u32_e32 v5, v4, v8
                                        ; implicit-def: $vgpr4
	v_cmpx_ne_u32_e64 v6, v7
	s_xor_b32 s16, exec_lo, s16
; %bb.3561:                             ;   in Loop: Header=BB6_3222 Depth=4
	v_cmp_lt_u32_e32 vcc_lo, 0xffffff, v5
	v_sub_nc_u32_e32 v4, v6, v7
	v_cndmask_b32_e64 v6, 0, 1, vcc_lo
	v_add_co_ci_u32_e64 v4, null, 0, v4, vcc_lo
	v_lshrrev_b32_e32 v5, v6, v5
; %bb.3562:                             ;   in Loop: Header=BB6_3222 Depth=4
	s_andn2_saveexec_b32 s16, s16
; %bb.3563:                             ;   in Loop: Header=BB6_3222 Depth=4
	v_bfe_u32 v4, v5, 23, 1
; %bb.3564:                             ;   in Loop: Header=BB6_3222 Depth=4
	s_or_b32 exec_lo, exec_lo, s16
	v_lshrrev_b32_e32 v5, 21, v5
	v_min_i32_e32 v6, 31, v4
	v_cmp_gt_i32_e32 vcc_lo, 32, v4
	v_and_b32_sdwa v1, v1, v117 dst_sel:DWORD dst_unused:UNUSED_PAD src0_sel:BYTE_3 src1_sel:DWORD
	v_lshlrev_b32_e32 v6, 2, v6
	v_cndmask_b32_e32 v5, 3, v5, vcc_lo
	v_and_b32_e32 v6, 0xfc, v6
	v_and_b32_e32 v7, 3, v5
	v_or_b32_e32 v4, v4, v5
	v_or3_b32 v1, v1, v6, v7
	v_cmp_ne_u32_e32 vcc_lo, 0, v4
	v_lshlrev_b32_e32 v1, 8, v1
	v_cndmask_b32_e32 v55, 0, v1, vcc_lo
.LBB6_3565:                             ;   in Loop: Header=BB6_3222 Depth=4
	s_or_b32 exec_lo, exec_lo, s74
.LBB6_3566:                             ;   in Loop: Header=BB6_3222 Depth=4
	s_or_b32 exec_lo, exec_lo, s73
	v_cmp_gt_i16_sdwa s73, v10, v116 src0_sel:BYTE_0 src1_sel:DWORD
	s_mov_b32 s16, 0
	s_and_saveexec_b32 s74, s73
	s_xor_b32 s73, exec_lo, s74
	s_cbranch_execz .LBB6_5452
; %bb.3567:                             ;   in Loop: Header=BB6_3222 Depth=4
	v_cmp_eq_u16_sdwa s75, v10, v117 src0_sel:BYTE_0 src1_sel:DWORD
	s_mov_b32 s16, -1
	s_and_saveexec_b32 s74, s75
; %bb.3568:                             ;   in Loop: Header=BB6_3222 Depth=4
	s_xor_b32 s16, exec_lo, -1
; %bb.3569:                             ;   in Loop: Header=BB6_3222 Depth=4
	s_or_b32 exec_lo, exec_lo, s74
	s_and_b32 s16, s16, exec_lo
	s_or_saveexec_b32 s73, s73
	v_mov_b32_e32 v1, 0x7f800001
	s_xor_b32 exec_lo, exec_lo, s73
	s_cbranch_execnz .LBB6_5453
.LBB6_3570:                             ;   in Loop: Header=BB6_3222 Depth=4
	s_or_b32 exec_lo, exec_lo, s73
	s_and_saveexec_b32 s73, s16
	s_cbranch_execz .LBB6_3572
.LBB6_3571:                             ;   in Loop: Header=BB6_3222 Depth=4
	v_and_b32_e32 v1, 3, v10
	v_bfe_u32 v6, v10, 2, 5
	v_lshlrev_b32_e32 v7, 24, v10
	v_ffbh_u32_e32 v4, v1
	v_cmp_eq_u32_e32 vcc_lo, 0, v6
	v_min_u32_e32 v4, 32, v4
	v_subrev_nc_u32_e32 v5, 29, v4
	v_sub_nc_u32_e32 v4, 30, v4
	v_lshlrev_b32_e32 v5, v5, v10
	v_cndmask_b32_e32 v4, v6, v4, vcc_lo
	v_and_b32_e32 v5, 3, v5
	v_lshl_add_u32 v4, v4, 23, 0x37800000
	v_cndmask_b32_e32 v1, v1, v5, vcc_lo
	v_and_b32_e32 v5, 0x80000000, v7
	v_lshlrev_b32_e32 v1, 21, v1
	v_or3_b32 v1, v5, v4, v1
.LBB6_3572:                             ;   in Loop: Header=BB6_3222 Depth=4
	s_or_b32 exec_lo, exec_lo, s73
	v_mul_f32_e32 v1, s72, v1
	v_mov_b32_e32 v102, 0x80
	s_mov_b32 s73, exec_lo
	v_and_b32_e32 v4, 0x7f800000, v1
	v_cmpx_ne_u32_e32 0x7f800000, v4
	s_cbranch_execz .LBB6_3580
; %bb.3573:                             ;   in Loop: Header=BB6_3222 Depth=4
	v_mov_b32_e32 v102, 0
	s_mov_b32 s74, exec_lo
	v_cmpx_ne_u32_e32 0, v1
	s_cbranch_execz .LBB6_3579
; %bb.3574:                             ;   in Loop: Header=BB6_3222 Depth=4
	v_bfe_u32 v4, v1, 23, 8
	v_and_b32_e32 v5, 0x7fffff, v1
	v_sub_nc_u32_e32 v6, 0x70, v4
	v_cmp_gt_u32_e32 vcc_lo, 0x71, v4
	v_or_b32_e32 v7, 0x800000, v5
	v_cndmask_b32_e32 v6, 0, v6, vcc_lo
	v_cmp_eq_u32_e32 vcc_lo, 0, v4
	v_add_nc_u32_e32 v4, 0xffffff91, v4
	v_cndmask_b32_e64 v6, v6, 0x6f, vcc_lo
	v_cndmask_b32_e32 v5, v7, v5, vcc_lo
	v_cndmask_b32_e64 v4, v4, 0xffffff92, vcc_lo
	v_lshl_add_u32 v7, 0x200000, v6, -1
	v_lshrrev_b32_e32 v8, v6, v5
	v_lshlrev_b32_e64 v14, v6, 0x100000
	v_add_nc_u32_e32 v6, v6, v4
	v_and_b32_e32 v5, v7, v5
	v_bfe_u32 v9, v8, 21, 1
	v_cmp_eq_u32_e64 s16, v5, v14
	v_add_nc_u32_e32 v7, -1, v9
	v_cndmask_b32_e64 v5, 0, v7, s16
	v_lshrrev_b32_e32 v7, 23, v8
	s_mov_b32 s16, exec_lo
	v_add_nc_u32_e32 v5, v5, v8
	v_xor_b32_e32 v7, 1, v7
	v_and_b32_e32 v4, 0x1fffff, v5
	v_add_nc_u32_e32 v5, v4, v8
                                        ; implicit-def: $vgpr4
	v_cmpx_ne_u32_e64 v6, v7
	s_xor_b32 s16, exec_lo, s16
; %bb.3575:                             ;   in Loop: Header=BB6_3222 Depth=4
	v_cmp_lt_u32_e32 vcc_lo, 0xffffff, v5
	v_sub_nc_u32_e32 v4, v6, v7
	v_cndmask_b32_e64 v6, 0, 1, vcc_lo
	v_add_co_ci_u32_e64 v4, null, 0, v4, vcc_lo
	v_lshrrev_b32_e32 v5, v6, v5
; %bb.3576:                             ;   in Loop: Header=BB6_3222 Depth=4
	s_andn2_saveexec_b32 s16, s16
; %bb.3577:                             ;   in Loop: Header=BB6_3222 Depth=4
	v_bfe_u32 v4, v5, 23, 1
; %bb.3578:                             ;   in Loop: Header=BB6_3222 Depth=4
	s_or_b32 exec_lo, exec_lo, s16
	v_lshrrev_b32_e32 v5, 21, v5
	v_min_i32_e32 v6, 31, v4
	v_cmp_gt_i32_e32 vcc_lo, 32, v4
	v_and_b32_sdwa v1, v1, v117 dst_sel:DWORD dst_unused:UNUSED_PAD src0_sel:BYTE_3 src1_sel:DWORD
	v_lshlrev_b32_e32 v6, 2, v6
	v_cndmask_b32_e32 v5, 3, v5, vcc_lo
	v_and_b32_e32 v6, 0xfc, v6
	v_and_b32_e32 v7, 3, v5
	v_or_b32_e32 v4, v4, v5
	v_or3_b32 v1, v6, v1, v7
	v_cmp_ne_u32_e32 vcc_lo, 0, v4
	v_cndmask_b32_e32 v102, 0, v1, vcc_lo
.LBB6_3579:                             ;   in Loop: Header=BB6_3222 Depth=4
	s_or_b32 exec_lo, exec_lo, s74
.LBB6_3580:                             ;   in Loop: Header=BB6_3222 Depth=4
	s_or_b32 exec_lo, exec_lo, s73
	v_cmp_gt_i16_sdwa s73, v10, v116 src0_sel:BYTE_1 src1_sel:DWORD
	s_mov_b32 s16, 0
	s_and_saveexec_b32 s74, s73
	s_xor_b32 s73, exec_lo, s74
	s_cbranch_execz .LBB6_5454
; %bb.3581:                             ;   in Loop: Header=BB6_3222 Depth=4
	v_cmp_eq_u16_sdwa s75, v10, v117 src0_sel:BYTE_1 src1_sel:DWORD
	s_mov_b32 s16, -1
	s_and_saveexec_b32 s74, s75
; %bb.3582:                             ;   in Loop: Header=BB6_3222 Depth=4
	s_xor_b32 s16, exec_lo, -1
; %bb.3583:                             ;   in Loop: Header=BB6_3222 Depth=4
	s_or_b32 exec_lo, exec_lo, s74
	s_and_b32 s16, s16, exec_lo
	s_or_saveexec_b32 s73, s73
	v_mov_b32_e32 v1, 0x7f800001
	s_xor_b32 exec_lo, exec_lo, s73
	s_cbranch_execnz .LBB6_5455
.LBB6_3584:                             ;   in Loop: Header=BB6_3222 Depth=4
	s_or_b32 exec_lo, exec_lo, s73
	s_and_saveexec_b32 s73, s16
	s_cbranch_execz .LBB6_3586
.LBB6_3585:                             ;   in Loop: Header=BB6_3222 Depth=4
	v_and_b32_sdwa v1, v118, v10 dst_sel:DWORD dst_unused:UNUSED_PAD src0_sel:DWORD src1_sel:BYTE_1
	v_and_b32_e32 v4, 3, v1
	v_bfe_u32 v7, v1, 2, 5
	v_ffbh_u32_e32 v5, v4
	v_cmp_eq_u32_e32 vcc_lo, 0, v7
	v_min_u32_e32 v5, 32, v5
	v_subrev_nc_u32_e32 v6, 29, v5
	v_sub_nc_u32_e32 v5, 30, v5
	v_lshlrev_b32_e32 v1, v6, v1
	v_lshlrev_b32_sdwa v6, v119, v10 dst_sel:DWORD dst_unused:UNUSED_PAD src0_sel:DWORD src1_sel:BYTE_1
	v_cndmask_b32_e32 v5, v7, v5, vcc_lo
	v_and_b32_e32 v1, 3, v1
	v_lshl_add_u32 v5, v5, 23, 0x37800000
	v_cndmask_b32_e32 v1, v4, v1, vcc_lo
	v_and_b32_e32 v4, 0x80000000, v6
	v_lshlrev_b32_e32 v1, 21, v1
	v_or3_b32 v1, v4, v5, v1
.LBB6_3586:                             ;   in Loop: Header=BB6_3222 Depth=4
	s_or_b32 exec_lo, exec_lo, s73
	v_mul_f32_e32 v1, s72, v1
	v_mov_b32_e32 v74, 0x8000
	s_mov_b32 s73, exec_lo
	v_and_b32_e32 v4, 0x7f800000, v1
	v_cmpx_ne_u32_e32 0x7f800000, v4
	s_cbranch_execz .LBB6_3594
; %bb.3587:                             ;   in Loop: Header=BB6_3222 Depth=4
	v_mov_b32_e32 v74, 0
	s_mov_b32 s74, exec_lo
	v_cmpx_ne_u32_e32 0, v1
	s_cbranch_execz .LBB6_3593
; %bb.3588:                             ;   in Loop: Header=BB6_3222 Depth=4
	v_bfe_u32 v4, v1, 23, 8
	v_and_b32_e32 v5, 0x7fffff, v1
	v_sub_nc_u32_e32 v6, 0x70, v4
	v_cmp_gt_u32_e32 vcc_lo, 0x71, v4
	v_or_b32_e32 v7, 0x800000, v5
	v_cndmask_b32_e32 v6, 0, v6, vcc_lo
	v_cmp_eq_u32_e32 vcc_lo, 0, v4
	v_add_nc_u32_e32 v4, 0xffffff91, v4
	v_cndmask_b32_e64 v6, v6, 0x6f, vcc_lo
	v_cndmask_b32_e32 v5, v7, v5, vcc_lo
	v_cndmask_b32_e64 v4, v4, 0xffffff92, vcc_lo
	v_lshl_add_u32 v7, 0x200000, v6, -1
	v_lshrrev_b32_e32 v8, v6, v5
	v_lshlrev_b32_e64 v14, v6, 0x100000
	v_add_nc_u32_e32 v6, v6, v4
	v_and_b32_e32 v5, v7, v5
	v_bfe_u32 v9, v8, 21, 1
	v_cmp_eq_u32_e64 s16, v5, v14
	v_add_nc_u32_e32 v7, -1, v9
	v_cndmask_b32_e64 v5, 0, v7, s16
	v_lshrrev_b32_e32 v7, 23, v8
	s_mov_b32 s16, exec_lo
	v_add_nc_u32_e32 v5, v5, v8
	v_xor_b32_e32 v7, 1, v7
	v_and_b32_e32 v4, 0x1fffff, v5
	v_add_nc_u32_e32 v5, v4, v8
                                        ; implicit-def: $vgpr4
	v_cmpx_ne_u32_e64 v6, v7
	s_xor_b32 s16, exec_lo, s16
; %bb.3589:                             ;   in Loop: Header=BB6_3222 Depth=4
	v_cmp_lt_u32_e32 vcc_lo, 0xffffff, v5
	v_sub_nc_u32_e32 v4, v6, v7
	v_cndmask_b32_e64 v6, 0, 1, vcc_lo
	v_add_co_ci_u32_e64 v4, null, 0, v4, vcc_lo
	v_lshrrev_b32_e32 v5, v6, v5
; %bb.3590:                             ;   in Loop: Header=BB6_3222 Depth=4
	s_andn2_saveexec_b32 s16, s16
; %bb.3591:                             ;   in Loop: Header=BB6_3222 Depth=4
	v_bfe_u32 v4, v5, 23, 1
; %bb.3592:                             ;   in Loop: Header=BB6_3222 Depth=4
	s_or_b32 exec_lo, exec_lo, s16
	v_lshrrev_b32_e32 v5, 21, v5
	v_min_i32_e32 v6, 31, v4
	v_cmp_gt_i32_e32 vcc_lo, 32, v4
	v_and_b32_sdwa v1, v1, v117 dst_sel:DWORD dst_unused:UNUSED_PAD src0_sel:BYTE_3 src1_sel:DWORD
	v_lshlrev_b32_e32 v6, 2, v6
	v_cndmask_b32_e32 v5, 3, v5, vcc_lo
	v_and_b32_e32 v6, 0xfc, v6
	v_and_b32_e32 v7, 3, v5
	v_or_b32_e32 v4, v4, v5
	v_or3_b32 v1, v1, v6, v7
	v_cmp_ne_u32_e32 vcc_lo, 0, v4
	v_lshlrev_b32_e32 v1, 8, v1
	v_cndmask_b32_e32 v74, 0, v1, vcc_lo
.LBB6_3593:                             ;   in Loop: Header=BB6_3222 Depth=4
	s_or_b32 exec_lo, exec_lo, s74
.LBB6_3594:                             ;   in Loop: Header=BB6_3222 Depth=4
	s_or_b32 exec_lo, exec_lo, s73
	v_and_b32_sdwa v4, v10, v40 dst_sel:DWORD dst_unused:UNUSED_PAD src0_sel:WORD_1 src1_sel:DWORD
	s_mov_b32 s16, 0
	s_mov_b32 s73, exec_lo
	v_cmpx_lt_i16_e32 0x7f, v4
	s_xor_b32 s73, exec_lo, s73
	s_cbranch_execz .LBB6_5456
; %bb.3595:                             ;   in Loop: Header=BB6_3222 Depth=4
	s_mov_b32 s16, -1
	s_mov_b32 s74, exec_lo
	v_cmpx_eq_u16_e32 0x80, v4
; %bb.3596:                             ;   in Loop: Header=BB6_3222 Depth=4
	s_xor_b32 s16, exec_lo, -1
; %bb.3597:                             ;   in Loop: Header=BB6_3222 Depth=4
	s_or_b32 exec_lo, exec_lo, s74
	s_and_b32 s16, s16, exec_lo
                                        ; implicit-def: $vgpr4
	s_or_saveexec_b32 s73, s73
	v_mov_b32_e32 v1, 0x7f800001
	s_xor_b32 exec_lo, exec_lo, s73
	s_cbranch_execnz .LBB6_5457
.LBB6_3598:                             ;   in Loop: Header=BB6_3222 Depth=4
	s_or_b32 exec_lo, exec_lo, s73
	s_and_saveexec_b32 s73, s16
	s_cbranch_execz .LBB6_3600
.LBB6_3599:                             ;   in Loop: Header=BB6_3222 Depth=4
	v_bfe_u32 v1, v10, 16, 2
	v_bfe_u32 v6, v10, 18, 5
	v_lshlrev_b32_e32 v7, 8, v10
	v_ffbh_u32_e32 v4, v1
	v_cmp_eq_u32_e32 vcc_lo, 0, v6
	v_min_u32_e32 v4, 32, v4
	v_subrev_nc_u32_e32 v5, 29, v4
	v_sub_nc_u32_e32 v4, 30, v4
	v_lshlrev_b32_sdwa v5, v5, v10 dst_sel:DWORD dst_unused:UNUSED_PAD src0_sel:DWORD src1_sel:WORD_1
	v_cndmask_b32_e32 v4, v6, v4, vcc_lo
	v_and_b32_e32 v5, 3, v5
	v_lshl_add_u32 v4, v4, 23, 0x37800000
	v_cndmask_b32_e32 v1, v1, v5, vcc_lo
	v_and_b32_e32 v5, 0x80000000, v7
	v_lshlrev_b32_e32 v1, 21, v1
	v_or3_b32 v1, v5, v4, v1
.LBB6_3600:                             ;   in Loop: Header=BB6_3222 Depth=4
	s_or_b32 exec_lo, exec_lo, s73
	v_mul_f32_e32 v1, s72, v1
	v_mov_b32_e32 v57, 0x80
	s_mov_b32 s73, exec_lo
	v_and_b32_e32 v4, 0x7f800000, v1
	v_cmpx_ne_u32_e32 0x7f800000, v4
	s_cbranch_execz .LBB6_3608
; %bb.3601:                             ;   in Loop: Header=BB6_3222 Depth=4
	v_mov_b32_e32 v57, 0
	s_mov_b32 s74, exec_lo
	v_cmpx_ne_u32_e32 0, v1
	s_cbranch_execz .LBB6_3607
; %bb.3602:                             ;   in Loop: Header=BB6_3222 Depth=4
	v_bfe_u32 v4, v1, 23, 8
	v_and_b32_e32 v5, 0x7fffff, v1
	v_sub_nc_u32_e32 v6, 0x70, v4
	v_cmp_gt_u32_e32 vcc_lo, 0x71, v4
	v_or_b32_e32 v7, 0x800000, v5
	v_cndmask_b32_e32 v6, 0, v6, vcc_lo
	v_cmp_eq_u32_e32 vcc_lo, 0, v4
	v_add_nc_u32_e32 v4, 0xffffff91, v4
	v_cndmask_b32_e64 v6, v6, 0x6f, vcc_lo
	v_cndmask_b32_e32 v5, v7, v5, vcc_lo
	v_cndmask_b32_e64 v4, v4, 0xffffff92, vcc_lo
	v_lshl_add_u32 v7, 0x200000, v6, -1
	v_lshrrev_b32_e32 v8, v6, v5
	v_lshlrev_b32_e64 v14, v6, 0x100000
	v_add_nc_u32_e32 v6, v6, v4
	v_and_b32_e32 v5, v7, v5
	v_bfe_u32 v9, v8, 21, 1
	v_cmp_eq_u32_e64 s16, v5, v14
	v_add_nc_u32_e32 v7, -1, v9
	v_cndmask_b32_e64 v5, 0, v7, s16
	v_lshrrev_b32_e32 v7, 23, v8
	s_mov_b32 s16, exec_lo
	v_add_nc_u32_e32 v5, v5, v8
	v_xor_b32_e32 v7, 1, v7
	v_and_b32_e32 v4, 0x1fffff, v5
	v_add_nc_u32_e32 v5, v4, v8
                                        ; implicit-def: $vgpr4
	v_cmpx_ne_u32_e64 v6, v7
	s_xor_b32 s16, exec_lo, s16
; %bb.3603:                             ;   in Loop: Header=BB6_3222 Depth=4
	v_cmp_lt_u32_e32 vcc_lo, 0xffffff, v5
	v_sub_nc_u32_e32 v4, v6, v7
	v_cndmask_b32_e64 v6, 0, 1, vcc_lo
	v_add_co_ci_u32_e64 v4, null, 0, v4, vcc_lo
	v_lshrrev_b32_e32 v5, v6, v5
; %bb.3604:                             ;   in Loop: Header=BB6_3222 Depth=4
	s_andn2_saveexec_b32 s16, s16
; %bb.3605:                             ;   in Loop: Header=BB6_3222 Depth=4
	v_bfe_u32 v4, v5, 23, 1
; %bb.3606:                             ;   in Loop: Header=BB6_3222 Depth=4
	s_or_b32 exec_lo, exec_lo, s16
	v_lshrrev_b32_e32 v5, 21, v5
	v_min_i32_e32 v6, 31, v4
	v_cmp_gt_i32_e32 vcc_lo, 32, v4
	v_and_b32_sdwa v1, v1, v117 dst_sel:DWORD dst_unused:UNUSED_PAD src0_sel:BYTE_3 src1_sel:DWORD
	v_lshlrev_b32_e32 v6, 2, v6
	v_cndmask_b32_e32 v5, 3, v5, vcc_lo
	v_and_b32_e32 v6, 0xfc, v6
	v_and_b32_e32 v7, 3, v5
	v_or_b32_e32 v4, v4, v5
	v_or3_b32 v1, v6, v1, v7
	v_cmp_ne_u32_e32 vcc_lo, 0, v4
	v_cndmask_b32_e32 v57, 0, v1, vcc_lo
.LBB6_3607:                             ;   in Loop: Header=BB6_3222 Depth=4
	s_or_b32 exec_lo, exec_lo, s74
.LBB6_3608:                             ;   in Loop: Header=BB6_3222 Depth=4
	s_or_b32 exec_lo, exec_lo, s73
	v_cmp_gt_i16_sdwa s73, v10, v116 src0_sel:BYTE_3 src1_sel:DWORD
	s_mov_b32 s16, 0
	s_and_saveexec_b32 s74, s73
	s_xor_b32 s73, exec_lo, s74
	s_cbranch_execz .LBB6_5458
; %bb.3609:                             ;   in Loop: Header=BB6_3222 Depth=4
	v_cmp_eq_u16_sdwa s75, v10, v117 src0_sel:BYTE_3 src1_sel:DWORD
	s_mov_b32 s16, -1
	s_and_saveexec_b32 s74, s75
; %bb.3610:                             ;   in Loop: Header=BB6_3222 Depth=4
	s_xor_b32 s16, exec_lo, -1
; %bb.3611:                             ;   in Loop: Header=BB6_3222 Depth=4
	s_or_b32 exec_lo, exec_lo, s74
	s_and_b32 s16, s16, exec_lo
	s_or_saveexec_b32 s73, s73
	v_mov_b32_e32 v1, 0x7f800001
	s_xor_b32 exec_lo, exec_lo, s73
	s_cbranch_execnz .LBB6_5459
.LBB6_3612:                             ;   in Loop: Header=BB6_3222 Depth=4
	s_or_b32 exec_lo, exec_lo, s73
	s_and_saveexec_b32 s73, s16
	s_cbranch_execz .LBB6_3614
.LBB6_3613:                             ;   in Loop: Header=BB6_3222 Depth=4
	v_bfe_u32 v1, v10, 24, 2
	v_bfe_u32 v6, v10, 26, 5
	v_ffbh_u32_e32 v4, v1
	v_cmp_eq_u32_e32 vcc_lo, 0, v6
	v_min_u32_e32 v4, 32, v4
	v_subrev_nc_u32_e32 v5, 29, v4
	v_sub_nc_u32_e32 v4, 30, v4
	v_lshlrev_b32_sdwa v5, v5, v10 dst_sel:DWORD dst_unused:UNUSED_PAD src0_sel:DWORD src1_sel:BYTE_3
	v_cndmask_b32_e32 v4, v6, v4, vcc_lo
	v_and_b32_e32 v5, 3, v5
	v_lshl_add_u32 v4, v4, 23, 0x37800000
	v_cndmask_b32_e32 v1, v1, v5, vcc_lo
	v_and_b32_e32 v5, 0x80000000, v10
	v_lshlrev_b32_e32 v1, 21, v1
	v_or3_b32 v1, v5, v4, v1
.LBB6_3614:                             ;   in Loop: Header=BB6_3222 Depth=4
	s_or_b32 exec_lo, exec_lo, s73
	v_mul_f32_e32 v1, s72, v1
	v_mov_b32_e32 v43, 0x8000
	s_mov_b32 s73, exec_lo
	v_and_b32_e32 v4, 0x7f800000, v1
	v_cmpx_ne_u32_e32 0x7f800000, v4
	s_cbranch_execz .LBB6_3622
; %bb.3615:                             ;   in Loop: Header=BB6_3222 Depth=4
	v_mov_b32_e32 v43, 0
	s_mov_b32 s74, exec_lo
	v_cmpx_ne_u32_e32 0, v1
	s_cbranch_execz .LBB6_3621
; %bb.3616:                             ;   in Loop: Header=BB6_3222 Depth=4
	v_bfe_u32 v4, v1, 23, 8
	v_and_b32_e32 v5, 0x7fffff, v1
	v_sub_nc_u32_e32 v6, 0x70, v4
	v_cmp_gt_u32_e32 vcc_lo, 0x71, v4
	v_or_b32_e32 v7, 0x800000, v5
	v_cndmask_b32_e32 v6, 0, v6, vcc_lo
	v_cmp_eq_u32_e32 vcc_lo, 0, v4
	v_add_nc_u32_e32 v4, 0xffffff91, v4
	v_cndmask_b32_e64 v6, v6, 0x6f, vcc_lo
	v_cndmask_b32_e32 v5, v7, v5, vcc_lo
	v_cndmask_b32_e64 v4, v4, 0xffffff92, vcc_lo
	v_lshl_add_u32 v7, 0x200000, v6, -1
	v_lshrrev_b32_e32 v8, v6, v5
	v_lshlrev_b32_e64 v10, v6, 0x100000
	v_add_nc_u32_e32 v6, v6, v4
	v_and_b32_e32 v5, v7, v5
	v_bfe_u32 v9, v8, 21, 1
	v_cmp_eq_u32_e64 s16, v5, v10
	v_add_nc_u32_e32 v7, -1, v9
	v_cndmask_b32_e64 v5, 0, v7, s16
	v_lshrrev_b32_e32 v7, 23, v8
	s_mov_b32 s16, exec_lo
	v_add_nc_u32_e32 v5, v5, v8
	v_xor_b32_e32 v7, 1, v7
	v_and_b32_e32 v4, 0x1fffff, v5
	v_add_nc_u32_e32 v5, v4, v8
                                        ; implicit-def: $vgpr4
	v_cmpx_ne_u32_e64 v6, v7
	s_xor_b32 s16, exec_lo, s16
; %bb.3617:                             ;   in Loop: Header=BB6_3222 Depth=4
	v_cmp_lt_u32_e32 vcc_lo, 0xffffff, v5
	v_sub_nc_u32_e32 v4, v6, v7
	v_cndmask_b32_e64 v6, 0, 1, vcc_lo
	v_add_co_ci_u32_e64 v4, null, 0, v4, vcc_lo
	v_lshrrev_b32_e32 v5, v6, v5
; %bb.3618:                             ;   in Loop: Header=BB6_3222 Depth=4
	s_andn2_saveexec_b32 s16, s16
; %bb.3619:                             ;   in Loop: Header=BB6_3222 Depth=4
	v_bfe_u32 v4, v5, 23, 1
; %bb.3620:                             ;   in Loop: Header=BB6_3222 Depth=4
	s_or_b32 exec_lo, exec_lo, s16
	v_lshrrev_b32_e32 v5, 21, v5
	v_min_i32_e32 v6, 31, v4
	v_cmp_gt_i32_e32 vcc_lo, 32, v4
	v_and_b32_sdwa v1, v1, v117 dst_sel:DWORD dst_unused:UNUSED_PAD src0_sel:BYTE_3 src1_sel:DWORD
	v_lshlrev_b32_e32 v6, 2, v6
	v_cndmask_b32_e32 v5, 3, v5, vcc_lo
	v_and_b32_e32 v6, 0xfc, v6
	v_and_b32_e32 v7, 3, v5
	v_or_b32_e32 v4, v4, v5
	v_or3_b32 v1, v1, v6, v7
	v_cmp_ne_u32_e32 vcc_lo, 0, v4
	v_lshlrev_b32_e32 v1, 8, v1
	v_cndmask_b32_e32 v43, 0, v1, vcc_lo
.LBB6_3621:                             ;   in Loop: Header=BB6_3222 Depth=4
	s_or_b32 exec_lo, exec_lo, s74
.LBB6_3622:                             ;   in Loop: Header=BB6_3222 Depth=4
	s_or_b32 exec_lo, exec_lo, s73
	v_cmp_gt_i16_sdwa s73, v11, v116 src0_sel:BYTE_0 src1_sel:DWORD
	s_mov_b32 s16, 0
	s_and_saveexec_b32 s74, s73
	s_xor_b32 s73, exec_lo, s74
	s_cbranch_execz .LBB6_5460
; %bb.3623:                             ;   in Loop: Header=BB6_3222 Depth=4
	v_cmp_eq_u16_sdwa s75, v11, v117 src0_sel:BYTE_0 src1_sel:DWORD
	s_mov_b32 s16, -1
	s_and_saveexec_b32 s74, s75
; %bb.3624:                             ;   in Loop: Header=BB6_3222 Depth=4
	s_xor_b32 s16, exec_lo, -1
; %bb.3625:                             ;   in Loop: Header=BB6_3222 Depth=4
	s_or_b32 exec_lo, exec_lo, s74
	s_and_b32 s16, s16, exec_lo
	s_or_saveexec_b32 s73, s73
	v_mov_b32_e32 v1, 0x7f800001
	s_xor_b32 exec_lo, exec_lo, s73
	s_cbranch_execnz .LBB6_5461
.LBB6_3626:                             ;   in Loop: Header=BB6_3222 Depth=4
	s_or_b32 exec_lo, exec_lo, s73
	s_and_saveexec_b32 s73, s16
	s_cbranch_execz .LBB6_3628
.LBB6_3627:                             ;   in Loop: Header=BB6_3222 Depth=4
	v_and_b32_e32 v1, 3, v11
	v_bfe_u32 v6, v11, 2, 5
	v_lshlrev_b32_e32 v7, 24, v11
	v_ffbh_u32_e32 v4, v1
	v_cmp_eq_u32_e32 vcc_lo, 0, v6
	v_min_u32_e32 v4, 32, v4
	v_subrev_nc_u32_e32 v5, 29, v4
	v_sub_nc_u32_e32 v4, 30, v4
	v_lshlrev_b32_e32 v5, v5, v11
	v_cndmask_b32_e32 v4, v6, v4, vcc_lo
	v_and_b32_e32 v5, 3, v5
	v_lshl_add_u32 v4, v4, 23, 0x37800000
	v_cndmask_b32_e32 v1, v1, v5, vcc_lo
	v_and_b32_e32 v5, 0x80000000, v7
	v_lshlrev_b32_e32 v1, 21, v1
	v_or3_b32 v1, v5, v4, v1
.LBB6_3628:                             ;   in Loop: Header=BB6_3222 Depth=4
	s_or_b32 exec_lo, exec_lo, s73
	v_mul_f32_e32 v1, s72, v1
	v_mov_b32_e32 v126, 0x80
	s_mov_b32 s73, exec_lo
	v_and_b32_e32 v4, 0x7f800000, v1
	v_cmpx_ne_u32_e32 0x7f800000, v4
	s_cbranch_execz .LBB6_3636
; %bb.3629:                             ;   in Loop: Header=BB6_3222 Depth=4
	v_mov_b32_e32 v126, 0
	s_mov_b32 s74, exec_lo
	v_cmpx_ne_u32_e32 0, v1
	s_cbranch_execz .LBB6_3635
; %bb.3630:                             ;   in Loop: Header=BB6_3222 Depth=4
	v_bfe_u32 v4, v1, 23, 8
	v_and_b32_e32 v5, 0x7fffff, v1
	v_sub_nc_u32_e32 v6, 0x70, v4
	v_cmp_gt_u32_e32 vcc_lo, 0x71, v4
	v_or_b32_e32 v7, 0x800000, v5
	v_cndmask_b32_e32 v6, 0, v6, vcc_lo
	v_cmp_eq_u32_e32 vcc_lo, 0, v4
	v_add_nc_u32_e32 v4, 0xffffff91, v4
	v_cndmask_b32_e64 v6, v6, 0x6f, vcc_lo
	v_cndmask_b32_e32 v5, v7, v5, vcc_lo
	v_cndmask_b32_e64 v4, v4, 0xffffff92, vcc_lo
	v_lshl_add_u32 v7, 0x200000, v6, -1
	v_lshrrev_b32_e32 v8, v6, v5
	v_lshlrev_b32_e64 v10, v6, 0x100000
	v_add_nc_u32_e32 v6, v6, v4
	v_and_b32_e32 v5, v7, v5
	v_bfe_u32 v9, v8, 21, 1
	v_cmp_eq_u32_e64 s16, v5, v10
	v_add_nc_u32_e32 v7, -1, v9
	v_cndmask_b32_e64 v5, 0, v7, s16
	v_lshrrev_b32_e32 v7, 23, v8
	s_mov_b32 s16, exec_lo
	v_add_nc_u32_e32 v5, v5, v8
	v_xor_b32_e32 v7, 1, v7
	v_and_b32_e32 v4, 0x1fffff, v5
	v_add_nc_u32_e32 v5, v4, v8
                                        ; implicit-def: $vgpr4
	v_cmpx_ne_u32_e64 v6, v7
	s_xor_b32 s16, exec_lo, s16
; %bb.3631:                             ;   in Loop: Header=BB6_3222 Depth=4
	v_cmp_lt_u32_e32 vcc_lo, 0xffffff, v5
	v_sub_nc_u32_e32 v4, v6, v7
	v_cndmask_b32_e64 v6, 0, 1, vcc_lo
	v_add_co_ci_u32_e64 v4, null, 0, v4, vcc_lo
	v_lshrrev_b32_e32 v5, v6, v5
; %bb.3632:                             ;   in Loop: Header=BB6_3222 Depth=4
	s_andn2_saveexec_b32 s16, s16
; %bb.3633:                             ;   in Loop: Header=BB6_3222 Depth=4
	v_bfe_u32 v4, v5, 23, 1
; %bb.3634:                             ;   in Loop: Header=BB6_3222 Depth=4
	s_or_b32 exec_lo, exec_lo, s16
	v_lshrrev_b32_e32 v5, 21, v5
	v_min_i32_e32 v6, 31, v4
	v_cmp_gt_i32_e32 vcc_lo, 32, v4
	v_and_b32_sdwa v1, v1, v117 dst_sel:DWORD dst_unused:UNUSED_PAD src0_sel:BYTE_3 src1_sel:DWORD
	v_lshlrev_b32_e32 v6, 2, v6
	v_cndmask_b32_e32 v5, 3, v5, vcc_lo
	v_and_b32_e32 v6, 0xfc, v6
	v_and_b32_e32 v7, 3, v5
	v_or_b32_e32 v4, v4, v5
	v_or3_b32 v1, v6, v1, v7
	v_cmp_ne_u32_e32 vcc_lo, 0, v4
	v_cndmask_b32_e32 v126, 0, v1, vcc_lo
.LBB6_3635:                             ;   in Loop: Header=BB6_3222 Depth=4
	s_or_b32 exec_lo, exec_lo, s74
.LBB6_3636:                             ;   in Loop: Header=BB6_3222 Depth=4
	s_or_b32 exec_lo, exec_lo, s73
	v_cmp_gt_i16_sdwa s73, v11, v116 src0_sel:BYTE_1 src1_sel:DWORD
	s_mov_b32 s16, 0
	s_and_saveexec_b32 s74, s73
	s_xor_b32 s73, exec_lo, s74
	s_cbranch_execz .LBB6_5462
; %bb.3637:                             ;   in Loop: Header=BB6_3222 Depth=4
	v_cmp_eq_u16_sdwa s75, v11, v117 src0_sel:BYTE_1 src1_sel:DWORD
	s_mov_b32 s16, -1
	s_and_saveexec_b32 s74, s75
; %bb.3638:                             ;   in Loop: Header=BB6_3222 Depth=4
	s_xor_b32 s16, exec_lo, -1
; %bb.3639:                             ;   in Loop: Header=BB6_3222 Depth=4
	s_or_b32 exec_lo, exec_lo, s74
	s_and_b32 s16, s16, exec_lo
	s_or_saveexec_b32 s73, s73
	v_mov_b32_e32 v1, 0x7f800001
	s_xor_b32 exec_lo, exec_lo, s73
	s_cbranch_execnz .LBB6_5463
.LBB6_3640:                             ;   in Loop: Header=BB6_3222 Depth=4
	s_or_b32 exec_lo, exec_lo, s73
	s_and_saveexec_b32 s73, s16
	s_cbranch_execz .LBB6_3642
.LBB6_3641:                             ;   in Loop: Header=BB6_3222 Depth=4
	v_and_b32_sdwa v1, v118, v11 dst_sel:DWORD dst_unused:UNUSED_PAD src0_sel:DWORD src1_sel:BYTE_1
	v_and_b32_e32 v4, 3, v1
	v_bfe_u32 v7, v1, 2, 5
	v_ffbh_u32_e32 v5, v4
	v_cmp_eq_u32_e32 vcc_lo, 0, v7
	v_min_u32_e32 v5, 32, v5
	v_subrev_nc_u32_e32 v6, 29, v5
	v_sub_nc_u32_e32 v5, 30, v5
	v_lshlrev_b32_e32 v1, v6, v1
	v_lshlrev_b32_sdwa v6, v119, v11 dst_sel:DWORD dst_unused:UNUSED_PAD src0_sel:DWORD src1_sel:BYTE_1
	v_cndmask_b32_e32 v5, v7, v5, vcc_lo
	v_and_b32_e32 v1, 3, v1
	v_lshl_add_u32 v5, v5, 23, 0x37800000
	v_cndmask_b32_e32 v1, v4, v1, vcc_lo
	v_and_b32_e32 v4, 0x80000000, v6
	v_lshlrev_b32_e32 v1, 21, v1
	v_or3_b32 v1, v4, v5, v1
.LBB6_3642:                             ;   in Loop: Header=BB6_3222 Depth=4
	s_or_b32 exec_lo, exec_lo, s73
	v_mul_f32_e32 v1, s72, v1
	v_mov_b32_e32 v67, 0x8000
	s_mov_b32 s73, exec_lo
	v_and_b32_e32 v4, 0x7f800000, v1
	v_cmpx_ne_u32_e32 0x7f800000, v4
	s_cbranch_execz .LBB6_3650
; %bb.3643:                             ;   in Loop: Header=BB6_3222 Depth=4
	v_mov_b32_e32 v67, 0
	s_mov_b32 s74, exec_lo
	v_cmpx_ne_u32_e32 0, v1
	s_cbranch_execz .LBB6_3649
; %bb.3644:                             ;   in Loop: Header=BB6_3222 Depth=4
	v_bfe_u32 v4, v1, 23, 8
	v_and_b32_e32 v5, 0x7fffff, v1
	v_sub_nc_u32_e32 v6, 0x70, v4
	v_cmp_gt_u32_e32 vcc_lo, 0x71, v4
	v_or_b32_e32 v7, 0x800000, v5
	v_cndmask_b32_e32 v6, 0, v6, vcc_lo
	v_cmp_eq_u32_e32 vcc_lo, 0, v4
	v_add_nc_u32_e32 v4, 0xffffff91, v4
	v_cndmask_b32_e64 v6, v6, 0x6f, vcc_lo
	v_cndmask_b32_e32 v5, v7, v5, vcc_lo
	v_cndmask_b32_e64 v4, v4, 0xffffff92, vcc_lo
	v_lshl_add_u32 v7, 0x200000, v6, -1
	v_lshrrev_b32_e32 v8, v6, v5
	v_lshlrev_b32_e64 v10, v6, 0x100000
	v_add_nc_u32_e32 v6, v6, v4
	v_and_b32_e32 v5, v7, v5
	v_bfe_u32 v9, v8, 21, 1
	v_cmp_eq_u32_e64 s16, v5, v10
	v_add_nc_u32_e32 v7, -1, v9
	v_cndmask_b32_e64 v5, 0, v7, s16
	v_lshrrev_b32_e32 v7, 23, v8
	s_mov_b32 s16, exec_lo
	v_add_nc_u32_e32 v5, v5, v8
	v_xor_b32_e32 v7, 1, v7
	v_and_b32_e32 v4, 0x1fffff, v5
	v_add_nc_u32_e32 v5, v4, v8
                                        ; implicit-def: $vgpr4
	v_cmpx_ne_u32_e64 v6, v7
	s_xor_b32 s16, exec_lo, s16
; %bb.3645:                             ;   in Loop: Header=BB6_3222 Depth=4
	v_cmp_lt_u32_e32 vcc_lo, 0xffffff, v5
	v_sub_nc_u32_e32 v4, v6, v7
	v_cndmask_b32_e64 v6, 0, 1, vcc_lo
	v_add_co_ci_u32_e64 v4, null, 0, v4, vcc_lo
	v_lshrrev_b32_e32 v5, v6, v5
; %bb.3646:                             ;   in Loop: Header=BB6_3222 Depth=4
	s_andn2_saveexec_b32 s16, s16
; %bb.3647:                             ;   in Loop: Header=BB6_3222 Depth=4
	v_bfe_u32 v4, v5, 23, 1
; %bb.3648:                             ;   in Loop: Header=BB6_3222 Depth=4
	s_or_b32 exec_lo, exec_lo, s16
	v_lshrrev_b32_e32 v5, 21, v5
	v_min_i32_e32 v6, 31, v4
	v_cmp_gt_i32_e32 vcc_lo, 32, v4
	v_and_b32_sdwa v1, v1, v117 dst_sel:DWORD dst_unused:UNUSED_PAD src0_sel:BYTE_3 src1_sel:DWORD
	v_lshlrev_b32_e32 v6, 2, v6
	v_cndmask_b32_e32 v5, 3, v5, vcc_lo
	v_and_b32_e32 v6, 0xfc, v6
	v_and_b32_e32 v7, 3, v5
	v_or_b32_e32 v4, v4, v5
	v_or3_b32 v1, v1, v6, v7
	v_cmp_ne_u32_e32 vcc_lo, 0, v4
	v_lshlrev_b32_e32 v1, 8, v1
	v_cndmask_b32_e32 v67, 0, v1, vcc_lo
.LBB6_3649:                             ;   in Loop: Header=BB6_3222 Depth=4
	s_or_b32 exec_lo, exec_lo, s74
.LBB6_3650:                             ;   in Loop: Header=BB6_3222 Depth=4
	s_or_b32 exec_lo, exec_lo, s73
	v_and_b32_sdwa v4, v11, v40 dst_sel:DWORD dst_unused:UNUSED_PAD src0_sel:WORD_1 src1_sel:DWORD
	s_mov_b32 s16, 0
	s_mov_b32 s73, exec_lo
	v_cmpx_lt_i16_e32 0x7f, v4
	s_xor_b32 s73, exec_lo, s73
	s_cbranch_execz .LBB6_5464
; %bb.3651:                             ;   in Loop: Header=BB6_3222 Depth=4
	s_mov_b32 s16, -1
	s_mov_b32 s74, exec_lo
	v_cmpx_eq_u16_e32 0x80, v4
; %bb.3652:                             ;   in Loop: Header=BB6_3222 Depth=4
	s_xor_b32 s16, exec_lo, -1
; %bb.3653:                             ;   in Loop: Header=BB6_3222 Depth=4
	s_or_b32 exec_lo, exec_lo, s74
	s_and_b32 s16, s16, exec_lo
                                        ; implicit-def: $vgpr4
	s_or_saveexec_b32 s73, s73
	v_mov_b32_e32 v1, 0x7f800001
	s_xor_b32 exec_lo, exec_lo, s73
	s_cbranch_execnz .LBB6_5465
.LBB6_3654:                             ;   in Loop: Header=BB6_3222 Depth=4
	s_or_b32 exec_lo, exec_lo, s73
	s_and_saveexec_b32 s73, s16
	s_cbranch_execz .LBB6_3656
.LBB6_3655:                             ;   in Loop: Header=BB6_3222 Depth=4
	v_bfe_u32 v1, v11, 16, 2
	v_bfe_u32 v6, v11, 18, 5
	v_lshlrev_b32_e32 v7, 8, v11
	v_ffbh_u32_e32 v4, v1
	v_cmp_eq_u32_e32 vcc_lo, 0, v6
	v_min_u32_e32 v4, 32, v4
	v_subrev_nc_u32_e32 v5, 29, v4
	v_sub_nc_u32_e32 v4, 30, v4
	v_lshlrev_b32_sdwa v5, v5, v11 dst_sel:DWORD dst_unused:UNUSED_PAD src0_sel:DWORD src1_sel:WORD_1
	v_cndmask_b32_e32 v4, v6, v4, vcc_lo
	v_and_b32_e32 v5, 3, v5
	v_lshl_add_u32 v4, v4, 23, 0x37800000
	v_cndmask_b32_e32 v1, v1, v5, vcc_lo
	v_and_b32_e32 v5, 0x80000000, v7
	v_lshlrev_b32_e32 v1, 21, v1
	v_or3_b32 v1, v5, v4, v1
.LBB6_3656:                             ;   in Loop: Header=BB6_3222 Depth=4
	s_or_b32 exec_lo, exec_lo, s73
	v_mul_f32_e32 v1, s72, v1
	v_mov_b32_e32 v123, 0x80
	s_mov_b32 s73, exec_lo
	v_and_b32_e32 v4, 0x7f800000, v1
	v_cmpx_ne_u32_e32 0x7f800000, v4
	s_cbranch_execz .LBB6_3664
; %bb.3657:                             ;   in Loop: Header=BB6_3222 Depth=4
	v_mov_b32_e32 v123, 0
	s_mov_b32 s74, exec_lo
	v_cmpx_ne_u32_e32 0, v1
	s_cbranch_execz .LBB6_3663
; %bb.3658:                             ;   in Loop: Header=BB6_3222 Depth=4
	v_bfe_u32 v4, v1, 23, 8
	v_and_b32_e32 v5, 0x7fffff, v1
	v_sub_nc_u32_e32 v6, 0x70, v4
	v_cmp_gt_u32_e32 vcc_lo, 0x71, v4
	v_or_b32_e32 v7, 0x800000, v5
	v_cndmask_b32_e32 v6, 0, v6, vcc_lo
	v_cmp_eq_u32_e32 vcc_lo, 0, v4
	v_add_nc_u32_e32 v4, 0xffffff91, v4
	v_cndmask_b32_e64 v6, v6, 0x6f, vcc_lo
	v_cndmask_b32_e32 v5, v7, v5, vcc_lo
	v_cndmask_b32_e64 v4, v4, 0xffffff92, vcc_lo
	v_lshl_add_u32 v7, 0x200000, v6, -1
	v_lshrrev_b32_e32 v8, v6, v5
	v_lshlrev_b32_e64 v10, v6, 0x100000
	v_add_nc_u32_e32 v6, v6, v4
	v_and_b32_e32 v5, v7, v5
	v_bfe_u32 v9, v8, 21, 1
	v_cmp_eq_u32_e64 s16, v5, v10
	v_add_nc_u32_e32 v7, -1, v9
	v_cndmask_b32_e64 v5, 0, v7, s16
	v_lshrrev_b32_e32 v7, 23, v8
	s_mov_b32 s16, exec_lo
	v_add_nc_u32_e32 v5, v5, v8
	v_xor_b32_e32 v7, 1, v7
	v_and_b32_e32 v4, 0x1fffff, v5
	v_add_nc_u32_e32 v5, v4, v8
                                        ; implicit-def: $vgpr4
	v_cmpx_ne_u32_e64 v6, v7
	s_xor_b32 s16, exec_lo, s16
; %bb.3659:                             ;   in Loop: Header=BB6_3222 Depth=4
	v_cmp_lt_u32_e32 vcc_lo, 0xffffff, v5
	v_sub_nc_u32_e32 v4, v6, v7
	v_cndmask_b32_e64 v6, 0, 1, vcc_lo
	v_add_co_ci_u32_e64 v4, null, 0, v4, vcc_lo
	v_lshrrev_b32_e32 v5, v6, v5
; %bb.3660:                             ;   in Loop: Header=BB6_3222 Depth=4
	s_andn2_saveexec_b32 s16, s16
; %bb.3661:                             ;   in Loop: Header=BB6_3222 Depth=4
	v_bfe_u32 v4, v5, 23, 1
; %bb.3662:                             ;   in Loop: Header=BB6_3222 Depth=4
	s_or_b32 exec_lo, exec_lo, s16
	v_lshrrev_b32_e32 v5, 21, v5
	v_min_i32_e32 v6, 31, v4
	v_cmp_gt_i32_e32 vcc_lo, 32, v4
	v_and_b32_sdwa v1, v1, v117 dst_sel:DWORD dst_unused:UNUSED_PAD src0_sel:BYTE_3 src1_sel:DWORD
	v_lshlrev_b32_e32 v6, 2, v6
	v_cndmask_b32_e32 v5, 3, v5, vcc_lo
	v_and_b32_e32 v6, 0xfc, v6
	v_and_b32_e32 v7, 3, v5
	v_or_b32_e32 v4, v4, v5
	v_or3_b32 v1, v6, v1, v7
	v_cmp_ne_u32_e32 vcc_lo, 0, v4
	v_cndmask_b32_e32 v123, 0, v1, vcc_lo
.LBB6_3663:                             ;   in Loop: Header=BB6_3222 Depth=4
	s_or_b32 exec_lo, exec_lo, s74
.LBB6_3664:                             ;   in Loop: Header=BB6_3222 Depth=4
	s_or_b32 exec_lo, exec_lo, s73
	v_cmp_gt_i16_sdwa s73, v11, v116 src0_sel:BYTE_3 src1_sel:DWORD
	s_mov_b32 s16, 0
	s_and_saveexec_b32 s74, s73
	s_xor_b32 s73, exec_lo, s74
	s_cbranch_execz .LBB6_5466
; %bb.3665:                             ;   in Loop: Header=BB6_3222 Depth=4
	v_cmp_eq_u16_sdwa s75, v11, v117 src0_sel:BYTE_3 src1_sel:DWORD
	s_mov_b32 s16, -1
	s_and_saveexec_b32 s74, s75
; %bb.3666:                             ;   in Loop: Header=BB6_3222 Depth=4
	s_xor_b32 s16, exec_lo, -1
; %bb.3667:                             ;   in Loop: Header=BB6_3222 Depth=4
	s_or_b32 exec_lo, exec_lo, s74
	s_and_b32 s16, s16, exec_lo
	s_or_saveexec_b32 s73, s73
	v_mov_b32_e32 v1, 0x7f800001
	s_xor_b32 exec_lo, exec_lo, s73
	s_cbranch_execnz .LBB6_5467
.LBB6_3668:                             ;   in Loop: Header=BB6_3222 Depth=4
	s_or_b32 exec_lo, exec_lo, s73
	s_and_saveexec_b32 s73, s16
	s_cbranch_execz .LBB6_3670
.LBB6_3669:                             ;   in Loop: Header=BB6_3222 Depth=4
	v_bfe_u32 v1, v11, 24, 2
	v_bfe_u32 v6, v11, 26, 5
	v_ffbh_u32_e32 v4, v1
	v_cmp_eq_u32_e32 vcc_lo, 0, v6
	v_min_u32_e32 v4, 32, v4
	v_subrev_nc_u32_e32 v5, 29, v4
	v_sub_nc_u32_e32 v4, 30, v4
	v_lshlrev_b32_sdwa v5, v5, v11 dst_sel:DWORD dst_unused:UNUSED_PAD src0_sel:DWORD src1_sel:BYTE_3
	v_cndmask_b32_e32 v4, v6, v4, vcc_lo
	v_and_b32_e32 v5, 3, v5
	v_lshl_add_u32 v4, v4, 23, 0x37800000
	v_cndmask_b32_e32 v1, v1, v5, vcc_lo
	v_and_b32_e32 v5, 0x80000000, v11
	v_lshlrev_b32_e32 v1, 21, v1
	v_or3_b32 v1, v5, v4, v1
.LBB6_3670:                             ;   in Loop: Header=BB6_3222 Depth=4
	s_or_b32 exec_lo, exec_lo, s73
	v_mul_f32_e32 v1, s72, v1
	v_mov_b32_e32 v125, 0x8000
	s_mov_b32 s73, exec_lo
	v_and_b32_e32 v4, 0x7f800000, v1
	v_cmpx_ne_u32_e32 0x7f800000, v4
	s_cbranch_execz .LBB6_3678
; %bb.3671:                             ;   in Loop: Header=BB6_3222 Depth=4
	v_mov_b32_e32 v125, 0
	s_mov_b32 s74, exec_lo
	v_cmpx_ne_u32_e32 0, v1
	s_cbranch_execz .LBB6_3677
; %bb.3672:                             ;   in Loop: Header=BB6_3222 Depth=4
	v_bfe_u32 v4, v1, 23, 8
	v_and_b32_e32 v5, 0x7fffff, v1
	v_sub_nc_u32_e32 v6, 0x70, v4
	v_cmp_gt_u32_e32 vcc_lo, 0x71, v4
	v_or_b32_e32 v7, 0x800000, v5
	v_cndmask_b32_e32 v6, 0, v6, vcc_lo
	v_cmp_eq_u32_e32 vcc_lo, 0, v4
	v_add_nc_u32_e32 v4, 0xffffff91, v4
	v_cndmask_b32_e64 v6, v6, 0x6f, vcc_lo
	v_cndmask_b32_e32 v5, v7, v5, vcc_lo
	v_cndmask_b32_e64 v4, v4, 0xffffff92, vcc_lo
	v_lshl_add_u32 v7, 0x200000, v6, -1
	v_lshrrev_b32_e32 v8, v6, v5
	v_lshlrev_b32_e64 v10, v6, 0x100000
	v_add_nc_u32_e32 v6, v6, v4
	v_and_b32_e32 v5, v7, v5
	v_bfe_u32 v9, v8, 21, 1
	v_cmp_eq_u32_e64 s16, v5, v10
	v_add_nc_u32_e32 v7, -1, v9
	v_cndmask_b32_e64 v5, 0, v7, s16
	v_lshrrev_b32_e32 v7, 23, v8
	s_mov_b32 s16, exec_lo
	v_add_nc_u32_e32 v5, v5, v8
	v_xor_b32_e32 v7, 1, v7
	v_and_b32_e32 v4, 0x1fffff, v5
	v_add_nc_u32_e32 v5, v4, v8
                                        ; implicit-def: $vgpr4
	v_cmpx_ne_u32_e64 v6, v7
	s_xor_b32 s16, exec_lo, s16
; %bb.3673:                             ;   in Loop: Header=BB6_3222 Depth=4
	v_cmp_lt_u32_e32 vcc_lo, 0xffffff, v5
	v_sub_nc_u32_e32 v4, v6, v7
	v_cndmask_b32_e64 v6, 0, 1, vcc_lo
	v_add_co_ci_u32_e64 v4, null, 0, v4, vcc_lo
	v_lshrrev_b32_e32 v5, v6, v5
; %bb.3674:                             ;   in Loop: Header=BB6_3222 Depth=4
	s_andn2_saveexec_b32 s16, s16
; %bb.3675:                             ;   in Loop: Header=BB6_3222 Depth=4
	v_bfe_u32 v4, v5, 23, 1
; %bb.3676:                             ;   in Loop: Header=BB6_3222 Depth=4
	s_or_b32 exec_lo, exec_lo, s16
	v_lshrrev_b32_e32 v5, 21, v5
	v_min_i32_e32 v6, 31, v4
	v_cmp_gt_i32_e32 vcc_lo, 32, v4
	v_and_b32_sdwa v1, v1, v117 dst_sel:DWORD dst_unused:UNUSED_PAD src0_sel:BYTE_3 src1_sel:DWORD
	v_lshlrev_b32_e32 v6, 2, v6
	v_cndmask_b32_e32 v5, 3, v5, vcc_lo
	v_and_b32_e32 v6, 0xfc, v6
	v_and_b32_e32 v7, 3, v5
	v_or_b32_e32 v4, v4, v5
	v_or3_b32 v1, v1, v6, v7
	v_cmp_ne_u32_e32 vcc_lo, 0, v4
	v_lshlrev_b32_e32 v1, 8, v1
	v_cndmask_b32_e32 v125, 0, v1, vcc_lo
.LBB6_3677:                             ;   in Loop: Header=BB6_3222 Depth=4
	s_or_b32 exec_lo, exec_lo, s74
.LBB6_3678:                             ;   in Loop: Header=BB6_3222 Depth=4
	s_or_b32 exec_lo, exec_lo, s73
	global_load_dwordx4 v[8:11], v[84:85], off offset:1024 slc
	s_mov_b32 s16, 0
	s_waitcnt vmcnt(0)
	v_cmp_gt_i16_sdwa s73, v8, v116 src0_sel:BYTE_0 src1_sel:DWORD
	s_and_saveexec_b32 s74, s73
	s_xor_b32 s73, exec_lo, s74
	s_cbranch_execz .LBB6_5468
; %bb.3679:                             ;   in Loop: Header=BB6_3222 Depth=4
	v_cmp_eq_u16_sdwa s75, v8, v117 src0_sel:BYTE_0 src1_sel:DWORD
	s_mov_b32 s16, -1
	s_and_saveexec_b32 s74, s75
; %bb.3680:                             ;   in Loop: Header=BB6_3222 Depth=4
	s_xor_b32 s16, exec_lo, -1
; %bb.3681:                             ;   in Loop: Header=BB6_3222 Depth=4
	s_or_b32 exec_lo, exec_lo, s74
	s_and_b32 s16, s16, exec_lo
	s_or_saveexec_b32 s73, s73
	v_mov_b32_e32 v1, 0x7f800001
	s_xor_b32 exec_lo, exec_lo, s73
	s_cbranch_execnz .LBB6_5469
.LBB6_3682:                             ;   in Loop: Header=BB6_3222 Depth=4
	s_or_b32 exec_lo, exec_lo, s73
	s_and_saveexec_b32 s73, s16
	s_cbranch_execz .LBB6_3684
.LBB6_3683:                             ;   in Loop: Header=BB6_3222 Depth=4
	v_and_b32_e32 v1, 3, v8
	v_bfe_u32 v6, v8, 2, 5
	v_lshlrev_b32_e32 v7, 24, v8
	v_ffbh_u32_e32 v4, v1
	v_cmp_eq_u32_e32 vcc_lo, 0, v6
	v_min_u32_e32 v4, 32, v4
	v_subrev_nc_u32_e32 v5, 29, v4
	v_sub_nc_u32_e32 v4, 30, v4
	v_lshlrev_b32_e32 v5, v5, v8
	v_cndmask_b32_e32 v4, v6, v4, vcc_lo
	v_and_b32_e32 v5, 3, v5
	v_lshl_add_u32 v4, v4, 23, 0x37800000
	v_cndmask_b32_e32 v1, v1, v5, vcc_lo
	v_and_b32_e32 v5, 0x80000000, v7
	v_lshlrev_b32_e32 v1, 21, v1
	v_or3_b32 v1, v5, v4, v1
.LBB6_3684:                             ;   in Loop: Header=BB6_3222 Depth=4
	s_or_b32 exec_lo, exec_lo, s73
	v_mul_f32_e32 v1, s72, v1
	v_mov_b32_e32 v120, 0x80
	s_mov_b32 s73, exec_lo
	v_and_b32_e32 v4, 0x7f800000, v1
	v_cmpx_ne_u32_e32 0x7f800000, v4
	s_cbranch_execz .LBB6_3692
; %bb.3685:                             ;   in Loop: Header=BB6_3222 Depth=4
	v_mov_b32_e32 v120, 0
	s_mov_b32 s74, exec_lo
	v_cmpx_ne_u32_e32 0, v1
	s_cbranch_execz .LBB6_3691
; %bb.3686:                             ;   in Loop: Header=BB6_3222 Depth=4
	v_bfe_u32 v5, v1, 23, 8
	v_and_b32_e32 v4, 0x7fffff, v1
	v_cmp_gt_u32_e64 s16, 0x71, v5
	v_sub_nc_u32_e32 v6, 0x70, v5
	v_cmp_eq_u32_e32 vcc_lo, 0, v5
	v_or_b32_e32 v7, 0x800000, v4
	v_cndmask_b32_e64 v6, 0, v6, s16
	v_cndmask_b32_e32 v4, v7, v4, vcc_lo
	v_cndmask_b32_e64 v6, v6, 0x6f, vcc_lo
	v_lshl_add_u32 v7, 0x200000, v6, -1
	v_lshlrev_b32_e64 v14, v6, 0x100000
	v_and_b32_e32 v7, v7, v4
	v_cmp_eq_u32_e64 s16, v7, v14
	v_lshrrev_b32_e32 v7, v6, v4
	v_add_nc_u32_e32 v4, 0xffffff91, v5
	v_lshrrev_b32_e32 v5, 23, v7
	v_cndmask_b32_e64 v4, v4, 0xffffff92, vcc_lo
	v_xor_b32_e32 v5, 1, v5
	v_add_nc_u32_e32 v4, v6, v4
	v_bfe_u32 v6, v7, 21, 1
	v_add_nc_u32_e32 v6, -1, v6
	v_cndmask_b32_e64 v6, 0, v6, s16
	s_mov_b32 s16, exec_lo
	v_add_nc_u32_e32 v6, v6, v7
	v_and_b32_e32 v6, 0x1fffff, v6
	v_add_nc_u32_e32 v7, v6, v7
                                        ; implicit-def: $vgpr6
	v_cmpx_ne_u32_e64 v4, v5
	s_xor_b32 s16, exec_lo, s16
; %bb.3687:                             ;   in Loop: Header=BB6_3222 Depth=4
	v_cmp_lt_u32_e32 vcc_lo, 0xffffff, v7
	v_sub_nc_u32_e32 v4, v4, v5
	v_cndmask_b32_e64 v5, 0, 1, vcc_lo
	v_add_co_ci_u32_e64 v6, null, 0, v4, vcc_lo
	v_lshrrev_b32_e32 v7, v5, v7
; %bb.3688:                             ;   in Loop: Header=BB6_3222 Depth=4
	s_andn2_saveexec_b32 s16, s16
; %bb.3689:                             ;   in Loop: Header=BB6_3222 Depth=4
	v_bfe_u32 v6, v7, 23, 1
; %bb.3690:                             ;   in Loop: Header=BB6_3222 Depth=4
	s_or_b32 exec_lo, exec_lo, s16
	v_lshrrev_b32_e32 v4, 21, v7
	v_min_i32_e32 v5, 31, v6
	v_cmp_gt_i32_e32 vcc_lo, 32, v6
	v_and_b32_sdwa v1, v1, v117 dst_sel:DWORD dst_unused:UNUSED_PAD src0_sel:BYTE_3 src1_sel:DWORD
	v_lshlrev_b32_e32 v5, 2, v5
	v_cndmask_b32_e32 v4, 3, v4, vcc_lo
	v_and_b32_e32 v5, 0xfc, v5
	v_and_b32_e32 v7, 3, v4
	v_or_b32_e32 v4, v6, v4
	v_or3_b32 v1, v5, v1, v7
	v_cmp_ne_u32_e32 vcc_lo, 0, v4
	v_cndmask_b32_e32 v120, 0, v1, vcc_lo
.LBB6_3691:                             ;   in Loop: Header=BB6_3222 Depth=4
	s_or_b32 exec_lo, exec_lo, s74
.LBB6_3692:                             ;   in Loop: Header=BB6_3222 Depth=4
	s_or_b32 exec_lo, exec_lo, s73
	v_cmp_gt_i16_sdwa s73, v8, v116 src0_sel:BYTE_1 src1_sel:DWORD
	s_mov_b32 s16, 0
	s_and_saveexec_b32 s74, s73
	s_xor_b32 s73, exec_lo, s74
	s_cbranch_execz .LBB6_5470
; %bb.3693:                             ;   in Loop: Header=BB6_3222 Depth=4
	v_cmp_eq_u16_sdwa s75, v8, v117 src0_sel:BYTE_1 src1_sel:DWORD
	s_mov_b32 s16, -1
	s_and_saveexec_b32 s74, s75
; %bb.3694:                             ;   in Loop: Header=BB6_3222 Depth=4
	s_xor_b32 s16, exec_lo, -1
; %bb.3695:                             ;   in Loop: Header=BB6_3222 Depth=4
	s_or_b32 exec_lo, exec_lo, s74
	s_and_b32 s16, s16, exec_lo
	s_or_saveexec_b32 s73, s73
	v_mov_b32_e32 v1, 0x7f800001
	s_xor_b32 exec_lo, exec_lo, s73
	s_cbranch_execnz .LBB6_5471
.LBB6_3696:                             ;   in Loop: Header=BB6_3222 Depth=4
	s_or_b32 exec_lo, exec_lo, s73
	s_and_saveexec_b32 s73, s16
	s_cbranch_execz .LBB6_3698
.LBB6_3697:                             ;   in Loop: Header=BB6_3222 Depth=4
	v_and_b32_sdwa v1, v118, v8 dst_sel:DWORD dst_unused:UNUSED_PAD src0_sel:DWORD src1_sel:BYTE_1
	v_and_b32_e32 v4, 3, v1
	v_bfe_u32 v7, v1, 2, 5
	v_ffbh_u32_e32 v5, v4
	v_cmp_eq_u32_e32 vcc_lo, 0, v7
	v_min_u32_e32 v5, 32, v5
	v_subrev_nc_u32_e32 v6, 29, v5
	v_sub_nc_u32_e32 v5, 30, v5
	v_lshlrev_b32_e32 v1, v6, v1
	v_lshlrev_b32_sdwa v6, v119, v8 dst_sel:DWORD dst_unused:UNUSED_PAD src0_sel:DWORD src1_sel:BYTE_1
	v_cndmask_b32_e32 v5, v7, v5, vcc_lo
	v_and_b32_e32 v1, 3, v1
	v_lshl_add_u32 v5, v5, 23, 0x37800000
	v_cndmask_b32_e32 v1, v4, v1, vcc_lo
	v_and_b32_e32 v4, 0x80000000, v6
	v_lshlrev_b32_e32 v1, 21, v1
	v_or3_b32 v1, v4, v5, v1
.LBB6_3698:                             ;   in Loop: Header=BB6_3222 Depth=4
	s_or_b32 exec_lo, exec_lo, s73
	v_mul_f32_e32 v1, s72, v1
	v_mov_b32_e32 v113, 0x8000
	s_mov_b32 s73, exec_lo
	v_and_b32_e32 v4, 0x7f800000, v1
	v_cmpx_ne_u32_e32 0x7f800000, v4
	s_cbranch_execz .LBB6_3706
; %bb.3699:                             ;   in Loop: Header=BB6_3222 Depth=4
	v_mov_b32_e32 v113, 0
	s_mov_b32 s74, exec_lo
	v_cmpx_ne_u32_e32 0, v1
	s_cbranch_execz .LBB6_3705
; %bb.3700:                             ;   in Loop: Header=BB6_3222 Depth=4
	v_bfe_u32 v5, v1, 23, 8
	v_and_b32_e32 v4, 0x7fffff, v1
	v_cmp_gt_u32_e64 s16, 0x71, v5
	v_sub_nc_u32_e32 v6, 0x70, v5
	v_cmp_eq_u32_e32 vcc_lo, 0, v5
	v_or_b32_e32 v7, 0x800000, v4
	v_cndmask_b32_e64 v6, 0, v6, s16
	v_cndmask_b32_e32 v4, v7, v4, vcc_lo
	v_cndmask_b32_e64 v6, v6, 0x6f, vcc_lo
	v_lshl_add_u32 v7, 0x200000, v6, -1
	v_lshlrev_b32_e64 v14, v6, 0x100000
	v_and_b32_e32 v7, v7, v4
	v_cmp_eq_u32_e64 s16, v7, v14
	v_lshrrev_b32_e32 v7, v6, v4
	v_add_nc_u32_e32 v4, 0xffffff91, v5
	v_lshrrev_b32_e32 v5, 23, v7
	v_cndmask_b32_e64 v4, v4, 0xffffff92, vcc_lo
	v_xor_b32_e32 v5, 1, v5
	v_add_nc_u32_e32 v4, v6, v4
	v_bfe_u32 v6, v7, 21, 1
	v_add_nc_u32_e32 v6, -1, v6
	v_cndmask_b32_e64 v6, 0, v6, s16
	s_mov_b32 s16, exec_lo
	v_add_nc_u32_e32 v6, v6, v7
	v_and_b32_e32 v6, 0x1fffff, v6
	v_add_nc_u32_e32 v6, v6, v7
                                        ; implicit-def: $vgpr7
	v_cmpx_ne_u32_e64 v4, v5
	s_xor_b32 s16, exec_lo, s16
; %bb.3701:                             ;   in Loop: Header=BB6_3222 Depth=4
	v_cmp_lt_u32_e32 vcc_lo, 0xffffff, v6
	v_sub_nc_u32_e32 v4, v4, v5
	v_cndmask_b32_e64 v5, 0, 1, vcc_lo
	v_add_co_ci_u32_e64 v7, null, 0, v4, vcc_lo
	v_lshrrev_b32_e32 v6, v5, v6
; %bb.3702:                             ;   in Loop: Header=BB6_3222 Depth=4
	s_andn2_saveexec_b32 s16, s16
; %bb.3703:                             ;   in Loop: Header=BB6_3222 Depth=4
	v_bfe_u32 v7, v6, 23, 1
; %bb.3704:                             ;   in Loop: Header=BB6_3222 Depth=4
	s_or_b32 exec_lo, exec_lo, s16
	v_lshrrev_b32_e32 v4, 21, v6
	v_min_i32_e32 v5, 31, v7
	v_cmp_gt_i32_e32 vcc_lo, 32, v7
	v_and_b32_sdwa v1, v1, v117 dst_sel:DWORD dst_unused:UNUSED_PAD src0_sel:BYTE_3 src1_sel:DWORD
	v_lshlrev_b32_e32 v5, 2, v5
	v_cndmask_b32_e32 v4, 3, v4, vcc_lo
	v_and_b32_e32 v5, 0xfc, v5
	v_or_b32_e32 v6, v7, v4
	v_and_b32_e32 v4, 3, v4
	v_cmp_ne_u32_e32 vcc_lo, 0, v6
	v_or3_b32 v1, v1, v5, v4
	v_lshlrev_b32_e32 v1, 8, v1
	v_cndmask_b32_e32 v113, 0, v1, vcc_lo
.LBB6_3705:                             ;   in Loop: Header=BB6_3222 Depth=4
	s_or_b32 exec_lo, exec_lo, s74
.LBB6_3706:                             ;   in Loop: Header=BB6_3222 Depth=4
	s_or_b32 exec_lo, exec_lo, s73
	v_and_b32_sdwa v4, v8, v40 dst_sel:DWORD dst_unused:UNUSED_PAD src0_sel:WORD_1 src1_sel:DWORD
	s_mov_b32 s73, 0
	s_mov_b32 s16, exec_lo
	v_cmpx_lt_i16_e32 0x7f, v4
	s_xor_b32 s16, exec_lo, s16
	s_cbranch_execz .LBB6_5472
; %bb.3707:                             ;   in Loop: Header=BB6_3222 Depth=4
	s_mov_b32 s73, -1
	s_mov_b32 s74, exec_lo
	v_cmpx_eq_u16_e32 0x80, v4
; %bb.3708:                             ;   in Loop: Header=BB6_3222 Depth=4
	s_xor_b32 s73, exec_lo, -1
; %bb.3709:                             ;   in Loop: Header=BB6_3222 Depth=4
	s_or_b32 exec_lo, exec_lo, s74
	s_and_b32 s73, s73, exec_lo
                                        ; implicit-def: $vgpr4
	s_or_saveexec_b32 s16, s16
	v_mov_b32_e32 v1, 0x7f800001
	s_xor_b32 exec_lo, exec_lo, s16
	s_cbranch_execnz .LBB6_5473
.LBB6_3710:                             ;   in Loop: Header=BB6_3222 Depth=4
	s_or_b32 exec_lo, exec_lo, s16
	s_and_saveexec_b32 s16, s73
	s_cbranch_execz .LBB6_3712
.LBB6_3711:                             ;   in Loop: Header=BB6_3222 Depth=4
	v_bfe_u32 v1, v8, 16, 2
	v_bfe_u32 v4, v8, 18, 5
	v_ffbh_u32_e32 v5, v1
	v_cmp_eq_u32_e32 vcc_lo, 0, v4
	v_min_u32_e32 v5, 32, v5
	v_subrev_nc_u32_e32 v6, 29, v5
	v_sub_nc_u32_e32 v5, 30, v5
	v_lshlrev_b32_sdwa v6, v6, v8 dst_sel:DWORD dst_unused:UNUSED_PAD src0_sel:DWORD src1_sel:WORD_1
	v_cndmask_b32_e32 v4, v4, v5, vcc_lo
	v_lshlrev_b32_e32 v5, 8, v8
	v_and_b32_e32 v6, 3, v6
	v_lshl_add_u32 v4, v4, 23, 0x37800000
	v_and_b32_e32 v5, 0x80000000, v5
	v_cndmask_b32_e32 v1, v1, v6, vcc_lo
	v_lshlrev_b32_e32 v1, 21, v1
	v_or3_b32 v1, v5, v4, v1
.LBB6_3712:                             ;   in Loop: Header=BB6_3222 Depth=4
	s_or_b32 exec_lo, exec_lo, s16
	v_mul_f32_e32 v1, s72, v1
	v_mov_b32_e32 v111, 0x80
	s_mov_b32 s73, exec_lo
	v_and_b32_e32 v4, 0x7f800000, v1
	v_cmpx_ne_u32_e32 0x7f800000, v4
	s_cbranch_execz .LBB6_3720
; %bb.3713:                             ;   in Loop: Header=BB6_3222 Depth=4
	v_mov_b32_e32 v111, 0
	s_mov_b32 s74, exec_lo
	v_cmpx_ne_u32_e32 0, v1
	s_cbranch_execz .LBB6_3719
; %bb.3714:                             ;   in Loop: Header=BB6_3222 Depth=4
	v_bfe_u32 v5, v1, 23, 8
	v_and_b32_e32 v4, 0x7fffff, v1
	v_cmp_gt_u32_e64 s16, 0x71, v5
	v_sub_nc_u32_e32 v6, 0x70, v5
	v_cmp_eq_u32_e32 vcc_lo, 0, v5
	v_or_b32_e32 v7, 0x800000, v4
	v_cndmask_b32_e64 v6, 0, v6, s16
	v_cndmask_b32_e32 v4, v7, v4, vcc_lo
	v_cndmask_b32_e64 v6, v6, 0x6f, vcc_lo
	v_lshl_add_u32 v7, 0x200000, v6, -1
	v_lshlrev_b32_e64 v14, v6, 0x100000
	v_and_b32_e32 v7, v7, v4
	v_cmp_eq_u32_e64 s16, v7, v14
	v_lshrrev_b32_e32 v7, v6, v4
	v_add_nc_u32_e32 v4, 0xffffff91, v5
	v_lshrrev_b32_e32 v5, 23, v7
	v_cndmask_b32_e64 v4, v4, 0xffffff92, vcc_lo
	v_xor_b32_e32 v5, 1, v5
	v_add_nc_u32_e32 v4, v6, v4
	v_bfe_u32 v6, v7, 21, 1
	v_add_nc_u32_e32 v6, -1, v6
	v_cndmask_b32_e64 v6, 0, v6, s16
	s_mov_b32 s16, exec_lo
	v_add_nc_u32_e32 v6, v6, v7
	v_and_b32_e32 v6, 0x1fffff, v6
	v_add_nc_u32_e32 v6, v6, v7
                                        ; implicit-def: $vgpr7
	v_cmpx_ne_u32_e64 v4, v5
	s_xor_b32 s16, exec_lo, s16
; %bb.3715:                             ;   in Loop: Header=BB6_3222 Depth=4
	v_cmp_lt_u32_e32 vcc_lo, 0xffffff, v6
	v_sub_nc_u32_e32 v4, v4, v5
	v_cndmask_b32_e64 v5, 0, 1, vcc_lo
	v_add_co_ci_u32_e64 v7, null, 0, v4, vcc_lo
	v_lshrrev_b32_e32 v6, v5, v6
; %bb.3716:                             ;   in Loop: Header=BB6_3222 Depth=4
	s_andn2_saveexec_b32 s16, s16
; %bb.3717:                             ;   in Loop: Header=BB6_3222 Depth=4
	v_bfe_u32 v7, v6, 23, 1
; %bb.3718:                             ;   in Loop: Header=BB6_3222 Depth=4
	s_or_b32 exec_lo, exec_lo, s16
	v_lshrrev_b32_e32 v4, 21, v6
	v_min_i32_e32 v5, 31, v7
	v_cmp_gt_i32_e32 vcc_lo, 32, v7
	v_and_b32_sdwa v1, v1, v117 dst_sel:DWORD dst_unused:UNUSED_PAD src0_sel:BYTE_3 src1_sel:DWORD
	v_lshlrev_b32_e32 v5, 2, v5
	v_cndmask_b32_e32 v4, 3, v4, vcc_lo
	v_and_b32_e32 v5, 0xfc, v5
	v_or_b32_e32 v6, v7, v4
	v_and_b32_e32 v4, 3, v4
	v_cmp_ne_u32_e32 vcc_lo, 0, v6
	v_or3_b32 v1, v5, v1, v4
	v_cndmask_b32_e32 v111, 0, v1, vcc_lo
.LBB6_3719:                             ;   in Loop: Header=BB6_3222 Depth=4
	s_or_b32 exec_lo, exec_lo, s74
.LBB6_3720:                             ;   in Loop: Header=BB6_3222 Depth=4
	s_or_b32 exec_lo, exec_lo, s73
	v_cmp_gt_i16_sdwa s73, v8, v116 src0_sel:BYTE_3 src1_sel:DWORD
	s_mov_b32 s16, 0
	s_and_saveexec_b32 s74, s73
	s_xor_b32 s73, exec_lo, s74
	s_cbranch_execz .LBB6_5474
; %bb.3721:                             ;   in Loop: Header=BB6_3222 Depth=4
	v_cmp_eq_u16_sdwa s75, v8, v117 src0_sel:BYTE_3 src1_sel:DWORD
	s_mov_b32 s16, -1
	s_and_saveexec_b32 s74, s75
; %bb.3722:                             ;   in Loop: Header=BB6_3222 Depth=4
	s_xor_b32 s16, exec_lo, -1
; %bb.3723:                             ;   in Loop: Header=BB6_3222 Depth=4
	s_or_b32 exec_lo, exec_lo, s74
	s_and_b32 s16, s16, exec_lo
	s_or_saveexec_b32 s73, s73
	v_mov_b32_e32 v1, 0x7f800001
	s_xor_b32 exec_lo, exec_lo, s73
	s_cbranch_execnz .LBB6_5475
.LBB6_3724:                             ;   in Loop: Header=BB6_3222 Depth=4
	s_or_b32 exec_lo, exec_lo, s73
	s_and_saveexec_b32 s73, s16
	s_cbranch_execz .LBB6_3726
.LBB6_3725:                             ;   in Loop: Header=BB6_3222 Depth=4
	v_bfe_u32 v1, v8, 24, 2
	v_bfe_u32 v6, v8, 26, 5
	v_ffbh_u32_e32 v4, v1
	v_cmp_eq_u32_e32 vcc_lo, 0, v6
	v_min_u32_e32 v4, 32, v4
	v_subrev_nc_u32_e32 v5, 29, v4
	v_sub_nc_u32_e32 v4, 30, v4
	v_lshlrev_b32_sdwa v5, v5, v8 dst_sel:DWORD dst_unused:UNUSED_PAD src0_sel:DWORD src1_sel:BYTE_3
	v_cndmask_b32_e32 v4, v6, v4, vcc_lo
	v_and_b32_e32 v5, 3, v5
	v_lshl_add_u32 v4, v4, 23, 0x37800000
	v_cndmask_b32_e32 v1, v1, v5, vcc_lo
	v_and_b32_e32 v5, 0x80000000, v8
	v_lshlrev_b32_e32 v1, 21, v1
	v_or3_b32 v1, v5, v4, v1
.LBB6_3726:                             ;   in Loop: Header=BB6_3222 Depth=4
	s_or_b32 exec_lo, exec_lo, s73
	v_mul_f32_e32 v1, s72, v1
	v_mov_b32_e32 v122, 0x8000
	s_mov_b32 s73, exec_lo
	v_and_b32_e32 v4, 0x7f800000, v1
	v_cmpx_ne_u32_e32 0x7f800000, v4
	s_cbranch_execz .LBB6_3734
; %bb.3727:                             ;   in Loop: Header=BB6_3222 Depth=4
	v_mov_b32_e32 v122, 0
	s_mov_b32 s74, exec_lo
	v_cmpx_ne_u32_e32 0, v1
	s_cbranch_execz .LBB6_3733
; %bb.3728:                             ;   in Loop: Header=BB6_3222 Depth=4
	v_bfe_u32 v5, v1, 23, 8
	v_and_b32_e32 v4, 0x7fffff, v1
	v_cmp_gt_u32_e64 s16, 0x71, v5
	v_sub_nc_u32_e32 v6, 0x70, v5
	v_cmp_eq_u32_e32 vcc_lo, 0, v5
	v_or_b32_e32 v7, 0x800000, v4
	v_cndmask_b32_e64 v6, 0, v6, s16
	v_cndmask_b32_e32 v4, v7, v4, vcc_lo
	v_cndmask_b32_e64 v6, v6, 0x6f, vcc_lo
	v_lshl_add_u32 v7, 0x200000, v6, -1
	v_lshlrev_b32_e64 v8, v6, 0x100000
	v_and_b32_e32 v7, v7, v4
	v_cmp_eq_u32_e64 s16, v7, v8
	v_lshrrev_b32_e32 v7, v6, v4
	v_add_nc_u32_e32 v4, 0xffffff91, v5
	v_lshrrev_b32_e32 v5, 23, v7
	v_cndmask_b32_e64 v4, v4, 0xffffff92, vcc_lo
	v_xor_b32_e32 v5, 1, v5
	v_add_nc_u32_e32 v4, v6, v4
	v_bfe_u32 v6, v7, 21, 1
	v_add_nc_u32_e32 v6, -1, v6
	v_cndmask_b32_e64 v6, 0, v6, s16
	s_mov_b32 s16, exec_lo
	v_add_nc_u32_e32 v6, v6, v7
	v_and_b32_e32 v6, 0x1fffff, v6
	v_add_nc_u32_e32 v6, v6, v7
                                        ; implicit-def: $vgpr7
	v_cmpx_ne_u32_e64 v4, v5
	s_xor_b32 s16, exec_lo, s16
; %bb.3729:                             ;   in Loop: Header=BB6_3222 Depth=4
	v_cmp_lt_u32_e32 vcc_lo, 0xffffff, v6
	v_sub_nc_u32_e32 v4, v4, v5
	v_cndmask_b32_e64 v5, 0, 1, vcc_lo
	v_add_co_ci_u32_e64 v7, null, 0, v4, vcc_lo
	v_lshrrev_b32_e32 v6, v5, v6
; %bb.3730:                             ;   in Loop: Header=BB6_3222 Depth=4
	s_andn2_saveexec_b32 s16, s16
; %bb.3731:                             ;   in Loop: Header=BB6_3222 Depth=4
	v_bfe_u32 v7, v6, 23, 1
; %bb.3732:                             ;   in Loop: Header=BB6_3222 Depth=4
	s_or_b32 exec_lo, exec_lo, s16
	v_lshrrev_b32_e32 v4, 21, v6
	v_min_i32_e32 v5, 31, v7
	v_cmp_gt_i32_e32 vcc_lo, 32, v7
	v_and_b32_sdwa v1, v1, v117 dst_sel:DWORD dst_unused:UNUSED_PAD src0_sel:BYTE_3 src1_sel:DWORD
	v_lshlrev_b32_e32 v5, 2, v5
	v_cndmask_b32_e32 v4, 3, v4, vcc_lo
	v_and_b32_e32 v5, 0xfc, v5
	v_or_b32_e32 v6, v7, v4
	v_and_b32_e32 v4, 3, v4
	v_cmp_ne_u32_e32 vcc_lo, 0, v6
	v_or3_b32 v1, v1, v5, v4
	v_lshlrev_b32_e32 v1, 8, v1
	v_cndmask_b32_e32 v122, 0, v1, vcc_lo
.LBB6_3733:                             ;   in Loop: Header=BB6_3222 Depth=4
	s_or_b32 exec_lo, exec_lo, s74
.LBB6_3734:                             ;   in Loop: Header=BB6_3222 Depth=4
	s_or_b32 exec_lo, exec_lo, s73
	v_cmp_gt_i16_sdwa s16, v9, v116 src0_sel:BYTE_0 src1_sel:DWORD
	s_mov_b32 s73, 0
	s_and_saveexec_b32 s74, s16
	s_xor_b32 s16, exec_lo, s74
	s_cbranch_execz .LBB6_5476
; %bb.3735:                             ;   in Loop: Header=BB6_3222 Depth=4
	v_cmp_eq_u16_sdwa s75, v9, v117 src0_sel:BYTE_0 src1_sel:DWORD
	s_mov_b32 s73, -1
	s_and_saveexec_b32 s74, s75
; %bb.3736:                             ;   in Loop: Header=BB6_3222 Depth=4
	s_xor_b32 s73, exec_lo, -1
; %bb.3737:                             ;   in Loop: Header=BB6_3222 Depth=4
	s_or_b32 exec_lo, exec_lo, s74
	s_and_b32 s73, s73, exec_lo
	s_or_saveexec_b32 s16, s16
	v_mov_b32_e32 v1, 0x7f800001
	s_xor_b32 exec_lo, exec_lo, s16
	s_cbranch_execnz .LBB6_5477
.LBB6_3738:                             ;   in Loop: Header=BB6_3222 Depth=4
	s_or_b32 exec_lo, exec_lo, s16
	s_and_saveexec_b32 s16, s73
	s_cbranch_execz .LBB6_3740
.LBB6_3739:                             ;   in Loop: Header=BB6_3222 Depth=4
	v_and_b32_e32 v1, 3, v9
	v_bfe_u32 v4, v9, 2, 5
	v_ffbh_u32_e32 v5, v1
	v_cmp_eq_u32_e32 vcc_lo, 0, v4
	v_min_u32_e32 v5, 32, v5
	v_subrev_nc_u32_e32 v6, 29, v5
	v_sub_nc_u32_e32 v5, 30, v5
	v_lshlrev_b32_e32 v6, v6, v9
	v_cndmask_b32_e32 v4, v4, v5, vcc_lo
	v_lshlrev_b32_e32 v5, 24, v9
	v_and_b32_e32 v6, 3, v6
	v_lshl_add_u32 v4, v4, 23, 0x37800000
	v_and_b32_e32 v5, 0x80000000, v5
	v_cndmask_b32_e32 v1, v1, v6, vcc_lo
	v_lshlrev_b32_e32 v1, 21, v1
	v_or3_b32 v1, v5, v4, v1
.LBB6_3740:                             ;   in Loop: Header=BB6_3222 Depth=4
	s_or_b32 exec_lo, exec_lo, s16
	v_mul_f32_e32 v1, s72, v1
	v_mov_b32_e32 v31, 0x80
	s_mov_b32 s73, exec_lo
	v_and_b32_e32 v4, 0x7f800000, v1
	v_cmpx_ne_u32_e32 0x7f800000, v4
	s_cbranch_execz .LBB6_3748
; %bb.3741:                             ;   in Loop: Header=BB6_3222 Depth=4
	v_mov_b32_e32 v31, 0
	s_mov_b32 s74, exec_lo
	v_cmpx_ne_u32_e32 0, v1
	s_cbranch_execz .LBB6_3747
; %bb.3742:                             ;   in Loop: Header=BB6_3222 Depth=4
	v_bfe_u32 v5, v1, 23, 8
	v_and_b32_e32 v4, 0x7fffff, v1
	v_cmp_gt_u32_e64 s16, 0x71, v5
	v_sub_nc_u32_e32 v6, 0x70, v5
	v_cmp_eq_u32_e32 vcc_lo, 0, v5
	v_or_b32_e32 v7, 0x800000, v4
	v_cndmask_b32_e64 v6, 0, v6, s16
	v_cndmask_b32_e32 v4, v7, v4, vcc_lo
	v_cndmask_b32_e64 v6, v6, 0x6f, vcc_lo
	v_lshl_add_u32 v7, 0x200000, v6, -1
	v_lshlrev_b32_e64 v8, v6, 0x100000
	v_and_b32_e32 v7, v7, v4
	v_cmp_eq_u32_e64 s16, v7, v8
	v_lshrrev_b32_e32 v7, v6, v4
	v_add_nc_u32_e32 v4, 0xffffff91, v5
	v_lshrrev_b32_e32 v5, 23, v7
	v_cndmask_b32_e64 v4, v4, 0xffffff92, vcc_lo
	v_xor_b32_e32 v5, 1, v5
	v_add_nc_u32_e32 v4, v6, v4
	v_bfe_u32 v6, v7, 21, 1
	v_add_nc_u32_e32 v6, -1, v6
	v_cndmask_b32_e64 v6, 0, v6, s16
	s_mov_b32 s16, exec_lo
	v_add_nc_u32_e32 v6, v6, v7
	v_and_b32_e32 v6, 0x1fffff, v6
	v_add_nc_u32_e32 v6, v6, v7
                                        ; implicit-def: $vgpr7
	v_cmpx_ne_u32_e64 v4, v5
	s_xor_b32 s16, exec_lo, s16
; %bb.3743:                             ;   in Loop: Header=BB6_3222 Depth=4
	v_cmp_lt_u32_e32 vcc_lo, 0xffffff, v6
	v_sub_nc_u32_e32 v4, v4, v5
	v_cndmask_b32_e64 v5, 0, 1, vcc_lo
	v_add_co_ci_u32_e64 v7, null, 0, v4, vcc_lo
	v_lshrrev_b32_e32 v6, v5, v6
; %bb.3744:                             ;   in Loop: Header=BB6_3222 Depth=4
	s_andn2_saveexec_b32 s16, s16
; %bb.3745:                             ;   in Loop: Header=BB6_3222 Depth=4
	v_bfe_u32 v7, v6, 23, 1
; %bb.3746:                             ;   in Loop: Header=BB6_3222 Depth=4
	s_or_b32 exec_lo, exec_lo, s16
	v_lshrrev_b32_e32 v4, 21, v6
	v_min_i32_e32 v5, 31, v7
	v_cmp_gt_i32_e32 vcc_lo, 32, v7
	v_and_b32_sdwa v1, v1, v117 dst_sel:DWORD dst_unused:UNUSED_PAD src0_sel:BYTE_3 src1_sel:DWORD
	v_lshlrev_b32_e32 v5, 2, v5
	v_cndmask_b32_e32 v4, 3, v4, vcc_lo
	v_and_b32_e32 v5, 0xfc, v5
	v_or_b32_e32 v6, v7, v4
	v_and_b32_e32 v4, 3, v4
	v_cmp_ne_u32_e32 vcc_lo, 0, v6
	v_or3_b32 v1, v5, v1, v4
	v_cndmask_b32_e32 v31, 0, v1, vcc_lo
.LBB6_3747:                             ;   in Loop: Header=BB6_3222 Depth=4
	s_or_b32 exec_lo, exec_lo, s74
.LBB6_3748:                             ;   in Loop: Header=BB6_3222 Depth=4
	s_or_b32 exec_lo, exec_lo, s73
	v_cmp_gt_i16_sdwa s73, v9, v116 src0_sel:BYTE_1 src1_sel:DWORD
	s_mov_b32 s16, 0
	s_and_saveexec_b32 s74, s73
	s_xor_b32 s73, exec_lo, s74
	s_cbranch_execz .LBB6_5478
; %bb.3749:                             ;   in Loop: Header=BB6_3222 Depth=4
	v_cmp_eq_u16_sdwa s75, v9, v117 src0_sel:BYTE_1 src1_sel:DWORD
	s_mov_b32 s16, -1
	s_and_saveexec_b32 s74, s75
; %bb.3750:                             ;   in Loop: Header=BB6_3222 Depth=4
	s_xor_b32 s16, exec_lo, -1
; %bb.3751:                             ;   in Loop: Header=BB6_3222 Depth=4
	s_or_b32 exec_lo, exec_lo, s74
	s_and_b32 s16, s16, exec_lo
	s_or_saveexec_b32 s73, s73
	v_mov_b32_e32 v1, 0x7f800001
	s_xor_b32 exec_lo, exec_lo, s73
	s_cbranch_execnz .LBB6_5479
.LBB6_3752:                             ;   in Loop: Header=BB6_3222 Depth=4
	s_or_b32 exec_lo, exec_lo, s73
	s_and_saveexec_b32 s73, s16
	s_cbranch_execz .LBB6_3754
.LBB6_3753:                             ;   in Loop: Header=BB6_3222 Depth=4
	v_and_b32_sdwa v1, v118, v9 dst_sel:DWORD dst_unused:UNUSED_PAD src0_sel:DWORD src1_sel:BYTE_1
	v_and_b32_e32 v4, 3, v1
	v_bfe_u32 v7, v1, 2, 5
	v_ffbh_u32_e32 v5, v4
	v_cmp_eq_u32_e32 vcc_lo, 0, v7
	v_min_u32_e32 v5, 32, v5
	v_subrev_nc_u32_e32 v6, 29, v5
	v_sub_nc_u32_e32 v5, 30, v5
	v_lshlrev_b32_e32 v1, v6, v1
	v_lshlrev_b32_sdwa v6, v119, v9 dst_sel:DWORD dst_unused:UNUSED_PAD src0_sel:DWORD src1_sel:BYTE_1
	v_cndmask_b32_e32 v5, v7, v5, vcc_lo
	v_and_b32_e32 v1, 3, v1
	v_lshl_add_u32 v5, v5, 23, 0x37800000
	v_cndmask_b32_e32 v1, v4, v1, vcc_lo
	v_and_b32_e32 v4, 0x80000000, v6
	v_lshlrev_b32_e32 v1, 21, v1
	v_or3_b32 v1, v4, v5, v1
.LBB6_3754:                             ;   in Loop: Header=BB6_3222 Depth=4
	s_or_b32 exec_lo, exec_lo, s73
	v_mul_f32_e32 v4, s72, v1
	v_and_b32_e32 v1, 0x7f800000, v4
	v_cmp_ne_u32_e32 vcc_lo, 0x7f800000, v1
	v_mov_b32_e32 v1, 0x8000
	s_and_saveexec_b32 s73, vcc_lo
	s_cbranch_execz .LBB6_3762
; %bb.3755:                             ;   in Loop: Header=BB6_3222 Depth=4
	v_mov_b32_e32 v1, 0
	s_mov_b32 s74, exec_lo
	v_cmpx_ne_u32_e32 0, v4
	s_cbranch_execz .LBB6_3761
; %bb.3756:                             ;   in Loop: Header=BB6_3222 Depth=4
	v_bfe_u32 v5, v4, 23, 8
	v_and_b32_e32 v1, 0x7fffff, v4
	v_cmp_gt_u32_e64 s16, 0x71, v5
	v_sub_nc_u32_e32 v6, 0x70, v5
	v_cmp_eq_u32_e32 vcc_lo, 0, v5
	v_or_b32_e32 v7, 0x800000, v1
	v_cndmask_b32_e64 v6, 0, v6, s16
	v_cndmask_b32_e32 v1, v7, v1, vcc_lo
	v_cndmask_b32_e64 v6, v6, 0x6f, vcc_lo
	v_lshl_add_u32 v7, 0x200000, v6, -1
	v_lshlrev_b32_e64 v8, v6, 0x100000
	v_and_b32_e32 v7, v7, v1
	v_cmp_eq_u32_e64 s16, v7, v8
	v_lshrrev_b32_e32 v7, v6, v1
	v_add_nc_u32_e32 v1, 0xffffff91, v5
	v_lshrrev_b32_e32 v5, 23, v7
	v_cndmask_b32_e64 v1, v1, 0xffffff92, vcc_lo
	v_xor_b32_e32 v5, 1, v5
	v_add_nc_u32_e32 v1, v6, v1
	v_bfe_u32 v6, v7, 21, 1
	v_add_nc_u32_e32 v6, -1, v6
	v_cndmask_b32_e64 v6, 0, v6, s16
	s_mov_b32 s16, exec_lo
	v_add_nc_u32_e32 v6, v6, v7
	v_and_b32_e32 v6, 0x1fffff, v6
	v_add_nc_u32_e32 v6, v6, v7
                                        ; implicit-def: $vgpr7
	v_cmpx_ne_u32_e64 v1, v5
	s_xor_b32 s16, exec_lo, s16
; %bb.3757:                             ;   in Loop: Header=BB6_3222 Depth=4
	v_cmp_lt_u32_e32 vcc_lo, 0xffffff, v6
	v_sub_nc_u32_e32 v1, v1, v5
	v_cndmask_b32_e64 v5, 0, 1, vcc_lo
	v_add_co_ci_u32_e64 v7, null, 0, v1, vcc_lo
	v_lshrrev_b32_e32 v6, v5, v6
; %bb.3758:                             ;   in Loop: Header=BB6_3222 Depth=4
	s_andn2_saveexec_b32 s16, s16
; %bb.3759:                             ;   in Loop: Header=BB6_3222 Depth=4
	v_bfe_u32 v7, v6, 23, 1
; %bb.3760:                             ;   in Loop: Header=BB6_3222 Depth=4
	s_or_b32 exec_lo, exec_lo, s16
	v_and_b32_sdwa v1, v4, v117 dst_sel:DWORD dst_unused:UNUSED_PAD src0_sel:BYTE_3 src1_sel:DWORD
	v_lshrrev_b32_e32 v4, 21, v6
	v_min_i32_e32 v5, 31, v7
	v_cmp_gt_i32_e32 vcc_lo, 32, v7
	v_lshlrev_b32_e32 v5, 2, v5
	v_cndmask_b32_e32 v4, 3, v4, vcc_lo
	v_and_b32_e32 v5, 0xfc, v5
	v_or_b32_e32 v6, v7, v4
	v_and_b32_e32 v4, 3, v4
	v_cmp_ne_u32_e32 vcc_lo, 0, v6
	v_or3_b32 v1, v1, v5, v4
	v_lshlrev_b32_e32 v1, 8, v1
	v_cndmask_b32_e32 v1, 0, v1, vcc_lo
.LBB6_3761:                             ;   in Loop: Header=BB6_3222 Depth=4
	s_or_b32 exec_lo, exec_lo, s74
.LBB6_3762:                             ;   in Loop: Header=BB6_3222 Depth=4
	s_or_b32 exec_lo, exec_lo, s73
	v_and_b32_sdwa v5, v9, v40 dst_sel:DWORD dst_unused:UNUSED_PAD src0_sel:WORD_1 src1_sel:DWORD
	s_mov_b32 s73, 0
	s_mov_b32 s16, exec_lo
	v_cmpx_lt_i16_e32 0x7f, v5
	s_xor_b32 s16, exec_lo, s16
	s_cbranch_execz .LBB6_5480
; %bb.3763:                             ;   in Loop: Header=BB6_3222 Depth=4
	s_mov_b32 s73, -1
	s_mov_b32 s74, exec_lo
	v_cmpx_eq_u16_e32 0x80, v5
; %bb.3764:                             ;   in Loop: Header=BB6_3222 Depth=4
	s_xor_b32 s73, exec_lo, -1
; %bb.3765:                             ;   in Loop: Header=BB6_3222 Depth=4
	s_or_b32 exec_lo, exec_lo, s74
	s_and_b32 s73, s73, exec_lo
                                        ; implicit-def: $vgpr5
	s_or_saveexec_b32 s16, s16
	v_mov_b32_e32 v4, 0x7f800001
	s_xor_b32 exec_lo, exec_lo, s16
	s_cbranch_execnz .LBB6_5481
.LBB6_3766:                             ;   in Loop: Header=BB6_3222 Depth=4
	s_or_b32 exec_lo, exec_lo, s16
	s_and_saveexec_b32 s16, s73
	s_cbranch_execz .LBB6_3768
.LBB6_3767:                             ;   in Loop: Header=BB6_3222 Depth=4
	v_bfe_u32 v4, v9, 16, 2
	v_bfe_u32 v5, v9, 18, 5
	v_ffbh_u32_e32 v6, v4
	v_cmp_eq_u32_e32 vcc_lo, 0, v5
	v_min_u32_e32 v6, 32, v6
	v_subrev_nc_u32_e32 v7, 29, v6
	v_sub_nc_u32_e32 v6, 30, v6
	v_lshlrev_b32_sdwa v7, v7, v9 dst_sel:DWORD dst_unused:UNUSED_PAD src0_sel:DWORD src1_sel:WORD_1
	v_cndmask_b32_e32 v5, v5, v6, vcc_lo
	v_lshlrev_b32_e32 v6, 8, v9
	v_and_b32_e32 v7, 3, v7
	v_lshl_add_u32 v5, v5, 23, 0x37800000
	v_and_b32_e32 v6, 0x80000000, v6
	v_cndmask_b32_e32 v4, v4, v7, vcc_lo
	v_lshlrev_b32_e32 v4, 21, v4
	v_or3_b32 v4, v6, v5, v4
.LBB6_3768:                             ;   in Loop: Header=BB6_3222 Depth=4
	s_or_b32 exec_lo, exec_lo, s16
	v_mul_f32_e32 v4, s72, v4
	v_mov_b32_e32 v108, 0x80
	s_mov_b32 s73, exec_lo
	v_and_b32_e32 v5, 0x7f800000, v4
	v_cmpx_ne_u32_e32 0x7f800000, v5
	s_cbranch_execz .LBB6_3776
; %bb.3769:                             ;   in Loop: Header=BB6_3222 Depth=4
	v_mov_b32_e32 v108, 0
	s_mov_b32 s74, exec_lo
	v_cmpx_ne_u32_e32 0, v4
	s_cbranch_execz .LBB6_3775
; %bb.3770:                             ;   in Loop: Header=BB6_3222 Depth=4
	v_bfe_u32 v6, v4, 23, 8
	v_and_b32_e32 v5, 0x7fffff, v4
	v_cmp_gt_u32_e64 s16, 0x71, v6
	v_sub_nc_u32_e32 v7, 0x70, v6
	v_cmp_eq_u32_e32 vcc_lo, 0, v6
	v_or_b32_e32 v8, 0x800000, v5
	v_cndmask_b32_e64 v7, 0, v7, s16
	v_cndmask_b32_e32 v5, v8, v5, vcc_lo
	v_cndmask_b32_e64 v7, v7, 0x6f, vcc_lo
	v_lshl_add_u32 v8, 0x200000, v7, -1
	v_lshlrev_b32_e64 v14, v7, 0x100000
	v_and_b32_e32 v8, v8, v5
	v_cmp_eq_u32_e64 s16, v8, v14
	v_lshrrev_b32_e32 v8, v7, v5
	v_add_nc_u32_e32 v5, 0xffffff91, v6
	v_lshrrev_b32_e32 v6, 23, v8
	v_cndmask_b32_e64 v5, v5, 0xffffff92, vcc_lo
	v_xor_b32_e32 v6, 1, v6
	v_add_nc_u32_e32 v5, v7, v5
	v_bfe_u32 v7, v8, 21, 1
	v_add_nc_u32_e32 v7, -1, v7
	v_cndmask_b32_e64 v7, 0, v7, s16
	s_mov_b32 s16, exec_lo
	v_add_nc_u32_e32 v7, v7, v8
	v_and_b32_e32 v7, 0x1fffff, v7
	v_add_nc_u32_e32 v7, v7, v8
                                        ; implicit-def: $vgpr8
	v_cmpx_ne_u32_e64 v5, v6
	s_xor_b32 s16, exec_lo, s16
; %bb.3771:                             ;   in Loop: Header=BB6_3222 Depth=4
	v_cmp_lt_u32_e32 vcc_lo, 0xffffff, v7
	v_sub_nc_u32_e32 v5, v5, v6
	v_cndmask_b32_e64 v6, 0, 1, vcc_lo
	v_add_co_ci_u32_e64 v8, null, 0, v5, vcc_lo
	v_lshrrev_b32_e32 v7, v6, v7
; %bb.3772:                             ;   in Loop: Header=BB6_3222 Depth=4
	s_andn2_saveexec_b32 s16, s16
; %bb.3773:                             ;   in Loop: Header=BB6_3222 Depth=4
	v_bfe_u32 v8, v7, 23, 1
; %bb.3774:                             ;   in Loop: Header=BB6_3222 Depth=4
	s_or_b32 exec_lo, exec_lo, s16
	v_lshrrev_b32_e32 v5, 21, v7
	v_min_i32_e32 v6, 31, v8
	v_cmp_gt_i32_e32 vcc_lo, 32, v8
	v_and_b32_sdwa v4, v4, v117 dst_sel:DWORD dst_unused:UNUSED_PAD src0_sel:BYTE_3 src1_sel:DWORD
	v_lshlrev_b32_e32 v6, 2, v6
	v_cndmask_b32_e32 v5, 3, v5, vcc_lo
	v_and_b32_e32 v6, 0xfc, v6
	v_or_b32_e32 v7, v8, v5
	v_and_b32_e32 v5, 3, v5
	v_cmp_ne_u32_e32 vcc_lo, 0, v7
	v_or3_b32 v4, v6, v4, v5
	v_cndmask_b32_e32 v108, 0, v4, vcc_lo
.LBB6_3775:                             ;   in Loop: Header=BB6_3222 Depth=4
	s_or_b32 exec_lo, exec_lo, s74
.LBB6_3776:                             ;   in Loop: Header=BB6_3222 Depth=4
	s_or_b32 exec_lo, exec_lo, s73
	v_cmp_gt_i16_sdwa s73, v9, v116 src0_sel:BYTE_3 src1_sel:DWORD
	s_mov_b32 s16, 0
	s_and_saveexec_b32 s74, s73
	s_xor_b32 s73, exec_lo, s74
	s_cbranch_execz .LBB6_5482
; %bb.3777:                             ;   in Loop: Header=BB6_3222 Depth=4
	v_cmp_eq_u16_sdwa s75, v9, v117 src0_sel:BYTE_3 src1_sel:DWORD
	s_mov_b32 s16, -1
	s_and_saveexec_b32 s74, s75
; %bb.3778:                             ;   in Loop: Header=BB6_3222 Depth=4
	s_xor_b32 s16, exec_lo, -1
; %bb.3779:                             ;   in Loop: Header=BB6_3222 Depth=4
	s_or_b32 exec_lo, exec_lo, s74
	s_and_b32 s16, s16, exec_lo
	s_or_saveexec_b32 s73, s73
	v_mov_b32_e32 v4, 0x7f800001
	s_xor_b32 exec_lo, exec_lo, s73
	s_cbranch_execnz .LBB6_5483
.LBB6_3780:                             ;   in Loop: Header=BB6_3222 Depth=4
	s_or_b32 exec_lo, exec_lo, s73
	s_and_saveexec_b32 s73, s16
	s_cbranch_execz .LBB6_3782
.LBB6_3781:                             ;   in Loop: Header=BB6_3222 Depth=4
	v_bfe_u32 v4, v9, 24, 2
	v_bfe_u32 v7, v9, 26, 5
	v_ffbh_u32_e32 v5, v4
	v_cmp_eq_u32_e32 vcc_lo, 0, v7
	v_min_u32_e32 v5, 32, v5
	v_subrev_nc_u32_e32 v6, 29, v5
	v_sub_nc_u32_e32 v5, 30, v5
	v_lshlrev_b32_sdwa v6, v6, v9 dst_sel:DWORD dst_unused:UNUSED_PAD src0_sel:DWORD src1_sel:BYTE_3
	v_cndmask_b32_e32 v5, v7, v5, vcc_lo
	v_and_b32_e32 v6, 3, v6
	v_lshl_add_u32 v5, v5, 23, 0x37800000
	v_cndmask_b32_e32 v4, v4, v6, vcc_lo
	v_and_b32_e32 v6, 0x80000000, v9
	v_lshlrev_b32_e32 v4, 21, v4
	v_or3_b32 v4, v6, v5, v4
.LBB6_3782:                             ;   in Loop: Header=BB6_3222 Depth=4
	s_or_b32 exec_lo, exec_lo, s73
	v_mul_f32_e32 v4, s72, v4
	v_mov_b32_e32 v110, 0x8000
	s_mov_b32 s73, exec_lo
	v_and_b32_e32 v5, 0x7f800000, v4
	v_cmpx_ne_u32_e32 0x7f800000, v5
	s_cbranch_execz .LBB6_3790
; %bb.3783:                             ;   in Loop: Header=BB6_3222 Depth=4
	v_mov_b32_e32 v110, 0
	s_mov_b32 s74, exec_lo
	v_cmpx_ne_u32_e32 0, v4
	s_cbranch_execz .LBB6_3789
; %bb.3784:                             ;   in Loop: Header=BB6_3222 Depth=4
	v_bfe_u32 v6, v4, 23, 8
	v_and_b32_e32 v5, 0x7fffff, v4
	v_cmp_gt_u32_e64 s16, 0x71, v6
	v_sub_nc_u32_e32 v7, 0x70, v6
	v_cmp_eq_u32_e32 vcc_lo, 0, v6
	v_or_b32_e32 v8, 0x800000, v5
	v_cndmask_b32_e64 v7, 0, v7, s16
	v_cndmask_b32_e32 v5, v8, v5, vcc_lo
	v_cndmask_b32_e64 v7, v7, 0x6f, vcc_lo
	v_lshl_add_u32 v8, 0x200000, v7, -1
	v_lshlrev_b32_e64 v9, v7, 0x100000
	v_and_b32_e32 v8, v8, v5
	v_cmp_eq_u32_e64 s16, v8, v9
	v_lshrrev_b32_e32 v8, v7, v5
	v_add_nc_u32_e32 v5, 0xffffff91, v6
	v_lshrrev_b32_e32 v6, 23, v8
	v_cndmask_b32_e64 v5, v5, 0xffffff92, vcc_lo
	v_xor_b32_e32 v6, 1, v6
	v_add_nc_u32_e32 v5, v7, v5
	v_bfe_u32 v7, v8, 21, 1
	v_add_nc_u32_e32 v7, -1, v7
	v_cndmask_b32_e64 v7, 0, v7, s16
	s_mov_b32 s16, exec_lo
	v_add_nc_u32_e32 v7, v7, v8
	v_and_b32_e32 v7, 0x1fffff, v7
	v_add_nc_u32_e32 v7, v7, v8
                                        ; implicit-def: $vgpr8
	v_cmpx_ne_u32_e64 v5, v6
	s_xor_b32 s16, exec_lo, s16
; %bb.3785:                             ;   in Loop: Header=BB6_3222 Depth=4
	v_cmp_lt_u32_e32 vcc_lo, 0xffffff, v7
	v_sub_nc_u32_e32 v5, v5, v6
	v_cndmask_b32_e64 v6, 0, 1, vcc_lo
	v_add_co_ci_u32_e64 v8, null, 0, v5, vcc_lo
	v_lshrrev_b32_e32 v7, v6, v7
; %bb.3786:                             ;   in Loop: Header=BB6_3222 Depth=4
	s_andn2_saveexec_b32 s16, s16
; %bb.3787:                             ;   in Loop: Header=BB6_3222 Depth=4
	v_bfe_u32 v8, v7, 23, 1
; %bb.3788:                             ;   in Loop: Header=BB6_3222 Depth=4
	s_or_b32 exec_lo, exec_lo, s16
	v_lshrrev_b32_e32 v5, 21, v7
	v_min_i32_e32 v6, 31, v8
	v_cmp_gt_i32_e32 vcc_lo, 32, v8
	v_and_b32_sdwa v4, v4, v117 dst_sel:DWORD dst_unused:UNUSED_PAD src0_sel:BYTE_3 src1_sel:DWORD
	v_lshlrev_b32_e32 v6, 2, v6
	v_cndmask_b32_e32 v5, 3, v5, vcc_lo
	v_and_b32_e32 v6, 0xfc, v6
	v_or_b32_e32 v7, v8, v5
	v_and_b32_e32 v5, 3, v5
	v_cmp_ne_u32_e32 vcc_lo, 0, v7
	v_or3_b32 v4, v4, v6, v5
	v_lshlrev_b32_e32 v4, 8, v4
	v_cndmask_b32_e32 v110, 0, v4, vcc_lo
.LBB6_3789:                             ;   in Loop: Header=BB6_3222 Depth=4
	s_or_b32 exec_lo, exec_lo, s74
.LBB6_3790:                             ;   in Loop: Header=BB6_3222 Depth=4
	s_or_b32 exec_lo, exec_lo, s73
	v_cmp_gt_i16_sdwa s16, v10, v116 src0_sel:BYTE_0 src1_sel:DWORD
	s_mov_b32 s73, 0
	s_and_saveexec_b32 s74, s16
	s_xor_b32 s16, exec_lo, s74
	s_cbranch_execz .LBB6_5484
; %bb.3791:                             ;   in Loop: Header=BB6_3222 Depth=4
	v_cmp_eq_u16_sdwa s75, v10, v117 src0_sel:BYTE_0 src1_sel:DWORD
	s_mov_b32 s73, -1
	s_and_saveexec_b32 s74, s75
; %bb.3792:                             ;   in Loop: Header=BB6_3222 Depth=4
	s_xor_b32 s73, exec_lo, -1
; %bb.3793:                             ;   in Loop: Header=BB6_3222 Depth=4
	s_or_b32 exec_lo, exec_lo, s74
	s_and_b32 s73, s73, exec_lo
	s_or_saveexec_b32 s16, s16
	v_mov_b32_e32 v4, 0x7f800001
	s_xor_b32 exec_lo, exec_lo, s16
	s_cbranch_execnz .LBB6_5485
.LBB6_3794:                             ;   in Loop: Header=BB6_3222 Depth=4
	s_or_b32 exec_lo, exec_lo, s16
	s_and_saveexec_b32 s16, s73
	s_cbranch_execz .LBB6_3796
.LBB6_3795:                             ;   in Loop: Header=BB6_3222 Depth=4
	v_and_b32_e32 v4, 3, v10
	v_bfe_u32 v5, v10, 2, 5
	v_ffbh_u32_e32 v6, v4
	v_cmp_eq_u32_e32 vcc_lo, 0, v5
	v_min_u32_e32 v6, 32, v6
	v_subrev_nc_u32_e32 v7, 29, v6
	v_sub_nc_u32_e32 v6, 30, v6
	v_lshlrev_b32_e32 v7, v7, v10
	v_cndmask_b32_e32 v5, v5, v6, vcc_lo
	v_lshlrev_b32_e32 v6, 24, v10
	v_and_b32_e32 v7, 3, v7
	v_lshl_add_u32 v5, v5, 23, 0x37800000
	v_and_b32_e32 v6, 0x80000000, v6
	v_cndmask_b32_e32 v4, v4, v7, vcc_lo
	v_lshlrev_b32_e32 v4, 21, v4
	v_or3_b32 v4, v6, v5, v4
.LBB6_3796:                             ;   in Loop: Header=BB6_3222 Depth=4
	s_or_b32 exec_lo, exec_lo, s16
	v_mul_f32_e32 v4, s72, v4
	v_mov_b32_e32 v106, 0x80
	s_mov_b32 s73, exec_lo
	v_and_b32_e32 v5, 0x7f800000, v4
	v_cmpx_ne_u32_e32 0x7f800000, v5
	s_cbranch_execz .LBB6_3804
; %bb.3797:                             ;   in Loop: Header=BB6_3222 Depth=4
	v_mov_b32_e32 v106, 0
	s_mov_b32 s74, exec_lo
	v_cmpx_ne_u32_e32 0, v4
	s_cbranch_execz .LBB6_3803
; %bb.3798:                             ;   in Loop: Header=BB6_3222 Depth=4
	v_bfe_u32 v6, v4, 23, 8
	v_and_b32_e32 v5, 0x7fffff, v4
	v_cmp_gt_u32_e64 s16, 0x71, v6
	v_sub_nc_u32_e32 v7, 0x70, v6
	v_cmp_eq_u32_e32 vcc_lo, 0, v6
	v_or_b32_e32 v8, 0x800000, v5
	v_cndmask_b32_e64 v7, 0, v7, s16
	v_cndmask_b32_e32 v5, v8, v5, vcc_lo
	v_cndmask_b32_e64 v7, v7, 0x6f, vcc_lo
	v_lshl_add_u32 v8, 0x200000, v7, -1
	v_lshlrev_b32_e64 v9, v7, 0x100000
	v_and_b32_e32 v8, v8, v5
	v_cmp_eq_u32_e64 s16, v8, v9
	v_lshrrev_b32_e32 v8, v7, v5
	v_add_nc_u32_e32 v5, 0xffffff91, v6
	v_lshrrev_b32_e32 v6, 23, v8
	v_cndmask_b32_e64 v5, v5, 0xffffff92, vcc_lo
	v_xor_b32_e32 v6, 1, v6
	v_add_nc_u32_e32 v5, v7, v5
	v_bfe_u32 v7, v8, 21, 1
	v_add_nc_u32_e32 v7, -1, v7
	v_cndmask_b32_e64 v7, 0, v7, s16
	s_mov_b32 s16, exec_lo
	v_add_nc_u32_e32 v7, v7, v8
	v_and_b32_e32 v7, 0x1fffff, v7
	v_add_nc_u32_e32 v7, v7, v8
                                        ; implicit-def: $vgpr8
	v_cmpx_ne_u32_e64 v5, v6
	s_xor_b32 s16, exec_lo, s16
; %bb.3799:                             ;   in Loop: Header=BB6_3222 Depth=4
	v_cmp_lt_u32_e32 vcc_lo, 0xffffff, v7
	v_sub_nc_u32_e32 v5, v5, v6
	v_cndmask_b32_e64 v6, 0, 1, vcc_lo
	v_add_co_ci_u32_e64 v8, null, 0, v5, vcc_lo
	v_lshrrev_b32_e32 v7, v6, v7
; %bb.3800:                             ;   in Loop: Header=BB6_3222 Depth=4
	s_andn2_saveexec_b32 s16, s16
; %bb.3801:                             ;   in Loop: Header=BB6_3222 Depth=4
	v_bfe_u32 v8, v7, 23, 1
; %bb.3802:                             ;   in Loop: Header=BB6_3222 Depth=4
	s_or_b32 exec_lo, exec_lo, s16
	v_lshrrev_b32_e32 v5, 21, v7
	v_min_i32_e32 v6, 31, v8
	v_cmp_gt_i32_e32 vcc_lo, 32, v8
	v_and_b32_sdwa v4, v4, v117 dst_sel:DWORD dst_unused:UNUSED_PAD src0_sel:BYTE_3 src1_sel:DWORD
	v_lshlrev_b32_e32 v6, 2, v6
	v_cndmask_b32_e32 v5, 3, v5, vcc_lo
	v_and_b32_e32 v6, 0xfc, v6
	v_or_b32_e32 v7, v8, v5
	v_and_b32_e32 v5, 3, v5
	v_cmp_ne_u32_e32 vcc_lo, 0, v7
	v_or3_b32 v4, v6, v4, v5
	v_cndmask_b32_e32 v106, 0, v4, vcc_lo
.LBB6_3803:                             ;   in Loop: Header=BB6_3222 Depth=4
	s_or_b32 exec_lo, exec_lo, s74
.LBB6_3804:                             ;   in Loop: Header=BB6_3222 Depth=4
	s_or_b32 exec_lo, exec_lo, s73
	v_cmp_gt_i16_sdwa s73, v10, v116 src0_sel:BYTE_1 src1_sel:DWORD
	s_mov_b32 s16, 0
	s_and_saveexec_b32 s74, s73
	s_xor_b32 s73, exec_lo, s74
	s_cbranch_execz .LBB6_5486
; %bb.3805:                             ;   in Loop: Header=BB6_3222 Depth=4
	v_cmp_eq_u16_sdwa s75, v10, v117 src0_sel:BYTE_1 src1_sel:DWORD
	s_mov_b32 s16, -1
	s_and_saveexec_b32 s74, s75
; %bb.3806:                             ;   in Loop: Header=BB6_3222 Depth=4
	s_xor_b32 s16, exec_lo, -1
; %bb.3807:                             ;   in Loop: Header=BB6_3222 Depth=4
	s_or_b32 exec_lo, exec_lo, s74
	s_and_b32 s16, s16, exec_lo
	s_or_saveexec_b32 s73, s73
	v_mov_b32_e32 v4, 0x7f800001
	s_xor_b32 exec_lo, exec_lo, s73
	s_cbranch_execnz .LBB6_5487
.LBB6_3808:                             ;   in Loop: Header=BB6_3222 Depth=4
	s_or_b32 exec_lo, exec_lo, s73
	s_and_saveexec_b32 s73, s16
	s_cbranch_execz .LBB6_3810
.LBB6_3809:                             ;   in Loop: Header=BB6_3222 Depth=4
	v_and_b32_sdwa v4, v118, v10 dst_sel:DWORD dst_unused:UNUSED_PAD src0_sel:DWORD src1_sel:BYTE_1
	v_and_b32_e32 v5, 3, v4
	v_bfe_u32 v8, v4, 2, 5
	v_ffbh_u32_e32 v6, v5
	v_cmp_eq_u32_e32 vcc_lo, 0, v8
	v_min_u32_e32 v6, 32, v6
	v_subrev_nc_u32_e32 v7, 29, v6
	v_sub_nc_u32_e32 v6, 30, v6
	v_lshlrev_b32_e32 v4, v7, v4
	v_lshlrev_b32_sdwa v7, v119, v10 dst_sel:DWORD dst_unused:UNUSED_PAD src0_sel:DWORD src1_sel:BYTE_1
	v_cndmask_b32_e32 v6, v8, v6, vcc_lo
	v_and_b32_e32 v4, 3, v4
	v_lshl_add_u32 v6, v6, 23, 0x37800000
	v_cndmask_b32_e32 v4, v5, v4, vcc_lo
	v_and_b32_e32 v5, 0x80000000, v7
	v_lshlrev_b32_e32 v4, 21, v4
	v_or3_b32 v4, v5, v6, v4
.LBB6_3810:                             ;   in Loop: Header=BB6_3222 Depth=4
	s_or_b32 exec_lo, exec_lo, s73
	v_mul_f32_e32 v4, s72, v4
	v_mov_b32_e32 v109, 0x8000
	s_mov_b32 s73, exec_lo
	v_and_b32_e32 v5, 0x7f800000, v4
	v_cmpx_ne_u32_e32 0x7f800000, v5
	s_cbranch_execz .LBB6_3818
; %bb.3811:                             ;   in Loop: Header=BB6_3222 Depth=4
	v_mov_b32_e32 v109, 0
	s_mov_b32 s74, exec_lo
	v_cmpx_ne_u32_e32 0, v4
	s_cbranch_execz .LBB6_3817
; %bb.3812:                             ;   in Loop: Header=BB6_3222 Depth=4
	v_bfe_u32 v6, v4, 23, 8
	v_and_b32_e32 v5, 0x7fffff, v4
	v_cmp_gt_u32_e64 s16, 0x71, v6
	v_sub_nc_u32_e32 v7, 0x70, v6
	v_cmp_eq_u32_e32 vcc_lo, 0, v6
	v_or_b32_e32 v8, 0x800000, v5
	v_cndmask_b32_e64 v7, 0, v7, s16
	v_cndmask_b32_e32 v5, v8, v5, vcc_lo
	v_cndmask_b32_e64 v7, v7, 0x6f, vcc_lo
	v_lshl_add_u32 v8, 0x200000, v7, -1
	v_lshlrev_b32_e64 v9, v7, 0x100000
	v_and_b32_e32 v8, v8, v5
	v_cmp_eq_u32_e64 s16, v8, v9
	v_lshrrev_b32_e32 v8, v7, v5
	v_add_nc_u32_e32 v5, 0xffffff91, v6
	v_lshrrev_b32_e32 v6, 23, v8
	v_cndmask_b32_e64 v5, v5, 0xffffff92, vcc_lo
	v_xor_b32_e32 v6, 1, v6
	v_add_nc_u32_e32 v5, v7, v5
	v_bfe_u32 v7, v8, 21, 1
	v_add_nc_u32_e32 v7, -1, v7
	v_cndmask_b32_e64 v7, 0, v7, s16
	s_mov_b32 s16, exec_lo
	v_add_nc_u32_e32 v7, v7, v8
	v_and_b32_e32 v7, 0x1fffff, v7
	v_add_nc_u32_e32 v7, v7, v8
                                        ; implicit-def: $vgpr8
	v_cmpx_ne_u32_e64 v5, v6
	s_xor_b32 s16, exec_lo, s16
; %bb.3813:                             ;   in Loop: Header=BB6_3222 Depth=4
	v_cmp_lt_u32_e32 vcc_lo, 0xffffff, v7
	v_sub_nc_u32_e32 v5, v5, v6
	v_cndmask_b32_e64 v6, 0, 1, vcc_lo
	v_add_co_ci_u32_e64 v8, null, 0, v5, vcc_lo
	v_lshrrev_b32_e32 v7, v6, v7
; %bb.3814:                             ;   in Loop: Header=BB6_3222 Depth=4
	s_andn2_saveexec_b32 s16, s16
; %bb.3815:                             ;   in Loop: Header=BB6_3222 Depth=4
	v_bfe_u32 v8, v7, 23, 1
; %bb.3816:                             ;   in Loop: Header=BB6_3222 Depth=4
	s_or_b32 exec_lo, exec_lo, s16
	v_lshrrev_b32_e32 v5, 21, v7
	v_min_i32_e32 v6, 31, v8
	v_cmp_gt_i32_e32 vcc_lo, 32, v8
	v_and_b32_sdwa v4, v4, v117 dst_sel:DWORD dst_unused:UNUSED_PAD src0_sel:BYTE_3 src1_sel:DWORD
	v_lshlrev_b32_e32 v6, 2, v6
	v_cndmask_b32_e32 v5, 3, v5, vcc_lo
	v_and_b32_e32 v6, 0xfc, v6
	v_or_b32_e32 v7, v8, v5
	v_and_b32_e32 v5, 3, v5
	v_cmp_ne_u32_e32 vcc_lo, 0, v7
	v_or3_b32 v4, v4, v6, v5
	v_lshlrev_b32_e32 v4, 8, v4
	v_cndmask_b32_e32 v109, 0, v4, vcc_lo
.LBB6_3817:                             ;   in Loop: Header=BB6_3222 Depth=4
	s_or_b32 exec_lo, exec_lo, s74
.LBB6_3818:                             ;   in Loop: Header=BB6_3222 Depth=4
	s_or_b32 exec_lo, exec_lo, s73
	v_and_b32_sdwa v5, v10, v40 dst_sel:DWORD dst_unused:UNUSED_PAD src0_sel:WORD_1 src1_sel:DWORD
	s_mov_b32 s73, 0
	s_mov_b32 s16, exec_lo
	v_cmpx_lt_i16_e32 0x7f, v5
	s_xor_b32 s16, exec_lo, s16
	s_cbranch_execz .LBB6_5488
; %bb.3819:                             ;   in Loop: Header=BB6_3222 Depth=4
	s_mov_b32 s73, -1
	s_mov_b32 s74, exec_lo
	v_cmpx_eq_u16_e32 0x80, v5
; %bb.3820:                             ;   in Loop: Header=BB6_3222 Depth=4
	s_xor_b32 s73, exec_lo, -1
; %bb.3821:                             ;   in Loop: Header=BB6_3222 Depth=4
	s_or_b32 exec_lo, exec_lo, s74
	s_and_b32 s73, s73, exec_lo
                                        ; implicit-def: $vgpr5
	s_or_saveexec_b32 s16, s16
	v_mov_b32_e32 v4, 0x7f800001
	s_xor_b32 exec_lo, exec_lo, s16
	s_cbranch_execnz .LBB6_5489
.LBB6_3822:                             ;   in Loop: Header=BB6_3222 Depth=4
	s_or_b32 exec_lo, exec_lo, s16
	s_and_saveexec_b32 s16, s73
	s_cbranch_execz .LBB6_3824
.LBB6_3823:                             ;   in Loop: Header=BB6_3222 Depth=4
	v_bfe_u32 v4, v10, 16, 2
	v_bfe_u32 v5, v10, 18, 5
	v_ffbh_u32_e32 v6, v4
	v_cmp_eq_u32_e32 vcc_lo, 0, v5
	v_min_u32_e32 v6, 32, v6
	v_subrev_nc_u32_e32 v7, 29, v6
	v_sub_nc_u32_e32 v6, 30, v6
	v_lshlrev_b32_sdwa v7, v7, v10 dst_sel:DWORD dst_unused:UNUSED_PAD src0_sel:DWORD src1_sel:WORD_1
	v_cndmask_b32_e32 v5, v5, v6, vcc_lo
	v_lshlrev_b32_e32 v6, 8, v10
	v_and_b32_e32 v7, 3, v7
	v_lshl_add_u32 v5, v5, 23, 0x37800000
	v_and_b32_e32 v6, 0x80000000, v6
	v_cndmask_b32_e32 v4, v4, v7, vcc_lo
	v_lshlrev_b32_e32 v4, 21, v4
	v_or3_b32 v4, v6, v5, v4
.LBB6_3824:                             ;   in Loop: Header=BB6_3222 Depth=4
	s_or_b32 exec_lo, exec_lo, s16
	v_mul_f32_e32 v4, s72, v4
	v_mov_b32_e32 v104, 0x80
	s_mov_b32 s73, exec_lo
	v_and_b32_e32 v5, 0x7f800000, v4
	v_cmpx_ne_u32_e32 0x7f800000, v5
	s_cbranch_execz .LBB6_3832
; %bb.3825:                             ;   in Loop: Header=BB6_3222 Depth=4
	v_mov_b32_e32 v104, 0
	s_mov_b32 s74, exec_lo
	v_cmpx_ne_u32_e32 0, v4
	s_cbranch_execz .LBB6_3831
; %bb.3826:                             ;   in Loop: Header=BB6_3222 Depth=4
	v_bfe_u32 v6, v4, 23, 8
	v_and_b32_e32 v5, 0x7fffff, v4
	v_cmp_gt_u32_e64 s16, 0x71, v6
	v_sub_nc_u32_e32 v7, 0x70, v6
	v_cmp_eq_u32_e32 vcc_lo, 0, v6
	v_or_b32_e32 v8, 0x800000, v5
	v_cndmask_b32_e64 v7, 0, v7, s16
	v_cndmask_b32_e32 v5, v8, v5, vcc_lo
	v_cndmask_b32_e64 v7, v7, 0x6f, vcc_lo
	v_lshl_add_u32 v8, 0x200000, v7, -1
	v_lshlrev_b32_e64 v9, v7, 0x100000
	v_and_b32_e32 v8, v8, v5
	v_cmp_eq_u32_e64 s16, v8, v9
	v_lshrrev_b32_e32 v8, v7, v5
	v_add_nc_u32_e32 v5, 0xffffff91, v6
	v_lshrrev_b32_e32 v6, 23, v8
	v_cndmask_b32_e64 v5, v5, 0xffffff92, vcc_lo
	v_xor_b32_e32 v6, 1, v6
	v_add_nc_u32_e32 v5, v7, v5
	v_bfe_u32 v7, v8, 21, 1
	v_add_nc_u32_e32 v7, -1, v7
	v_cndmask_b32_e64 v7, 0, v7, s16
	s_mov_b32 s16, exec_lo
	v_add_nc_u32_e32 v7, v7, v8
	v_and_b32_e32 v7, 0x1fffff, v7
	v_add_nc_u32_e32 v7, v7, v8
                                        ; implicit-def: $vgpr8
	v_cmpx_ne_u32_e64 v5, v6
	s_xor_b32 s16, exec_lo, s16
; %bb.3827:                             ;   in Loop: Header=BB6_3222 Depth=4
	v_cmp_lt_u32_e32 vcc_lo, 0xffffff, v7
	v_sub_nc_u32_e32 v5, v5, v6
	v_cndmask_b32_e64 v6, 0, 1, vcc_lo
	v_add_co_ci_u32_e64 v8, null, 0, v5, vcc_lo
	v_lshrrev_b32_e32 v7, v6, v7
; %bb.3828:                             ;   in Loop: Header=BB6_3222 Depth=4
	s_andn2_saveexec_b32 s16, s16
; %bb.3829:                             ;   in Loop: Header=BB6_3222 Depth=4
	v_bfe_u32 v8, v7, 23, 1
; %bb.3830:                             ;   in Loop: Header=BB6_3222 Depth=4
	s_or_b32 exec_lo, exec_lo, s16
	v_lshrrev_b32_e32 v5, 21, v7
	v_min_i32_e32 v6, 31, v8
	v_cmp_gt_i32_e32 vcc_lo, 32, v8
	v_and_b32_sdwa v4, v4, v117 dst_sel:DWORD dst_unused:UNUSED_PAD src0_sel:BYTE_3 src1_sel:DWORD
	v_lshlrev_b32_e32 v6, 2, v6
	v_cndmask_b32_e32 v5, 3, v5, vcc_lo
	v_and_b32_e32 v6, 0xfc, v6
	v_or_b32_e32 v7, v8, v5
	v_and_b32_e32 v5, 3, v5
	v_cmp_ne_u32_e32 vcc_lo, 0, v7
	v_or3_b32 v4, v6, v4, v5
	v_cndmask_b32_e32 v104, 0, v4, vcc_lo
.LBB6_3831:                             ;   in Loop: Header=BB6_3222 Depth=4
	s_or_b32 exec_lo, exec_lo, s74
.LBB6_3832:                             ;   in Loop: Header=BB6_3222 Depth=4
	s_or_b32 exec_lo, exec_lo, s73
	v_cmp_gt_i16_sdwa s73, v10, v116 src0_sel:BYTE_3 src1_sel:DWORD
	s_mov_b32 s16, 0
	s_and_saveexec_b32 s74, s73
	s_xor_b32 s73, exec_lo, s74
	s_cbranch_execz .LBB6_5490
; %bb.3833:                             ;   in Loop: Header=BB6_3222 Depth=4
	v_cmp_eq_u16_sdwa s75, v10, v117 src0_sel:BYTE_3 src1_sel:DWORD
	s_mov_b32 s16, -1
	s_and_saveexec_b32 s74, s75
; %bb.3834:                             ;   in Loop: Header=BB6_3222 Depth=4
	s_xor_b32 s16, exec_lo, -1
; %bb.3835:                             ;   in Loop: Header=BB6_3222 Depth=4
	s_or_b32 exec_lo, exec_lo, s74
	s_and_b32 s16, s16, exec_lo
	s_or_saveexec_b32 s73, s73
	v_mov_b32_e32 v4, 0x7f800001
	s_xor_b32 exec_lo, exec_lo, s73
	s_cbranch_execnz .LBB6_5491
.LBB6_3836:                             ;   in Loop: Header=BB6_3222 Depth=4
	s_or_b32 exec_lo, exec_lo, s73
	s_and_saveexec_b32 s73, s16
	s_cbranch_execz .LBB6_3838
.LBB6_3837:                             ;   in Loop: Header=BB6_3222 Depth=4
	v_bfe_u32 v4, v10, 24, 2
	v_bfe_u32 v7, v10, 26, 5
	v_ffbh_u32_e32 v5, v4
	v_cmp_eq_u32_e32 vcc_lo, 0, v7
	v_min_u32_e32 v5, 32, v5
	v_subrev_nc_u32_e32 v6, 29, v5
	v_sub_nc_u32_e32 v5, 30, v5
	v_lshlrev_b32_sdwa v6, v6, v10 dst_sel:DWORD dst_unused:UNUSED_PAD src0_sel:DWORD src1_sel:BYTE_3
	v_cndmask_b32_e32 v5, v7, v5, vcc_lo
	v_and_b32_e32 v6, 3, v6
	v_lshl_add_u32 v5, v5, 23, 0x37800000
	v_cndmask_b32_e32 v4, v4, v6, vcc_lo
	v_and_b32_e32 v6, 0x80000000, v10
	v_lshlrev_b32_e32 v4, 21, v4
	v_or3_b32 v4, v6, v5, v4
.LBB6_3838:                             ;   in Loop: Header=BB6_3222 Depth=4
	s_or_b32 exec_lo, exec_lo, s73
	v_mul_f32_e32 v4, s72, v4
	v_mov_b32_e32 v112, 0x8000
	s_mov_b32 s73, exec_lo
	v_and_b32_e32 v5, 0x7f800000, v4
	v_cmpx_ne_u32_e32 0x7f800000, v5
	s_cbranch_execz .LBB6_3846
; %bb.3839:                             ;   in Loop: Header=BB6_3222 Depth=4
	v_mov_b32_e32 v112, 0
	s_mov_b32 s74, exec_lo
	v_cmpx_ne_u32_e32 0, v4
	s_cbranch_execz .LBB6_3845
; %bb.3840:                             ;   in Loop: Header=BB6_3222 Depth=4
	v_bfe_u32 v6, v4, 23, 8
	v_and_b32_e32 v5, 0x7fffff, v4
	v_cmp_gt_u32_e64 s16, 0x71, v6
	v_sub_nc_u32_e32 v7, 0x70, v6
	v_cmp_eq_u32_e32 vcc_lo, 0, v6
	v_or_b32_e32 v8, 0x800000, v5
	v_cndmask_b32_e64 v7, 0, v7, s16
	v_cndmask_b32_e32 v5, v8, v5, vcc_lo
	v_cndmask_b32_e64 v7, v7, 0x6f, vcc_lo
	v_lshl_add_u32 v8, 0x200000, v7, -1
	v_lshlrev_b32_e64 v9, v7, 0x100000
	v_and_b32_e32 v8, v8, v5
	v_cmp_eq_u32_e64 s16, v8, v9
	v_lshrrev_b32_e32 v8, v7, v5
	v_add_nc_u32_e32 v5, 0xffffff91, v6
	v_lshrrev_b32_e32 v6, 23, v8
	v_cndmask_b32_e64 v5, v5, 0xffffff92, vcc_lo
	v_xor_b32_e32 v6, 1, v6
	v_add_nc_u32_e32 v5, v7, v5
	v_bfe_u32 v7, v8, 21, 1
	v_add_nc_u32_e32 v7, -1, v7
	v_cndmask_b32_e64 v7, 0, v7, s16
	s_mov_b32 s16, exec_lo
	v_add_nc_u32_e32 v7, v7, v8
	v_and_b32_e32 v7, 0x1fffff, v7
	v_add_nc_u32_e32 v7, v7, v8
                                        ; implicit-def: $vgpr8
	v_cmpx_ne_u32_e64 v5, v6
	s_xor_b32 s16, exec_lo, s16
; %bb.3841:                             ;   in Loop: Header=BB6_3222 Depth=4
	v_cmp_lt_u32_e32 vcc_lo, 0xffffff, v7
	v_sub_nc_u32_e32 v5, v5, v6
	v_cndmask_b32_e64 v6, 0, 1, vcc_lo
	v_add_co_ci_u32_e64 v8, null, 0, v5, vcc_lo
	v_lshrrev_b32_e32 v7, v6, v7
; %bb.3842:                             ;   in Loop: Header=BB6_3222 Depth=4
	s_andn2_saveexec_b32 s16, s16
; %bb.3843:                             ;   in Loop: Header=BB6_3222 Depth=4
	v_bfe_u32 v8, v7, 23, 1
; %bb.3844:                             ;   in Loop: Header=BB6_3222 Depth=4
	s_or_b32 exec_lo, exec_lo, s16
	v_lshrrev_b32_e32 v5, 21, v7
	v_min_i32_e32 v6, 31, v8
	v_cmp_gt_i32_e32 vcc_lo, 32, v8
	v_and_b32_sdwa v4, v4, v117 dst_sel:DWORD dst_unused:UNUSED_PAD src0_sel:BYTE_3 src1_sel:DWORD
	v_lshlrev_b32_e32 v6, 2, v6
	v_cndmask_b32_e32 v5, 3, v5, vcc_lo
	v_and_b32_e32 v6, 0xfc, v6
	v_or_b32_e32 v7, v8, v5
	v_and_b32_e32 v5, 3, v5
	v_cmp_ne_u32_e32 vcc_lo, 0, v7
	v_or3_b32 v4, v4, v6, v5
	v_lshlrev_b32_e32 v4, 8, v4
	v_cndmask_b32_e32 v112, 0, v4, vcc_lo
.LBB6_3845:                             ;   in Loop: Header=BB6_3222 Depth=4
	s_or_b32 exec_lo, exec_lo, s74
.LBB6_3846:                             ;   in Loop: Header=BB6_3222 Depth=4
	s_or_b32 exec_lo, exec_lo, s73
	v_cmp_gt_i16_sdwa s16, v11, v116 src0_sel:BYTE_0 src1_sel:DWORD
	s_mov_b32 s73, 0
	s_and_saveexec_b32 s74, s16
	s_xor_b32 s16, exec_lo, s74
	s_cbranch_execz .LBB6_5492
; %bb.3847:                             ;   in Loop: Header=BB6_3222 Depth=4
	v_cmp_eq_u16_sdwa s75, v11, v117 src0_sel:BYTE_0 src1_sel:DWORD
	s_mov_b32 s73, -1
	s_and_saveexec_b32 s74, s75
; %bb.3848:                             ;   in Loop: Header=BB6_3222 Depth=4
	s_xor_b32 s73, exec_lo, -1
; %bb.3849:                             ;   in Loop: Header=BB6_3222 Depth=4
	s_or_b32 exec_lo, exec_lo, s74
	s_and_b32 s73, s73, exec_lo
	s_or_saveexec_b32 s16, s16
	v_mov_b32_e32 v4, 0x7f800001
	s_xor_b32 exec_lo, exec_lo, s16
	s_cbranch_execnz .LBB6_5493
.LBB6_3850:                             ;   in Loop: Header=BB6_3222 Depth=4
	s_or_b32 exec_lo, exec_lo, s16
	s_and_saveexec_b32 s16, s73
	s_cbranch_execz .LBB6_3852
.LBB6_3851:                             ;   in Loop: Header=BB6_3222 Depth=4
	v_and_b32_e32 v4, 3, v11
	v_bfe_u32 v5, v11, 2, 5
	v_ffbh_u32_e32 v6, v4
	v_cmp_eq_u32_e32 vcc_lo, 0, v5
	v_min_u32_e32 v6, 32, v6
	v_subrev_nc_u32_e32 v7, 29, v6
	v_sub_nc_u32_e32 v6, 30, v6
	v_lshlrev_b32_e32 v7, v7, v11
	v_cndmask_b32_e32 v5, v5, v6, vcc_lo
	v_lshlrev_b32_e32 v6, 24, v11
	v_and_b32_e32 v7, 3, v7
	v_lshl_add_u32 v5, v5, 23, 0x37800000
	v_and_b32_e32 v6, 0x80000000, v6
	v_cndmask_b32_e32 v4, v4, v7, vcc_lo
	v_lshlrev_b32_e32 v4, 21, v4
	v_or3_b32 v4, v6, v5, v4
.LBB6_3852:                             ;   in Loop: Header=BB6_3222 Depth=4
	s_or_b32 exec_lo, exec_lo, s16
	v_mul_f32_e32 v4, s72, v4
	v_mov_b32_e32 v51, 0x80
	s_mov_b32 s73, exec_lo
	v_and_b32_e32 v5, 0x7f800000, v4
	v_cmpx_ne_u32_e32 0x7f800000, v5
	s_cbranch_execz .LBB6_3860
; %bb.3853:                             ;   in Loop: Header=BB6_3222 Depth=4
	v_mov_b32_e32 v51, 0
	s_mov_b32 s74, exec_lo
	v_cmpx_ne_u32_e32 0, v4
	s_cbranch_execz .LBB6_3859
; %bb.3854:                             ;   in Loop: Header=BB6_3222 Depth=4
	v_bfe_u32 v6, v4, 23, 8
	v_and_b32_e32 v5, 0x7fffff, v4
	v_cmp_gt_u32_e64 s16, 0x71, v6
	v_sub_nc_u32_e32 v7, 0x70, v6
	v_cmp_eq_u32_e32 vcc_lo, 0, v6
	v_or_b32_e32 v8, 0x800000, v5
	v_cndmask_b32_e64 v7, 0, v7, s16
	v_cndmask_b32_e32 v5, v8, v5, vcc_lo
	v_cndmask_b32_e64 v7, v7, 0x6f, vcc_lo
	v_lshl_add_u32 v8, 0x200000, v7, -1
	v_lshlrev_b32_e64 v9, v7, 0x100000
	v_and_b32_e32 v8, v8, v5
	v_cmp_eq_u32_e64 s16, v8, v9
	v_lshrrev_b32_e32 v8, v7, v5
	v_add_nc_u32_e32 v5, 0xffffff91, v6
	v_lshrrev_b32_e32 v6, 23, v8
	v_cndmask_b32_e64 v5, v5, 0xffffff92, vcc_lo
	v_xor_b32_e32 v6, 1, v6
	v_add_nc_u32_e32 v5, v7, v5
	v_bfe_u32 v7, v8, 21, 1
	v_add_nc_u32_e32 v7, -1, v7
	v_cndmask_b32_e64 v7, 0, v7, s16
	s_mov_b32 s16, exec_lo
	v_add_nc_u32_e32 v7, v7, v8
	v_and_b32_e32 v7, 0x1fffff, v7
	v_add_nc_u32_e32 v7, v7, v8
                                        ; implicit-def: $vgpr8
	v_cmpx_ne_u32_e64 v5, v6
	s_xor_b32 s16, exec_lo, s16
; %bb.3855:                             ;   in Loop: Header=BB6_3222 Depth=4
	v_cmp_lt_u32_e32 vcc_lo, 0xffffff, v7
	v_sub_nc_u32_e32 v5, v5, v6
	v_cndmask_b32_e64 v6, 0, 1, vcc_lo
	v_add_co_ci_u32_e64 v8, null, 0, v5, vcc_lo
	v_lshrrev_b32_e32 v7, v6, v7
; %bb.3856:                             ;   in Loop: Header=BB6_3222 Depth=4
	s_andn2_saveexec_b32 s16, s16
; %bb.3857:                             ;   in Loop: Header=BB6_3222 Depth=4
	v_bfe_u32 v8, v7, 23, 1
; %bb.3858:                             ;   in Loop: Header=BB6_3222 Depth=4
	s_or_b32 exec_lo, exec_lo, s16
	v_lshrrev_b32_e32 v5, 21, v7
	v_min_i32_e32 v6, 31, v8
	v_cmp_gt_i32_e32 vcc_lo, 32, v8
	v_and_b32_sdwa v4, v4, v117 dst_sel:DWORD dst_unused:UNUSED_PAD src0_sel:BYTE_3 src1_sel:DWORD
	v_lshlrev_b32_e32 v6, 2, v6
	v_cndmask_b32_e32 v5, 3, v5, vcc_lo
	v_and_b32_e32 v6, 0xfc, v6
	v_or_b32_e32 v7, v8, v5
	v_and_b32_e32 v5, 3, v5
	v_cmp_ne_u32_e32 vcc_lo, 0, v7
	v_or3_b32 v4, v6, v4, v5
	v_cndmask_b32_e32 v51, 0, v4, vcc_lo
.LBB6_3859:                             ;   in Loop: Header=BB6_3222 Depth=4
	s_or_b32 exec_lo, exec_lo, s74
.LBB6_3860:                             ;   in Loop: Header=BB6_3222 Depth=4
	s_or_b32 exec_lo, exec_lo, s73
	v_cmp_gt_i16_sdwa s73, v11, v116 src0_sel:BYTE_1 src1_sel:DWORD
	s_mov_b32 s16, 0
	s_and_saveexec_b32 s74, s73
	s_xor_b32 s73, exec_lo, s74
	s_cbranch_execz .LBB6_5494
; %bb.3861:                             ;   in Loop: Header=BB6_3222 Depth=4
	v_cmp_eq_u16_sdwa s75, v11, v117 src0_sel:BYTE_1 src1_sel:DWORD
	s_mov_b32 s16, -1
	s_and_saveexec_b32 s74, s75
; %bb.3862:                             ;   in Loop: Header=BB6_3222 Depth=4
	s_xor_b32 s16, exec_lo, -1
; %bb.3863:                             ;   in Loop: Header=BB6_3222 Depth=4
	s_or_b32 exec_lo, exec_lo, s74
	s_and_b32 s16, s16, exec_lo
	s_or_saveexec_b32 s73, s73
	v_mov_b32_e32 v4, 0x7f800001
	s_xor_b32 exec_lo, exec_lo, s73
	s_cbranch_execnz .LBB6_5495
.LBB6_3864:                             ;   in Loop: Header=BB6_3222 Depth=4
	s_or_b32 exec_lo, exec_lo, s73
	s_and_saveexec_b32 s73, s16
	s_cbranch_execz .LBB6_3866
.LBB6_3865:                             ;   in Loop: Header=BB6_3222 Depth=4
	v_and_b32_sdwa v4, v118, v11 dst_sel:DWORD dst_unused:UNUSED_PAD src0_sel:DWORD src1_sel:BYTE_1
	v_and_b32_e32 v5, 3, v4
	v_bfe_u32 v8, v4, 2, 5
	v_ffbh_u32_e32 v6, v5
	v_cmp_eq_u32_e32 vcc_lo, 0, v8
	v_min_u32_e32 v6, 32, v6
	v_subrev_nc_u32_e32 v7, 29, v6
	v_sub_nc_u32_e32 v6, 30, v6
	v_lshlrev_b32_e32 v4, v7, v4
	v_lshlrev_b32_sdwa v7, v119, v11 dst_sel:DWORD dst_unused:UNUSED_PAD src0_sel:DWORD src1_sel:BYTE_1
	v_cndmask_b32_e32 v6, v8, v6, vcc_lo
	v_and_b32_e32 v4, 3, v4
	v_lshl_add_u32 v6, v6, 23, 0x37800000
	v_cndmask_b32_e32 v4, v5, v4, vcc_lo
	v_and_b32_e32 v5, 0x80000000, v7
	v_lshlrev_b32_e32 v4, 21, v4
	v_or3_b32 v4, v5, v6, v4
.LBB6_3866:                             ;   in Loop: Header=BB6_3222 Depth=4
	s_or_b32 exec_lo, exec_lo, s73
	v_mul_f32_e32 v4, s72, v4
	v_mov_b32_e32 v105, 0x8000
	s_mov_b32 s73, exec_lo
	v_and_b32_e32 v5, 0x7f800000, v4
	v_cmpx_ne_u32_e32 0x7f800000, v5
	s_cbranch_execz .LBB6_3874
; %bb.3867:                             ;   in Loop: Header=BB6_3222 Depth=4
	v_mov_b32_e32 v105, 0
	s_mov_b32 s74, exec_lo
	v_cmpx_ne_u32_e32 0, v4
	s_cbranch_execz .LBB6_3873
; %bb.3868:                             ;   in Loop: Header=BB6_3222 Depth=4
	v_bfe_u32 v6, v4, 23, 8
	v_and_b32_e32 v5, 0x7fffff, v4
	v_cmp_gt_u32_e64 s16, 0x71, v6
	v_sub_nc_u32_e32 v7, 0x70, v6
	v_cmp_eq_u32_e32 vcc_lo, 0, v6
	v_or_b32_e32 v8, 0x800000, v5
	v_cndmask_b32_e64 v7, 0, v7, s16
	v_cndmask_b32_e32 v5, v8, v5, vcc_lo
	v_cndmask_b32_e64 v7, v7, 0x6f, vcc_lo
	v_lshl_add_u32 v8, 0x200000, v7, -1
	v_lshlrev_b32_e64 v9, v7, 0x100000
	v_and_b32_e32 v8, v8, v5
	v_cmp_eq_u32_e64 s16, v8, v9
	v_lshrrev_b32_e32 v8, v7, v5
	v_add_nc_u32_e32 v5, 0xffffff91, v6
	v_lshrrev_b32_e32 v6, 23, v8
	v_cndmask_b32_e64 v5, v5, 0xffffff92, vcc_lo
	v_xor_b32_e32 v6, 1, v6
	v_add_nc_u32_e32 v5, v7, v5
	v_bfe_u32 v7, v8, 21, 1
	v_add_nc_u32_e32 v7, -1, v7
	v_cndmask_b32_e64 v7, 0, v7, s16
	s_mov_b32 s16, exec_lo
	v_add_nc_u32_e32 v7, v7, v8
	v_and_b32_e32 v7, 0x1fffff, v7
	v_add_nc_u32_e32 v7, v7, v8
                                        ; implicit-def: $vgpr8
	v_cmpx_ne_u32_e64 v5, v6
	s_xor_b32 s16, exec_lo, s16
; %bb.3869:                             ;   in Loop: Header=BB6_3222 Depth=4
	v_cmp_lt_u32_e32 vcc_lo, 0xffffff, v7
	v_sub_nc_u32_e32 v5, v5, v6
	v_cndmask_b32_e64 v6, 0, 1, vcc_lo
	v_add_co_ci_u32_e64 v8, null, 0, v5, vcc_lo
	v_lshrrev_b32_e32 v7, v6, v7
; %bb.3870:                             ;   in Loop: Header=BB6_3222 Depth=4
	s_andn2_saveexec_b32 s16, s16
; %bb.3871:                             ;   in Loop: Header=BB6_3222 Depth=4
	v_bfe_u32 v8, v7, 23, 1
; %bb.3872:                             ;   in Loop: Header=BB6_3222 Depth=4
	s_or_b32 exec_lo, exec_lo, s16
	v_lshrrev_b32_e32 v5, 21, v7
	v_min_i32_e32 v6, 31, v8
	v_cmp_gt_i32_e32 vcc_lo, 32, v8
	v_and_b32_sdwa v4, v4, v117 dst_sel:DWORD dst_unused:UNUSED_PAD src0_sel:BYTE_3 src1_sel:DWORD
	v_lshlrev_b32_e32 v6, 2, v6
	v_cndmask_b32_e32 v5, 3, v5, vcc_lo
	v_and_b32_e32 v6, 0xfc, v6
	v_or_b32_e32 v7, v8, v5
	v_and_b32_e32 v5, 3, v5
	v_cmp_ne_u32_e32 vcc_lo, 0, v7
	v_or3_b32 v4, v4, v6, v5
	v_lshlrev_b32_e32 v4, 8, v4
	v_cndmask_b32_e32 v105, 0, v4, vcc_lo
.LBB6_3873:                             ;   in Loop: Header=BB6_3222 Depth=4
	s_or_b32 exec_lo, exec_lo, s74
.LBB6_3874:                             ;   in Loop: Header=BB6_3222 Depth=4
	s_or_b32 exec_lo, exec_lo, s73
	v_and_b32_sdwa v5, v11, v40 dst_sel:DWORD dst_unused:UNUSED_PAD src0_sel:WORD_1 src1_sel:DWORD
	s_mov_b32 s73, 0
	s_mov_b32 s16, exec_lo
	v_cmpx_lt_i16_e32 0x7f, v5
	s_xor_b32 s16, exec_lo, s16
	s_cbranch_execz .LBB6_5496
; %bb.3875:                             ;   in Loop: Header=BB6_3222 Depth=4
	s_mov_b32 s73, -1
	s_mov_b32 s74, exec_lo
	v_cmpx_eq_u16_e32 0x80, v5
; %bb.3876:                             ;   in Loop: Header=BB6_3222 Depth=4
	s_xor_b32 s73, exec_lo, -1
; %bb.3877:                             ;   in Loop: Header=BB6_3222 Depth=4
	s_or_b32 exec_lo, exec_lo, s74
	s_and_b32 s73, s73, exec_lo
                                        ; implicit-def: $vgpr5
	s_or_saveexec_b32 s16, s16
	v_mov_b32_e32 v4, 0x7f800001
	s_xor_b32 exec_lo, exec_lo, s16
	s_cbranch_execnz .LBB6_5497
.LBB6_3878:                             ;   in Loop: Header=BB6_3222 Depth=4
	s_or_b32 exec_lo, exec_lo, s16
	s_and_saveexec_b32 s16, s73
	s_cbranch_execz .LBB6_3880
.LBB6_3879:                             ;   in Loop: Header=BB6_3222 Depth=4
	v_bfe_u32 v4, v11, 16, 2
	v_bfe_u32 v5, v11, 18, 5
	v_ffbh_u32_e32 v6, v4
	v_cmp_eq_u32_e32 vcc_lo, 0, v5
	v_min_u32_e32 v6, 32, v6
	v_subrev_nc_u32_e32 v7, 29, v6
	v_sub_nc_u32_e32 v6, 30, v6
	v_lshlrev_b32_sdwa v7, v7, v11 dst_sel:DWORD dst_unused:UNUSED_PAD src0_sel:DWORD src1_sel:WORD_1
	v_cndmask_b32_e32 v5, v5, v6, vcc_lo
	v_lshlrev_b32_e32 v6, 8, v11
	v_and_b32_e32 v7, 3, v7
	v_lshl_add_u32 v5, v5, 23, 0x37800000
	v_and_b32_e32 v6, 0x80000000, v6
	v_cndmask_b32_e32 v4, v4, v7, vcc_lo
	v_lshlrev_b32_e32 v4, 21, v4
	v_or3_b32 v4, v6, v5, v4
.LBB6_3880:                             ;   in Loop: Header=BB6_3222 Depth=4
	s_or_b32 exec_lo, exec_lo, s16
	v_mul_f32_e32 v4, s72, v4
	v_mov_b32_e32 v93, 0x80
	s_mov_b32 s73, exec_lo
	v_and_b32_e32 v5, 0x7f800000, v4
	v_cmpx_ne_u32_e32 0x7f800000, v5
	s_cbranch_execz .LBB6_3888
; %bb.3881:                             ;   in Loop: Header=BB6_3222 Depth=4
	v_mov_b32_e32 v93, 0
	s_mov_b32 s74, exec_lo
	v_cmpx_ne_u32_e32 0, v4
	s_cbranch_execz .LBB6_3887
; %bb.3882:                             ;   in Loop: Header=BB6_3222 Depth=4
	v_bfe_u32 v6, v4, 23, 8
	v_and_b32_e32 v5, 0x7fffff, v4
	v_cmp_gt_u32_e64 s16, 0x71, v6
	v_sub_nc_u32_e32 v7, 0x70, v6
	v_cmp_eq_u32_e32 vcc_lo, 0, v6
	v_or_b32_e32 v8, 0x800000, v5
	v_cndmask_b32_e64 v7, 0, v7, s16
	v_cndmask_b32_e32 v5, v8, v5, vcc_lo
	v_cndmask_b32_e64 v7, v7, 0x6f, vcc_lo
	v_lshl_add_u32 v8, 0x200000, v7, -1
	v_lshlrev_b32_e64 v9, v7, 0x100000
	v_and_b32_e32 v8, v8, v5
	v_cmp_eq_u32_e64 s16, v8, v9
	v_lshrrev_b32_e32 v8, v7, v5
	v_add_nc_u32_e32 v5, 0xffffff91, v6
	v_lshrrev_b32_e32 v6, 23, v8
	v_cndmask_b32_e64 v5, v5, 0xffffff92, vcc_lo
	v_xor_b32_e32 v6, 1, v6
	v_add_nc_u32_e32 v5, v7, v5
	v_bfe_u32 v7, v8, 21, 1
	v_add_nc_u32_e32 v7, -1, v7
	v_cndmask_b32_e64 v7, 0, v7, s16
	s_mov_b32 s16, exec_lo
	v_add_nc_u32_e32 v7, v7, v8
	v_and_b32_e32 v7, 0x1fffff, v7
	v_add_nc_u32_e32 v7, v7, v8
                                        ; implicit-def: $vgpr8
	v_cmpx_ne_u32_e64 v5, v6
	s_xor_b32 s16, exec_lo, s16
; %bb.3883:                             ;   in Loop: Header=BB6_3222 Depth=4
	v_cmp_lt_u32_e32 vcc_lo, 0xffffff, v7
	v_sub_nc_u32_e32 v5, v5, v6
	v_cndmask_b32_e64 v6, 0, 1, vcc_lo
	v_add_co_ci_u32_e64 v8, null, 0, v5, vcc_lo
	v_lshrrev_b32_e32 v7, v6, v7
; %bb.3884:                             ;   in Loop: Header=BB6_3222 Depth=4
	s_andn2_saveexec_b32 s16, s16
; %bb.3885:                             ;   in Loop: Header=BB6_3222 Depth=4
	v_bfe_u32 v8, v7, 23, 1
; %bb.3886:                             ;   in Loop: Header=BB6_3222 Depth=4
	s_or_b32 exec_lo, exec_lo, s16
	v_lshrrev_b32_e32 v5, 21, v7
	v_min_i32_e32 v6, 31, v8
	v_cmp_gt_i32_e32 vcc_lo, 32, v8
	v_and_b32_sdwa v4, v4, v117 dst_sel:DWORD dst_unused:UNUSED_PAD src0_sel:BYTE_3 src1_sel:DWORD
	v_lshlrev_b32_e32 v6, 2, v6
	v_cndmask_b32_e32 v5, 3, v5, vcc_lo
	v_and_b32_e32 v6, 0xfc, v6
	v_or_b32_e32 v7, v8, v5
	v_and_b32_e32 v5, 3, v5
	v_cmp_ne_u32_e32 vcc_lo, 0, v7
	v_or3_b32 v4, v6, v4, v5
	v_cndmask_b32_e32 v93, 0, v4, vcc_lo
.LBB6_3887:                             ;   in Loop: Header=BB6_3222 Depth=4
	s_or_b32 exec_lo, exec_lo, s74
.LBB6_3888:                             ;   in Loop: Header=BB6_3222 Depth=4
	s_or_b32 exec_lo, exec_lo, s73
	v_cmp_gt_i16_sdwa s73, v11, v116 src0_sel:BYTE_3 src1_sel:DWORD
	s_mov_b32 s16, 0
	s_and_saveexec_b32 s74, s73
	s_xor_b32 s73, exec_lo, s74
	s_cbranch_execz .LBB6_5498
; %bb.3889:                             ;   in Loop: Header=BB6_3222 Depth=4
	v_cmp_eq_u16_sdwa s75, v11, v117 src0_sel:BYTE_3 src1_sel:DWORD
	s_mov_b32 s16, -1
	s_and_saveexec_b32 s74, s75
; %bb.3890:                             ;   in Loop: Header=BB6_3222 Depth=4
	s_xor_b32 s16, exec_lo, -1
; %bb.3891:                             ;   in Loop: Header=BB6_3222 Depth=4
	s_or_b32 exec_lo, exec_lo, s74
	s_and_b32 s16, s16, exec_lo
	s_or_saveexec_b32 s73, s73
	v_mov_b32_e32 v4, 0x7f800001
	s_xor_b32 exec_lo, exec_lo, s73
	s_cbranch_execnz .LBB6_5499
.LBB6_3892:                             ;   in Loop: Header=BB6_3222 Depth=4
	s_or_b32 exec_lo, exec_lo, s73
	s_and_saveexec_b32 s73, s16
	s_cbranch_execz .LBB6_3894
.LBB6_3893:                             ;   in Loop: Header=BB6_3222 Depth=4
	v_bfe_u32 v4, v11, 24, 2
	v_bfe_u32 v7, v11, 26, 5
	v_ffbh_u32_e32 v5, v4
	v_cmp_eq_u32_e32 vcc_lo, 0, v7
	v_min_u32_e32 v5, 32, v5
	v_subrev_nc_u32_e32 v6, 29, v5
	v_sub_nc_u32_e32 v5, 30, v5
	v_lshlrev_b32_sdwa v6, v6, v11 dst_sel:DWORD dst_unused:UNUSED_PAD src0_sel:DWORD src1_sel:BYTE_3
	v_cndmask_b32_e32 v5, v7, v5, vcc_lo
	v_and_b32_e32 v6, 3, v6
	v_lshl_add_u32 v5, v5, 23, 0x37800000
	v_cndmask_b32_e32 v4, v4, v6, vcc_lo
	v_and_b32_e32 v6, 0x80000000, v11
	v_lshlrev_b32_e32 v4, 21, v4
	v_or3_b32 v4, v6, v5, v4
.LBB6_3894:                             ;   in Loop: Header=BB6_3222 Depth=4
	s_or_b32 exec_lo, exec_lo, s73
	v_mul_f32_e32 v4, s72, v4
	v_mov_b32_e32 v95, 0x8000
	s_mov_b32 s73, exec_lo
	v_and_b32_e32 v5, 0x7f800000, v4
	v_cmpx_ne_u32_e32 0x7f800000, v5
	s_cbranch_execz .LBB6_3902
; %bb.3895:                             ;   in Loop: Header=BB6_3222 Depth=4
	v_mov_b32_e32 v95, 0
	s_mov_b32 s74, exec_lo
	v_cmpx_ne_u32_e32 0, v4
	s_cbranch_execz .LBB6_3901
; %bb.3896:                             ;   in Loop: Header=BB6_3222 Depth=4
	v_bfe_u32 v6, v4, 23, 8
	v_and_b32_e32 v5, 0x7fffff, v4
	v_cmp_gt_u32_e64 s16, 0x71, v6
	v_sub_nc_u32_e32 v7, 0x70, v6
	v_cmp_eq_u32_e32 vcc_lo, 0, v6
	v_or_b32_e32 v8, 0x800000, v5
	v_cndmask_b32_e64 v7, 0, v7, s16
	v_cndmask_b32_e32 v5, v8, v5, vcc_lo
	v_cndmask_b32_e64 v7, v7, 0x6f, vcc_lo
	v_lshl_add_u32 v8, 0x200000, v7, -1
	v_lshlrev_b32_e64 v9, v7, 0x100000
	v_and_b32_e32 v8, v8, v5
	v_cmp_eq_u32_e64 s16, v8, v9
	v_lshrrev_b32_e32 v8, v7, v5
	v_add_nc_u32_e32 v5, 0xffffff91, v6
	v_lshrrev_b32_e32 v6, 23, v8
	v_cndmask_b32_e64 v5, v5, 0xffffff92, vcc_lo
	v_xor_b32_e32 v6, 1, v6
	v_add_nc_u32_e32 v5, v7, v5
	v_bfe_u32 v7, v8, 21, 1
	v_add_nc_u32_e32 v7, -1, v7
	v_cndmask_b32_e64 v7, 0, v7, s16
	s_mov_b32 s16, exec_lo
	v_add_nc_u32_e32 v7, v7, v8
	v_and_b32_e32 v7, 0x1fffff, v7
	v_add_nc_u32_e32 v7, v7, v8
                                        ; implicit-def: $vgpr8
	v_cmpx_ne_u32_e64 v5, v6
	s_xor_b32 s16, exec_lo, s16
; %bb.3897:                             ;   in Loop: Header=BB6_3222 Depth=4
	v_cmp_lt_u32_e32 vcc_lo, 0xffffff, v7
	v_sub_nc_u32_e32 v5, v5, v6
	v_cndmask_b32_e64 v6, 0, 1, vcc_lo
	v_add_co_ci_u32_e64 v8, null, 0, v5, vcc_lo
	v_lshrrev_b32_e32 v7, v6, v7
; %bb.3898:                             ;   in Loop: Header=BB6_3222 Depth=4
	s_andn2_saveexec_b32 s16, s16
; %bb.3899:                             ;   in Loop: Header=BB6_3222 Depth=4
	v_bfe_u32 v8, v7, 23, 1
; %bb.3900:                             ;   in Loop: Header=BB6_3222 Depth=4
	s_or_b32 exec_lo, exec_lo, s16
	v_lshrrev_b32_e32 v5, 21, v7
	v_min_i32_e32 v6, 31, v8
	v_cmp_gt_i32_e32 vcc_lo, 32, v8
	v_and_b32_sdwa v4, v4, v117 dst_sel:DWORD dst_unused:UNUSED_PAD src0_sel:BYTE_3 src1_sel:DWORD
	v_lshlrev_b32_e32 v6, 2, v6
	v_cndmask_b32_e32 v5, 3, v5, vcc_lo
	v_and_b32_e32 v6, 0xfc, v6
	v_or_b32_e32 v7, v8, v5
	v_and_b32_e32 v5, 3, v5
	v_cmp_ne_u32_e32 vcc_lo, 0, v7
	v_or3_b32 v4, v4, v6, v5
	v_lshlrev_b32_e32 v4, 8, v4
	v_cndmask_b32_e32 v95, 0, v4, vcc_lo
.LBB6_3901:                             ;   in Loop: Header=BB6_3222 Depth=4
	s_or_b32 exec_lo, exec_lo, s74
.LBB6_3902:                             ;   in Loop: Header=BB6_3222 Depth=4
	s_or_b32 exec_lo, exec_lo, s73
	global_load_dwordx4 v[8:11], v[84:85], off offset:1536 slc
	s_mov_b32 s73, 0
	s_waitcnt vmcnt(0)
	v_cmp_gt_i16_sdwa s16, v8, v116 src0_sel:BYTE_0 src1_sel:DWORD
	s_and_saveexec_b32 s74, s16
	s_xor_b32 s16, exec_lo, s74
	s_cbranch_execz .LBB6_5500
; %bb.3903:                             ;   in Loop: Header=BB6_3222 Depth=4
	v_cmp_eq_u16_sdwa s75, v8, v117 src0_sel:BYTE_0 src1_sel:DWORD
	s_mov_b32 s73, -1
	s_and_saveexec_b32 s74, s75
; %bb.3904:                             ;   in Loop: Header=BB6_3222 Depth=4
	s_xor_b32 s73, exec_lo, -1
; %bb.3905:                             ;   in Loop: Header=BB6_3222 Depth=4
	s_or_b32 exec_lo, exec_lo, s74
	s_and_b32 s73, s73, exec_lo
	s_or_saveexec_b32 s16, s16
	v_mov_b32_e32 v4, 0x7f800001
	s_xor_b32 exec_lo, exec_lo, s16
	s_cbranch_execnz .LBB6_5501
.LBB6_3906:                             ;   in Loop: Header=BB6_3222 Depth=4
	s_or_b32 exec_lo, exec_lo, s16
	s_and_saveexec_b32 s16, s73
	s_cbranch_execz .LBB6_3908
.LBB6_3907:                             ;   in Loop: Header=BB6_3222 Depth=4
	v_and_b32_e32 v4, 3, v8
	v_bfe_u32 v5, v8, 2, 5
	v_ffbh_u32_e32 v6, v4
	v_cmp_eq_u32_e32 vcc_lo, 0, v5
	v_min_u32_e32 v6, 32, v6
	v_subrev_nc_u32_e32 v7, 29, v6
	v_sub_nc_u32_e32 v6, 30, v6
	v_lshlrev_b32_e32 v7, v7, v8
	v_cndmask_b32_e32 v5, v5, v6, vcc_lo
	v_lshlrev_b32_e32 v6, 24, v8
	v_and_b32_e32 v7, 3, v7
	v_lshl_add_u32 v5, v5, 23, 0x37800000
	v_and_b32_e32 v6, 0x80000000, v6
	v_cndmask_b32_e32 v4, v4, v7, vcc_lo
	v_lshlrev_b32_e32 v4, 21, v4
	v_or3_b32 v4, v6, v5, v4
.LBB6_3908:                             ;   in Loop: Header=BB6_3222 Depth=4
	s_or_b32 exec_lo, exec_lo, s16
	v_mul_f32_e32 v4, s72, v4
	v_mov_b32_e32 v90, 0x80
	s_mov_b32 s73, exec_lo
	v_and_b32_e32 v5, 0x7f800000, v4
	v_cmpx_ne_u32_e32 0x7f800000, v5
	s_cbranch_execz .LBB6_3916
; %bb.3909:                             ;   in Loop: Header=BB6_3222 Depth=4
	v_mov_b32_e32 v90, 0
	s_mov_b32 s74, exec_lo
	v_cmpx_ne_u32_e32 0, v4
	s_cbranch_execz .LBB6_3915
; %bb.3910:                             ;   in Loop: Header=BB6_3222 Depth=4
	v_bfe_u32 v6, v4, 23, 8
	v_and_b32_e32 v5, 0x7fffff, v4
	v_cmp_gt_u32_e64 s16, 0x71, v6
	v_sub_nc_u32_e32 v7, 0x70, v6
	v_cmp_eq_u32_e32 vcc_lo, 0, v6
	v_or_b32_e32 v14, 0x800000, v5
	v_cndmask_b32_e64 v7, 0, v7, s16
	v_cndmask_b32_e32 v5, v14, v5, vcc_lo
	v_cndmask_b32_e64 v7, v7, 0x6f, vcc_lo
	v_lshl_add_u32 v14, 0x200000, v7, -1
	v_lshlrev_b32_e64 v15, v7, 0x100000
	v_and_b32_e32 v14, v14, v5
	v_cmp_eq_u32_e64 s16, v14, v15
	v_lshrrev_b32_e32 v14, v7, v5
	v_add_nc_u32_e32 v5, 0xffffff91, v6
	v_lshrrev_b32_e32 v6, 23, v14
	v_cndmask_b32_e64 v5, v5, 0xffffff92, vcc_lo
	v_xor_b32_e32 v6, 1, v6
	v_add_nc_u32_e32 v5, v7, v5
	v_bfe_u32 v7, v14, 21, 1
	v_add_nc_u32_e32 v7, -1, v7
	v_cndmask_b32_e64 v7, 0, v7, s16
	s_mov_b32 s16, exec_lo
	v_add_nc_u32_e32 v7, v7, v14
	v_and_b32_e32 v7, 0x1fffff, v7
	v_add_nc_u32_e32 v7, v7, v14
                                        ; implicit-def: $vgpr14
	v_cmpx_ne_u32_e64 v5, v6
	s_xor_b32 s16, exec_lo, s16
; %bb.3911:                             ;   in Loop: Header=BB6_3222 Depth=4
	v_cmp_lt_u32_e32 vcc_lo, 0xffffff, v7
	v_sub_nc_u32_e32 v5, v5, v6
	v_cndmask_b32_e64 v6, 0, 1, vcc_lo
	v_add_co_ci_u32_e64 v14, null, 0, v5, vcc_lo
	v_lshrrev_b32_e32 v7, v6, v7
; %bb.3912:                             ;   in Loop: Header=BB6_3222 Depth=4
	s_andn2_saveexec_b32 s16, s16
; %bb.3913:                             ;   in Loop: Header=BB6_3222 Depth=4
	v_bfe_u32 v14, v7, 23, 1
; %bb.3914:                             ;   in Loop: Header=BB6_3222 Depth=4
	s_or_b32 exec_lo, exec_lo, s16
	v_lshrrev_b32_e32 v5, 21, v7
	v_min_i32_e32 v6, 31, v14
	v_cmp_gt_i32_e32 vcc_lo, 32, v14
	v_and_b32_sdwa v4, v4, v117 dst_sel:DWORD dst_unused:UNUSED_PAD src0_sel:BYTE_3 src1_sel:DWORD
	v_lshlrev_b32_e32 v6, 2, v6
	v_cndmask_b32_e32 v5, 3, v5, vcc_lo
	v_and_b32_e32 v6, 0xfc, v6
	v_or_b32_e32 v7, v14, v5
	v_and_b32_e32 v5, 3, v5
	v_cmp_ne_u32_e32 vcc_lo, 0, v7
	v_or3_b32 v4, v6, v4, v5
	v_cndmask_b32_e32 v90, 0, v4, vcc_lo
.LBB6_3915:                             ;   in Loop: Header=BB6_3222 Depth=4
	s_or_b32 exec_lo, exec_lo, s74
.LBB6_3916:                             ;   in Loop: Header=BB6_3222 Depth=4
	s_or_b32 exec_lo, exec_lo, s73
	v_cmp_gt_i16_sdwa s73, v8, v116 src0_sel:BYTE_1 src1_sel:DWORD
	s_mov_b32 s16, 0
	s_and_saveexec_b32 s74, s73
	s_xor_b32 s73, exec_lo, s74
	s_cbranch_execz .LBB6_5502
; %bb.3917:                             ;   in Loop: Header=BB6_3222 Depth=4
	v_cmp_eq_u16_sdwa s75, v8, v117 src0_sel:BYTE_1 src1_sel:DWORD
	s_mov_b32 s16, -1
	s_and_saveexec_b32 s74, s75
; %bb.3918:                             ;   in Loop: Header=BB6_3222 Depth=4
	s_xor_b32 s16, exec_lo, -1
; %bb.3919:                             ;   in Loop: Header=BB6_3222 Depth=4
	s_or_b32 exec_lo, exec_lo, s74
	s_and_b32 s16, s16, exec_lo
	s_or_saveexec_b32 s73, s73
	v_mov_b32_e32 v4, 0x7f800001
	s_xor_b32 exec_lo, exec_lo, s73
	s_cbranch_execnz .LBB6_5503
.LBB6_3920:                             ;   in Loop: Header=BB6_3222 Depth=4
	s_or_b32 exec_lo, exec_lo, s73
	s_and_saveexec_b32 s73, s16
	s_cbranch_execz .LBB6_3922
.LBB6_3921:                             ;   in Loop: Header=BB6_3222 Depth=4
	v_and_b32_sdwa v4, v118, v8 dst_sel:DWORD dst_unused:UNUSED_PAD src0_sel:DWORD src1_sel:BYTE_1
	v_and_b32_e32 v5, 3, v4
	v_bfe_u32 v14, v4, 2, 5
	v_ffbh_u32_e32 v6, v5
	v_cmp_eq_u32_e32 vcc_lo, 0, v14
	v_min_u32_e32 v6, 32, v6
	v_subrev_nc_u32_e32 v7, 29, v6
	v_sub_nc_u32_e32 v6, 30, v6
	v_lshlrev_b32_e32 v4, v7, v4
	v_lshlrev_b32_sdwa v7, v119, v8 dst_sel:DWORD dst_unused:UNUSED_PAD src0_sel:DWORD src1_sel:BYTE_1
	v_cndmask_b32_e32 v6, v14, v6, vcc_lo
	v_and_b32_e32 v4, 3, v4
	v_lshl_add_u32 v6, v6, 23, 0x37800000
	v_cndmask_b32_e32 v4, v5, v4, vcc_lo
	v_and_b32_e32 v5, 0x80000000, v7
	v_lshlrev_b32_e32 v4, 21, v4
	v_or3_b32 v4, v5, v6, v4
.LBB6_3922:                             ;   in Loop: Header=BB6_3222 Depth=4
	s_or_b32 exec_lo, exec_lo, s73
	v_mul_f32_e32 v4, s72, v4
	v_mov_b32_e32 v50, 0x8000
	s_mov_b32 s73, exec_lo
	v_and_b32_e32 v5, 0x7f800000, v4
	v_cmpx_ne_u32_e32 0x7f800000, v5
	s_cbranch_execz .LBB6_3930
; %bb.3923:                             ;   in Loop: Header=BB6_3222 Depth=4
	v_mov_b32_e32 v50, 0
	s_mov_b32 s74, exec_lo
	v_cmpx_ne_u32_e32 0, v4
	s_cbranch_execz .LBB6_3929
; %bb.3924:                             ;   in Loop: Header=BB6_3222 Depth=4
	v_bfe_u32 v6, v4, 23, 8
	v_and_b32_e32 v5, 0x7fffff, v4
	v_cmp_gt_u32_e64 s16, 0x71, v6
	v_sub_nc_u32_e32 v7, 0x70, v6
	v_cmp_eq_u32_e32 vcc_lo, 0, v6
	v_or_b32_e32 v14, 0x800000, v5
	v_cndmask_b32_e64 v7, 0, v7, s16
	v_cndmask_b32_e32 v5, v14, v5, vcc_lo
	v_cndmask_b32_e64 v7, v7, 0x6f, vcc_lo
	v_lshl_add_u32 v14, 0x200000, v7, -1
	v_lshlrev_b32_e64 v15, v7, 0x100000
	v_and_b32_e32 v14, v14, v5
	v_cmp_eq_u32_e64 s16, v14, v15
	v_lshrrev_b32_e32 v14, v7, v5
	v_add_nc_u32_e32 v5, 0xffffff91, v6
	v_lshrrev_b32_e32 v6, 23, v14
	v_cndmask_b32_e64 v5, v5, 0xffffff92, vcc_lo
	v_xor_b32_e32 v6, 1, v6
	v_add_nc_u32_e32 v5, v7, v5
	v_bfe_u32 v7, v14, 21, 1
	v_add_nc_u32_e32 v7, -1, v7
	v_cndmask_b32_e64 v7, 0, v7, s16
	s_mov_b32 s16, exec_lo
	v_add_nc_u32_e32 v7, v7, v14
	v_and_b32_e32 v7, 0x1fffff, v7
	v_add_nc_u32_e32 v7, v7, v14
                                        ; implicit-def: $vgpr14
	v_cmpx_ne_u32_e64 v5, v6
	s_xor_b32 s16, exec_lo, s16
; %bb.3925:                             ;   in Loop: Header=BB6_3222 Depth=4
	v_cmp_lt_u32_e32 vcc_lo, 0xffffff, v7
	v_sub_nc_u32_e32 v5, v5, v6
	v_cndmask_b32_e64 v6, 0, 1, vcc_lo
	v_add_co_ci_u32_e64 v14, null, 0, v5, vcc_lo
	v_lshrrev_b32_e32 v7, v6, v7
; %bb.3926:                             ;   in Loop: Header=BB6_3222 Depth=4
	s_andn2_saveexec_b32 s16, s16
; %bb.3927:                             ;   in Loop: Header=BB6_3222 Depth=4
	v_bfe_u32 v14, v7, 23, 1
; %bb.3928:                             ;   in Loop: Header=BB6_3222 Depth=4
	s_or_b32 exec_lo, exec_lo, s16
	v_lshrrev_b32_e32 v5, 21, v7
	v_min_i32_e32 v6, 31, v14
	v_cmp_gt_i32_e32 vcc_lo, 32, v14
	v_and_b32_sdwa v4, v4, v117 dst_sel:DWORD dst_unused:UNUSED_PAD src0_sel:BYTE_3 src1_sel:DWORD
	v_lshlrev_b32_e32 v6, 2, v6
	v_cndmask_b32_e32 v5, 3, v5, vcc_lo
	v_and_b32_e32 v6, 0xfc, v6
	v_or_b32_e32 v7, v14, v5
	v_and_b32_e32 v5, 3, v5
	v_cmp_ne_u32_e32 vcc_lo, 0, v7
	v_or3_b32 v4, v4, v6, v5
	v_lshlrev_b32_e32 v4, 8, v4
	v_cndmask_b32_e32 v50, 0, v4, vcc_lo
.LBB6_3929:                             ;   in Loop: Header=BB6_3222 Depth=4
	s_or_b32 exec_lo, exec_lo, s74
.LBB6_3930:                             ;   in Loop: Header=BB6_3222 Depth=4
	s_or_b32 exec_lo, exec_lo, s73
	v_and_b32_sdwa v5, v8, v40 dst_sel:DWORD dst_unused:UNUSED_PAD src0_sel:WORD_1 src1_sel:DWORD
	s_mov_b32 s73, 0
	s_mov_b32 s16, exec_lo
	v_cmpx_lt_i16_e32 0x7f, v5
	s_xor_b32 s16, exec_lo, s16
	s_cbranch_execz .LBB6_5504
; %bb.3931:                             ;   in Loop: Header=BB6_3222 Depth=4
	s_mov_b32 s73, -1
	s_mov_b32 s74, exec_lo
	v_cmpx_eq_u16_e32 0x80, v5
; %bb.3932:                             ;   in Loop: Header=BB6_3222 Depth=4
	s_xor_b32 s73, exec_lo, -1
; %bb.3933:                             ;   in Loop: Header=BB6_3222 Depth=4
	s_or_b32 exec_lo, exec_lo, s74
	s_and_b32 s73, s73, exec_lo
                                        ; implicit-def: $vgpr5
	s_or_saveexec_b32 s16, s16
	v_mov_b32_e32 v4, 0x7f800001
	s_xor_b32 exec_lo, exec_lo, s16
	s_cbranch_execnz .LBB6_5505
.LBB6_3934:                             ;   in Loop: Header=BB6_3222 Depth=4
	s_or_b32 exec_lo, exec_lo, s16
	s_and_saveexec_b32 s16, s73
	s_cbranch_execz .LBB6_3936
.LBB6_3935:                             ;   in Loop: Header=BB6_3222 Depth=4
	v_bfe_u32 v4, v8, 16, 2
	v_bfe_u32 v5, v8, 18, 5
	v_ffbh_u32_e32 v6, v4
	v_cmp_eq_u32_e32 vcc_lo, 0, v5
	v_min_u32_e32 v6, 32, v6
	v_subrev_nc_u32_e32 v7, 29, v6
	v_sub_nc_u32_e32 v6, 30, v6
	v_lshlrev_b32_sdwa v7, v7, v8 dst_sel:DWORD dst_unused:UNUSED_PAD src0_sel:DWORD src1_sel:WORD_1
	v_cndmask_b32_e32 v5, v5, v6, vcc_lo
	v_lshlrev_b32_e32 v6, 8, v8
	v_and_b32_e32 v7, 3, v7
	v_lshl_add_u32 v5, v5, 23, 0x37800000
	v_and_b32_e32 v6, 0x80000000, v6
	v_cndmask_b32_e32 v4, v4, v7, vcc_lo
	v_lshlrev_b32_e32 v4, 21, v4
	v_or3_b32 v4, v6, v5, v4
.LBB6_3936:                             ;   in Loop: Header=BB6_3222 Depth=4
	s_or_b32 exec_lo, exec_lo, s16
	v_mul_f32_e32 v4, s72, v4
	v_and_b32_e32 v5, 0x7f800000, v4
	v_cmp_ne_u32_e32 vcc_lo, 0x7f800000, v5
	v_mov_b32_e32 v5, 0x80
	s_and_saveexec_b32 s73, vcc_lo
	s_cbranch_execz .LBB6_3944
; %bb.3937:                             ;   in Loop: Header=BB6_3222 Depth=4
	v_mov_b32_e32 v5, 0
	s_mov_b32 s74, exec_lo
	v_cmpx_ne_u32_e32 0, v4
	s_cbranch_execz .LBB6_3943
; %bb.3938:                             ;   in Loop: Header=BB6_3222 Depth=4
	v_bfe_u32 v6, v4, 23, 8
	v_and_b32_e32 v5, 0x7fffff, v4
	v_cmp_gt_u32_e64 s16, 0x71, v6
	v_sub_nc_u32_e32 v7, 0x70, v6
	v_cmp_eq_u32_e32 vcc_lo, 0, v6
	v_or_b32_e32 v14, 0x800000, v5
	v_cndmask_b32_e64 v7, 0, v7, s16
	v_cndmask_b32_e32 v5, v14, v5, vcc_lo
	v_cndmask_b32_e64 v7, v7, 0x6f, vcc_lo
	v_lshl_add_u32 v14, 0x200000, v7, -1
	v_lshlrev_b32_e64 v15, v7, 0x100000
	v_and_b32_e32 v14, v14, v5
	v_cmp_eq_u32_e64 s16, v14, v15
	v_lshrrev_b32_e32 v14, v7, v5
	v_add_nc_u32_e32 v5, 0xffffff91, v6
	v_lshrrev_b32_e32 v6, 23, v14
	v_cndmask_b32_e64 v5, v5, 0xffffff92, vcc_lo
	v_xor_b32_e32 v6, 1, v6
	v_add_nc_u32_e32 v5, v7, v5
	v_bfe_u32 v7, v14, 21, 1
	v_add_nc_u32_e32 v7, -1, v7
	v_cndmask_b32_e64 v7, 0, v7, s16
	s_mov_b32 s16, exec_lo
	v_add_nc_u32_e32 v7, v7, v14
	v_and_b32_e32 v7, 0x1fffff, v7
	v_add_nc_u32_e32 v7, v7, v14
                                        ; implicit-def: $vgpr14
	v_cmpx_ne_u32_e64 v5, v6
	s_xor_b32 s16, exec_lo, s16
; %bb.3939:                             ;   in Loop: Header=BB6_3222 Depth=4
	v_cmp_lt_u32_e32 vcc_lo, 0xffffff, v7
	v_sub_nc_u32_e32 v5, v5, v6
	v_cndmask_b32_e64 v6, 0, 1, vcc_lo
	v_add_co_ci_u32_e64 v14, null, 0, v5, vcc_lo
	v_lshrrev_b32_e32 v7, v6, v7
; %bb.3940:                             ;   in Loop: Header=BB6_3222 Depth=4
	s_andn2_saveexec_b32 s16, s16
; %bb.3941:                             ;   in Loop: Header=BB6_3222 Depth=4
	v_bfe_u32 v14, v7, 23, 1
; %bb.3942:                             ;   in Loop: Header=BB6_3222 Depth=4
	s_or_b32 exec_lo, exec_lo, s16
	v_lshrrev_b32_e32 v5, 21, v7
	v_min_i32_e32 v6, 31, v14
	v_cmp_gt_i32_e32 vcc_lo, 32, v14
	v_and_b32_sdwa v4, v4, v117 dst_sel:DWORD dst_unused:UNUSED_PAD src0_sel:BYTE_3 src1_sel:DWORD
	v_lshlrev_b32_e32 v6, 2, v6
	v_cndmask_b32_e32 v5, 3, v5, vcc_lo
	v_and_b32_e32 v6, 0xfc, v6
	v_or_b32_e32 v7, v14, v5
	v_and_b32_e32 v5, 3, v5
	v_cmp_ne_u32_e32 vcc_lo, 0, v7
	v_or3_b32 v4, v6, v4, v5
	v_cndmask_b32_e32 v5, 0, v4, vcc_lo
.LBB6_3943:                             ;   in Loop: Header=BB6_3222 Depth=4
	s_or_b32 exec_lo, exec_lo, s74
.LBB6_3944:                             ;   in Loop: Header=BB6_3222 Depth=4
	s_or_b32 exec_lo, exec_lo, s73
	v_cmp_gt_i16_sdwa s73, v8, v116 src0_sel:BYTE_3 src1_sel:DWORD
	s_mov_b32 s16, 0
	s_and_saveexec_b32 s74, s73
	s_xor_b32 s73, exec_lo, s74
	s_cbranch_execz .LBB6_5506
; %bb.3945:                             ;   in Loop: Header=BB6_3222 Depth=4
	v_cmp_eq_u16_sdwa s75, v8, v117 src0_sel:BYTE_3 src1_sel:DWORD
	s_mov_b32 s16, -1
	s_and_saveexec_b32 s74, s75
; %bb.3946:                             ;   in Loop: Header=BB6_3222 Depth=4
	s_xor_b32 s16, exec_lo, -1
; %bb.3947:                             ;   in Loop: Header=BB6_3222 Depth=4
	s_or_b32 exec_lo, exec_lo, s74
	s_and_b32 s16, s16, exec_lo
	s_or_saveexec_b32 s73, s73
	v_mov_b32_e32 v4, 0x7f800001
	s_xor_b32 exec_lo, exec_lo, s73
	s_cbranch_execnz .LBB6_5507
.LBB6_3948:                             ;   in Loop: Header=BB6_3222 Depth=4
	s_or_b32 exec_lo, exec_lo, s73
	s_and_saveexec_b32 s73, s16
	s_cbranch_execz .LBB6_3950
.LBB6_3949:                             ;   in Loop: Header=BB6_3222 Depth=4
	v_bfe_u32 v4, v8, 24, 2
	v_bfe_u32 v14, v8, 26, 5
	v_ffbh_u32_e32 v6, v4
	v_cmp_eq_u32_e32 vcc_lo, 0, v14
	v_min_u32_e32 v6, 32, v6
	v_subrev_nc_u32_e32 v7, 29, v6
	v_sub_nc_u32_e32 v6, 30, v6
	v_lshlrev_b32_sdwa v7, v7, v8 dst_sel:DWORD dst_unused:UNUSED_PAD src0_sel:DWORD src1_sel:BYTE_3
	v_cndmask_b32_e32 v6, v14, v6, vcc_lo
	v_and_b32_e32 v7, 3, v7
	v_lshl_add_u32 v6, v6, 23, 0x37800000
	v_cndmask_b32_e32 v4, v4, v7, vcc_lo
	v_and_b32_e32 v7, 0x80000000, v8
	v_lshlrev_b32_e32 v4, 21, v4
	v_or3_b32 v4, v7, v6, v4
.LBB6_3950:                             ;   in Loop: Header=BB6_3222 Depth=4
	s_or_b32 exec_lo, exec_lo, s73
	v_mul_f32_e32 v4, s72, v4
	v_mov_b32_e32 v92, 0x8000
	s_mov_b32 s73, exec_lo
	v_and_b32_e32 v6, 0x7f800000, v4
	v_cmpx_ne_u32_e32 0x7f800000, v6
	s_cbranch_execz .LBB6_3958
; %bb.3951:                             ;   in Loop: Header=BB6_3222 Depth=4
	v_mov_b32_e32 v92, 0
	s_mov_b32 s74, exec_lo
	v_cmpx_ne_u32_e32 0, v4
	s_cbranch_execz .LBB6_3957
; %bb.3952:                             ;   in Loop: Header=BB6_3222 Depth=4
	v_bfe_u32 v7, v4, 23, 8
	v_and_b32_e32 v6, 0x7fffff, v4
	v_cmp_gt_u32_e64 s16, 0x71, v7
	v_sub_nc_u32_e32 v8, 0x70, v7
	v_cmp_eq_u32_e32 vcc_lo, 0, v7
	v_or_b32_e32 v14, 0x800000, v6
	v_cndmask_b32_e64 v8, 0, v8, s16
	v_cndmask_b32_e32 v6, v14, v6, vcc_lo
	v_cndmask_b32_e64 v8, v8, 0x6f, vcc_lo
	v_lshl_add_u32 v14, 0x200000, v8, -1
	v_lshlrev_b32_e64 v15, v8, 0x100000
	v_and_b32_e32 v14, v14, v6
	v_cmp_eq_u32_e64 s16, v14, v15
	v_lshrrev_b32_e32 v14, v8, v6
	v_add_nc_u32_e32 v6, 0xffffff91, v7
	v_lshrrev_b32_e32 v7, 23, v14
	v_cndmask_b32_e64 v6, v6, 0xffffff92, vcc_lo
	v_xor_b32_e32 v7, 1, v7
	v_add_nc_u32_e32 v6, v8, v6
	v_bfe_u32 v8, v14, 21, 1
	v_add_nc_u32_e32 v8, -1, v8
	v_cndmask_b32_e64 v8, 0, v8, s16
	s_mov_b32 s16, exec_lo
	v_add_nc_u32_e32 v8, v8, v14
	v_and_b32_e32 v8, 0x1fffff, v8
	v_add_nc_u32_e32 v8, v8, v14
                                        ; implicit-def: $vgpr14
	v_cmpx_ne_u32_e64 v6, v7
	s_xor_b32 s16, exec_lo, s16
; %bb.3953:                             ;   in Loop: Header=BB6_3222 Depth=4
	v_cmp_lt_u32_e32 vcc_lo, 0xffffff, v8
	v_sub_nc_u32_e32 v6, v6, v7
	v_cndmask_b32_e64 v7, 0, 1, vcc_lo
	v_add_co_ci_u32_e64 v14, null, 0, v6, vcc_lo
	v_lshrrev_b32_e32 v8, v7, v8
; %bb.3954:                             ;   in Loop: Header=BB6_3222 Depth=4
	s_andn2_saveexec_b32 s16, s16
; %bb.3955:                             ;   in Loop: Header=BB6_3222 Depth=4
	v_bfe_u32 v14, v8, 23, 1
; %bb.3956:                             ;   in Loop: Header=BB6_3222 Depth=4
	s_or_b32 exec_lo, exec_lo, s16
	v_lshrrev_b32_e32 v6, 21, v8
	v_min_i32_e32 v7, 31, v14
	v_cmp_gt_i32_e32 vcc_lo, 32, v14
	v_and_b32_sdwa v4, v4, v117 dst_sel:DWORD dst_unused:UNUSED_PAD src0_sel:BYTE_3 src1_sel:DWORD
	v_lshlrev_b32_e32 v7, 2, v7
	v_cndmask_b32_e32 v6, 3, v6, vcc_lo
	v_and_b32_e32 v7, 0xfc, v7
	v_or_b32_e32 v8, v14, v6
	v_and_b32_e32 v6, 3, v6
	v_cmp_ne_u32_e32 vcc_lo, 0, v8
	v_or3_b32 v4, v4, v7, v6
	v_lshlrev_b32_e32 v4, 8, v4
	v_cndmask_b32_e32 v92, 0, v4, vcc_lo
.LBB6_3957:                             ;   in Loop: Header=BB6_3222 Depth=4
	s_or_b32 exec_lo, exec_lo, s74
.LBB6_3958:                             ;   in Loop: Header=BB6_3222 Depth=4
	s_or_b32 exec_lo, exec_lo, s73
	v_cmp_gt_i16_sdwa s16, v9, v116 src0_sel:BYTE_0 src1_sel:DWORD
	s_mov_b32 s73, 0
	s_and_saveexec_b32 s74, s16
	s_xor_b32 s16, exec_lo, s74
	s_cbranch_execz .LBB6_5508
; %bb.3959:                             ;   in Loop: Header=BB6_3222 Depth=4
	v_cmp_eq_u16_sdwa s75, v9, v117 src0_sel:BYTE_0 src1_sel:DWORD
	s_mov_b32 s73, -1
	s_and_saveexec_b32 s74, s75
; %bb.3960:                             ;   in Loop: Header=BB6_3222 Depth=4
	s_xor_b32 s73, exec_lo, -1
; %bb.3961:                             ;   in Loop: Header=BB6_3222 Depth=4
	s_or_b32 exec_lo, exec_lo, s74
	s_and_b32 s73, s73, exec_lo
	s_or_saveexec_b32 s16, s16
	v_mov_b32_e32 v4, 0x7f800001
	s_xor_b32 exec_lo, exec_lo, s16
	s_cbranch_execnz .LBB6_5509
.LBB6_3962:                             ;   in Loop: Header=BB6_3222 Depth=4
	s_or_b32 exec_lo, exec_lo, s16
	s_and_saveexec_b32 s16, s73
	s_cbranch_execz .LBB6_3964
.LBB6_3963:                             ;   in Loop: Header=BB6_3222 Depth=4
	v_and_b32_e32 v4, 3, v9
	v_bfe_u32 v6, v9, 2, 5
	v_ffbh_u32_e32 v7, v4
	v_cmp_eq_u32_e32 vcc_lo, 0, v6
	v_min_u32_e32 v7, 32, v7
	v_subrev_nc_u32_e32 v8, 29, v7
	v_sub_nc_u32_e32 v7, 30, v7
	v_lshlrev_b32_e32 v8, v8, v9
	v_cndmask_b32_e32 v6, v6, v7, vcc_lo
	v_lshlrev_b32_e32 v7, 24, v9
	v_and_b32_e32 v8, 3, v8
	v_lshl_add_u32 v6, v6, 23, 0x37800000
	v_and_b32_e32 v7, 0x80000000, v7
	v_cndmask_b32_e32 v4, v4, v8, vcc_lo
	v_lshlrev_b32_e32 v4, 21, v4
	v_or3_b32 v4, v7, v6, v4
.LBB6_3964:                             ;   in Loop: Header=BB6_3222 Depth=4
	s_or_b32 exec_lo, exec_lo, s16
	v_mul_f32_e32 v4, s72, v4
	v_mov_b32_e32 v88, 0x80
	s_mov_b32 s73, exec_lo
	v_and_b32_e32 v6, 0x7f800000, v4
	v_cmpx_ne_u32_e32 0x7f800000, v6
	s_cbranch_execz .LBB6_3972
; %bb.3965:                             ;   in Loop: Header=BB6_3222 Depth=4
	v_mov_b32_e32 v88, 0
	s_mov_b32 s74, exec_lo
	v_cmpx_ne_u32_e32 0, v4
	s_cbranch_execz .LBB6_3971
; %bb.3966:                             ;   in Loop: Header=BB6_3222 Depth=4
	v_bfe_u32 v7, v4, 23, 8
	v_and_b32_e32 v6, 0x7fffff, v4
	v_cmp_gt_u32_e64 s16, 0x71, v7
	v_sub_nc_u32_e32 v8, 0x70, v7
	v_cmp_eq_u32_e32 vcc_lo, 0, v7
	v_or_b32_e32 v14, 0x800000, v6
	v_cndmask_b32_e64 v8, 0, v8, s16
	v_cndmask_b32_e32 v6, v14, v6, vcc_lo
	v_cndmask_b32_e64 v8, v8, 0x6f, vcc_lo
	v_lshl_add_u32 v14, 0x200000, v8, -1
	v_lshlrev_b32_e64 v15, v8, 0x100000
	v_and_b32_e32 v14, v14, v6
	v_cmp_eq_u32_e64 s16, v14, v15
	v_lshrrev_b32_e32 v14, v8, v6
	v_add_nc_u32_e32 v6, 0xffffff91, v7
	v_lshrrev_b32_e32 v7, 23, v14
	v_cndmask_b32_e64 v6, v6, 0xffffff92, vcc_lo
	v_xor_b32_e32 v7, 1, v7
	v_add_nc_u32_e32 v6, v8, v6
	v_bfe_u32 v8, v14, 21, 1
	v_add_nc_u32_e32 v8, -1, v8
	v_cndmask_b32_e64 v8, 0, v8, s16
	s_mov_b32 s16, exec_lo
	v_add_nc_u32_e32 v8, v8, v14
	v_and_b32_e32 v8, 0x1fffff, v8
	v_add_nc_u32_e32 v8, v8, v14
                                        ; implicit-def: $vgpr14
	v_cmpx_ne_u32_e64 v6, v7
	s_xor_b32 s16, exec_lo, s16
; %bb.3967:                             ;   in Loop: Header=BB6_3222 Depth=4
	v_cmp_lt_u32_e32 vcc_lo, 0xffffff, v8
	v_sub_nc_u32_e32 v6, v6, v7
	v_cndmask_b32_e64 v7, 0, 1, vcc_lo
	v_add_co_ci_u32_e64 v14, null, 0, v6, vcc_lo
	v_lshrrev_b32_e32 v8, v7, v8
; %bb.3968:                             ;   in Loop: Header=BB6_3222 Depth=4
	s_andn2_saveexec_b32 s16, s16
; %bb.3969:                             ;   in Loop: Header=BB6_3222 Depth=4
	v_bfe_u32 v14, v8, 23, 1
; %bb.3970:                             ;   in Loop: Header=BB6_3222 Depth=4
	s_or_b32 exec_lo, exec_lo, s16
	v_lshrrev_b32_e32 v6, 21, v8
	v_min_i32_e32 v7, 31, v14
	v_cmp_gt_i32_e32 vcc_lo, 32, v14
	v_and_b32_sdwa v4, v4, v117 dst_sel:DWORD dst_unused:UNUSED_PAD src0_sel:BYTE_3 src1_sel:DWORD
	v_lshlrev_b32_e32 v7, 2, v7
	v_cndmask_b32_e32 v6, 3, v6, vcc_lo
	v_and_b32_e32 v7, 0xfc, v7
	v_or_b32_e32 v8, v14, v6
	v_and_b32_e32 v6, 3, v6
	v_cmp_ne_u32_e32 vcc_lo, 0, v8
	v_or3_b32 v4, v7, v4, v6
	v_cndmask_b32_e32 v88, 0, v4, vcc_lo
.LBB6_3971:                             ;   in Loop: Header=BB6_3222 Depth=4
	s_or_b32 exec_lo, exec_lo, s74
.LBB6_3972:                             ;   in Loop: Header=BB6_3222 Depth=4
	s_or_b32 exec_lo, exec_lo, s73
	v_cmp_gt_i16_sdwa s73, v9, v116 src0_sel:BYTE_1 src1_sel:DWORD
	s_mov_b32 s16, 0
	s_and_saveexec_b32 s74, s73
	s_xor_b32 s73, exec_lo, s74
	s_cbranch_execz .LBB6_5510
; %bb.3973:                             ;   in Loop: Header=BB6_3222 Depth=4
	v_cmp_eq_u16_sdwa s75, v9, v117 src0_sel:BYTE_1 src1_sel:DWORD
	s_mov_b32 s16, -1
	s_and_saveexec_b32 s74, s75
; %bb.3974:                             ;   in Loop: Header=BB6_3222 Depth=4
	s_xor_b32 s16, exec_lo, -1
; %bb.3975:                             ;   in Loop: Header=BB6_3222 Depth=4
	s_or_b32 exec_lo, exec_lo, s74
	s_and_b32 s16, s16, exec_lo
	s_or_saveexec_b32 s73, s73
	v_mov_b32_e32 v4, 0x7f800001
	s_xor_b32 exec_lo, exec_lo, s73
	s_cbranch_execnz .LBB6_5511
.LBB6_3976:                             ;   in Loop: Header=BB6_3222 Depth=4
	s_or_b32 exec_lo, exec_lo, s73
	s_and_saveexec_b32 s73, s16
	s_cbranch_execz .LBB6_3978
.LBB6_3977:                             ;   in Loop: Header=BB6_3222 Depth=4
	v_and_b32_sdwa v4, v118, v9 dst_sel:DWORD dst_unused:UNUSED_PAD src0_sel:DWORD src1_sel:BYTE_1
	v_and_b32_e32 v6, 3, v4
	v_bfe_u32 v14, v4, 2, 5
	v_ffbh_u32_e32 v7, v6
	v_cmp_eq_u32_e32 vcc_lo, 0, v14
	v_min_u32_e32 v7, 32, v7
	v_subrev_nc_u32_e32 v8, 29, v7
	v_sub_nc_u32_e32 v7, 30, v7
	v_lshlrev_b32_e32 v4, v8, v4
	v_lshlrev_b32_sdwa v8, v119, v9 dst_sel:DWORD dst_unused:UNUSED_PAD src0_sel:DWORD src1_sel:BYTE_1
	v_cndmask_b32_e32 v7, v14, v7, vcc_lo
	v_and_b32_e32 v4, 3, v4
	v_lshl_add_u32 v7, v7, 23, 0x37800000
	v_cndmask_b32_e32 v4, v6, v4, vcc_lo
	v_and_b32_e32 v6, 0x80000000, v8
	v_lshlrev_b32_e32 v4, 21, v4
	v_or3_b32 v4, v6, v7, v4
.LBB6_3978:                             ;   in Loop: Header=BB6_3222 Depth=4
	s_or_b32 exec_lo, exec_lo, s73
	v_mul_f32_e32 v4, s72, v4
	v_mov_b32_e32 v89, 0x8000
	s_mov_b32 s73, exec_lo
	v_and_b32_e32 v6, 0x7f800000, v4
	v_cmpx_ne_u32_e32 0x7f800000, v6
	s_cbranch_execz .LBB6_3986
; %bb.3979:                             ;   in Loop: Header=BB6_3222 Depth=4
	v_mov_b32_e32 v89, 0
	s_mov_b32 s74, exec_lo
	v_cmpx_ne_u32_e32 0, v4
	s_cbranch_execz .LBB6_3985
; %bb.3980:                             ;   in Loop: Header=BB6_3222 Depth=4
	v_bfe_u32 v7, v4, 23, 8
	v_and_b32_e32 v6, 0x7fffff, v4
	v_cmp_gt_u32_e64 s16, 0x71, v7
	v_sub_nc_u32_e32 v8, 0x70, v7
	v_cmp_eq_u32_e32 vcc_lo, 0, v7
	v_or_b32_e32 v14, 0x800000, v6
	v_cndmask_b32_e64 v8, 0, v8, s16
	v_cndmask_b32_e32 v6, v14, v6, vcc_lo
	v_cndmask_b32_e64 v8, v8, 0x6f, vcc_lo
	v_lshl_add_u32 v14, 0x200000, v8, -1
	v_lshlrev_b32_e64 v15, v8, 0x100000
	v_and_b32_e32 v14, v14, v6
	v_cmp_eq_u32_e64 s16, v14, v15
	v_lshrrev_b32_e32 v14, v8, v6
	v_add_nc_u32_e32 v6, 0xffffff91, v7
	v_lshrrev_b32_e32 v7, 23, v14
	v_cndmask_b32_e64 v6, v6, 0xffffff92, vcc_lo
	v_xor_b32_e32 v7, 1, v7
	v_add_nc_u32_e32 v6, v8, v6
	v_bfe_u32 v8, v14, 21, 1
	v_add_nc_u32_e32 v8, -1, v8
	v_cndmask_b32_e64 v8, 0, v8, s16
	s_mov_b32 s16, exec_lo
	v_add_nc_u32_e32 v8, v8, v14
	v_and_b32_e32 v8, 0x1fffff, v8
	v_add_nc_u32_e32 v8, v8, v14
                                        ; implicit-def: $vgpr14
	v_cmpx_ne_u32_e64 v6, v7
	s_xor_b32 s16, exec_lo, s16
; %bb.3981:                             ;   in Loop: Header=BB6_3222 Depth=4
	v_cmp_lt_u32_e32 vcc_lo, 0xffffff, v8
	v_sub_nc_u32_e32 v6, v6, v7
	v_cndmask_b32_e64 v7, 0, 1, vcc_lo
	v_add_co_ci_u32_e64 v14, null, 0, v6, vcc_lo
	v_lshrrev_b32_e32 v8, v7, v8
; %bb.3982:                             ;   in Loop: Header=BB6_3222 Depth=4
	s_andn2_saveexec_b32 s16, s16
; %bb.3983:                             ;   in Loop: Header=BB6_3222 Depth=4
	v_bfe_u32 v14, v8, 23, 1
; %bb.3984:                             ;   in Loop: Header=BB6_3222 Depth=4
	s_or_b32 exec_lo, exec_lo, s16
	v_lshrrev_b32_e32 v6, 21, v8
	v_min_i32_e32 v7, 31, v14
	v_cmp_gt_i32_e32 vcc_lo, 32, v14
	v_and_b32_sdwa v4, v4, v117 dst_sel:DWORD dst_unused:UNUSED_PAD src0_sel:BYTE_3 src1_sel:DWORD
	v_lshlrev_b32_e32 v7, 2, v7
	v_cndmask_b32_e32 v6, 3, v6, vcc_lo
	v_and_b32_e32 v7, 0xfc, v7
	v_or_b32_e32 v8, v14, v6
	v_and_b32_e32 v6, 3, v6
	v_cmp_ne_u32_e32 vcc_lo, 0, v8
	v_or3_b32 v4, v4, v7, v6
	v_lshlrev_b32_e32 v4, 8, v4
	v_cndmask_b32_e32 v89, 0, v4, vcc_lo
.LBB6_3985:                             ;   in Loop: Header=BB6_3222 Depth=4
	s_or_b32 exec_lo, exec_lo, s74
.LBB6_3986:                             ;   in Loop: Header=BB6_3222 Depth=4
	s_or_b32 exec_lo, exec_lo, s73
	v_and_b32_sdwa v6, v9, v40 dst_sel:DWORD dst_unused:UNUSED_PAD src0_sel:WORD_1 src1_sel:DWORD
	s_mov_b32 s73, 0
	s_mov_b32 s16, exec_lo
	v_cmpx_lt_i16_e32 0x7f, v6
	s_xor_b32 s16, exec_lo, s16
	s_cbranch_execz .LBB6_5512
; %bb.3987:                             ;   in Loop: Header=BB6_3222 Depth=4
	s_mov_b32 s73, -1
	s_mov_b32 s74, exec_lo
	v_cmpx_eq_u16_e32 0x80, v6
; %bb.3988:                             ;   in Loop: Header=BB6_3222 Depth=4
	s_xor_b32 s73, exec_lo, -1
; %bb.3989:                             ;   in Loop: Header=BB6_3222 Depth=4
	s_or_b32 exec_lo, exec_lo, s74
	s_and_b32 s73, s73, exec_lo
                                        ; implicit-def: $vgpr6
	s_or_saveexec_b32 s16, s16
	v_mov_b32_e32 v4, 0x7f800001
	s_xor_b32 exec_lo, exec_lo, s16
	s_cbranch_execnz .LBB6_5513
.LBB6_3990:                             ;   in Loop: Header=BB6_3222 Depth=4
	s_or_b32 exec_lo, exec_lo, s16
	s_and_saveexec_b32 s16, s73
	s_cbranch_execz .LBB6_3992
.LBB6_3991:                             ;   in Loop: Header=BB6_3222 Depth=4
	v_bfe_u32 v4, v9, 16, 2
	v_bfe_u32 v6, v9, 18, 5
	v_ffbh_u32_e32 v7, v4
	v_cmp_eq_u32_e32 vcc_lo, 0, v6
	v_min_u32_e32 v7, 32, v7
	v_subrev_nc_u32_e32 v8, 29, v7
	v_sub_nc_u32_e32 v7, 30, v7
	v_lshlrev_b32_sdwa v8, v8, v9 dst_sel:DWORD dst_unused:UNUSED_PAD src0_sel:DWORD src1_sel:WORD_1
	v_cndmask_b32_e32 v6, v6, v7, vcc_lo
	v_lshlrev_b32_e32 v7, 8, v9
	v_and_b32_e32 v8, 3, v8
	v_lshl_add_u32 v6, v6, 23, 0x37800000
	v_and_b32_e32 v7, 0x80000000, v7
	v_cndmask_b32_e32 v4, v4, v8, vcc_lo
	v_lshlrev_b32_e32 v4, 21, v4
	v_or3_b32 v4, v7, v6, v4
.LBB6_3992:                             ;   in Loop: Header=BB6_3222 Depth=4
	s_or_b32 exec_lo, exec_lo, s16
	v_mul_f32_e32 v4, s72, v4
	v_mov_b32_e32 v78, 0x80
	s_mov_b32 s73, exec_lo
	v_and_b32_e32 v6, 0x7f800000, v4
	v_cmpx_ne_u32_e32 0x7f800000, v6
	s_cbranch_execz .LBB6_4000
; %bb.3993:                             ;   in Loop: Header=BB6_3222 Depth=4
	v_mov_b32_e32 v78, 0
	s_mov_b32 s74, exec_lo
	v_cmpx_ne_u32_e32 0, v4
	s_cbranch_execz .LBB6_3999
; %bb.3994:                             ;   in Loop: Header=BB6_3222 Depth=4
	v_bfe_u32 v7, v4, 23, 8
	v_and_b32_e32 v6, 0x7fffff, v4
	v_cmp_gt_u32_e64 s16, 0x71, v7
	v_sub_nc_u32_e32 v8, 0x70, v7
	v_cmp_eq_u32_e32 vcc_lo, 0, v7
	v_or_b32_e32 v14, 0x800000, v6
	v_cndmask_b32_e64 v8, 0, v8, s16
	v_cndmask_b32_e32 v6, v14, v6, vcc_lo
	v_cndmask_b32_e64 v8, v8, 0x6f, vcc_lo
	v_lshl_add_u32 v14, 0x200000, v8, -1
	v_lshlrev_b32_e64 v15, v8, 0x100000
	v_and_b32_e32 v14, v14, v6
	v_cmp_eq_u32_e64 s16, v14, v15
	v_lshrrev_b32_e32 v14, v8, v6
	v_add_nc_u32_e32 v6, 0xffffff91, v7
	v_lshrrev_b32_e32 v7, 23, v14
	v_cndmask_b32_e64 v6, v6, 0xffffff92, vcc_lo
	v_xor_b32_e32 v7, 1, v7
	v_add_nc_u32_e32 v6, v8, v6
	v_bfe_u32 v8, v14, 21, 1
	v_add_nc_u32_e32 v8, -1, v8
	v_cndmask_b32_e64 v8, 0, v8, s16
	s_mov_b32 s16, exec_lo
	v_add_nc_u32_e32 v8, v8, v14
	v_and_b32_e32 v8, 0x1fffff, v8
	v_add_nc_u32_e32 v8, v8, v14
                                        ; implicit-def: $vgpr14
	v_cmpx_ne_u32_e64 v6, v7
	s_xor_b32 s16, exec_lo, s16
; %bb.3995:                             ;   in Loop: Header=BB6_3222 Depth=4
	v_cmp_lt_u32_e32 vcc_lo, 0xffffff, v8
	v_sub_nc_u32_e32 v6, v6, v7
	v_cndmask_b32_e64 v7, 0, 1, vcc_lo
	v_add_co_ci_u32_e64 v14, null, 0, v6, vcc_lo
	v_lshrrev_b32_e32 v8, v7, v8
; %bb.3996:                             ;   in Loop: Header=BB6_3222 Depth=4
	s_andn2_saveexec_b32 s16, s16
; %bb.3997:                             ;   in Loop: Header=BB6_3222 Depth=4
	v_bfe_u32 v14, v8, 23, 1
; %bb.3998:                             ;   in Loop: Header=BB6_3222 Depth=4
	s_or_b32 exec_lo, exec_lo, s16
	v_lshrrev_b32_e32 v6, 21, v8
	v_min_i32_e32 v7, 31, v14
	v_cmp_gt_i32_e32 vcc_lo, 32, v14
	v_and_b32_sdwa v4, v4, v117 dst_sel:DWORD dst_unused:UNUSED_PAD src0_sel:BYTE_3 src1_sel:DWORD
	v_lshlrev_b32_e32 v7, 2, v7
	v_cndmask_b32_e32 v6, 3, v6, vcc_lo
	v_and_b32_e32 v7, 0xfc, v7
	v_or_b32_e32 v8, v14, v6
	v_and_b32_e32 v6, 3, v6
	v_cmp_ne_u32_e32 vcc_lo, 0, v8
	v_or3_b32 v4, v7, v4, v6
	v_cndmask_b32_e32 v78, 0, v4, vcc_lo
.LBB6_3999:                             ;   in Loop: Header=BB6_3222 Depth=4
	s_or_b32 exec_lo, exec_lo, s74
.LBB6_4000:                             ;   in Loop: Header=BB6_3222 Depth=4
	s_or_b32 exec_lo, exec_lo, s73
	v_cmp_gt_i16_sdwa s73, v9, v116 src0_sel:BYTE_3 src1_sel:DWORD
	s_mov_b32 s16, 0
	s_and_saveexec_b32 s74, s73
	s_xor_b32 s73, exec_lo, s74
	s_cbranch_execz .LBB6_5514
; %bb.4001:                             ;   in Loop: Header=BB6_3222 Depth=4
	v_cmp_eq_u16_sdwa s75, v9, v117 src0_sel:BYTE_3 src1_sel:DWORD
	s_mov_b32 s16, -1
	s_and_saveexec_b32 s74, s75
; %bb.4002:                             ;   in Loop: Header=BB6_3222 Depth=4
	s_xor_b32 s16, exec_lo, -1
; %bb.4003:                             ;   in Loop: Header=BB6_3222 Depth=4
	s_or_b32 exec_lo, exec_lo, s74
	s_and_b32 s16, s16, exec_lo
	s_or_saveexec_b32 s73, s73
	v_mov_b32_e32 v4, 0x7f800001
	s_xor_b32 exec_lo, exec_lo, s73
	s_cbranch_execnz .LBB6_5515
.LBB6_4004:                             ;   in Loop: Header=BB6_3222 Depth=4
	s_or_b32 exec_lo, exec_lo, s73
	s_and_saveexec_b32 s73, s16
	s_cbranch_execz .LBB6_4006
.LBB6_4005:                             ;   in Loop: Header=BB6_3222 Depth=4
	v_bfe_u32 v4, v9, 24, 2
	v_bfe_u32 v8, v9, 26, 5
	v_ffbh_u32_e32 v6, v4
	v_cmp_eq_u32_e32 vcc_lo, 0, v8
	v_min_u32_e32 v6, 32, v6
	v_subrev_nc_u32_e32 v7, 29, v6
	v_sub_nc_u32_e32 v6, 30, v6
	v_lshlrev_b32_sdwa v7, v7, v9 dst_sel:DWORD dst_unused:UNUSED_PAD src0_sel:DWORD src1_sel:BYTE_3
	v_cndmask_b32_e32 v6, v8, v6, vcc_lo
	v_and_b32_e32 v7, 3, v7
	v_lshl_add_u32 v6, v6, 23, 0x37800000
	v_cndmask_b32_e32 v4, v4, v7, vcc_lo
	v_and_b32_e32 v7, 0x80000000, v9
	v_lshlrev_b32_e32 v4, 21, v4
	v_or3_b32 v4, v7, v6, v4
.LBB6_4006:                             ;   in Loop: Header=BB6_3222 Depth=4
	s_or_b32 exec_lo, exec_lo, s73
	v_mul_f32_e32 v6, s72, v4
	v_and_b32_e32 v4, 0x7f800000, v6
	v_cmp_ne_u32_e32 vcc_lo, 0x7f800000, v4
	v_mov_b32_e32 v4, 0x8000
	s_and_saveexec_b32 s73, vcc_lo
	s_cbranch_execz .LBB6_4014
; %bb.4007:                             ;   in Loop: Header=BB6_3222 Depth=4
	v_mov_b32_e32 v4, 0
	s_mov_b32 s74, exec_lo
	v_cmpx_ne_u32_e32 0, v6
	s_cbranch_execz .LBB6_4013
; %bb.4008:                             ;   in Loop: Header=BB6_3222 Depth=4
	v_bfe_u32 v7, v6, 23, 8
	v_and_b32_e32 v4, 0x7fffff, v6
	v_cmp_gt_u32_e64 s16, 0x71, v7
	v_sub_nc_u32_e32 v8, 0x70, v7
	v_cmp_eq_u32_e32 vcc_lo, 0, v7
	v_or_b32_e32 v9, 0x800000, v4
	v_cndmask_b32_e64 v8, 0, v8, s16
	v_cndmask_b32_e32 v4, v9, v4, vcc_lo
	v_cndmask_b32_e64 v8, v8, 0x6f, vcc_lo
	v_lshl_add_u32 v9, 0x200000, v8, -1
	v_lshlrev_b32_e64 v14, v8, 0x100000
	v_and_b32_e32 v9, v9, v4
	v_cmp_eq_u32_e64 s16, v9, v14
	v_lshrrev_b32_e32 v9, v8, v4
	v_add_nc_u32_e32 v4, 0xffffff91, v7
	v_lshrrev_b32_e32 v7, 23, v9
	v_cndmask_b32_e64 v4, v4, 0xffffff92, vcc_lo
	v_xor_b32_e32 v7, 1, v7
	v_add_nc_u32_e32 v4, v8, v4
	v_bfe_u32 v8, v9, 21, 1
	v_add_nc_u32_e32 v8, -1, v8
	v_cndmask_b32_e64 v8, 0, v8, s16
	s_mov_b32 s16, exec_lo
	v_add_nc_u32_e32 v8, v8, v9
	v_and_b32_e32 v8, 0x1fffff, v8
	v_add_nc_u32_e32 v8, v8, v9
                                        ; implicit-def: $vgpr9
	v_cmpx_ne_u32_e64 v4, v7
	s_xor_b32 s16, exec_lo, s16
; %bb.4009:                             ;   in Loop: Header=BB6_3222 Depth=4
	v_cmp_lt_u32_e32 vcc_lo, 0xffffff, v8
	v_sub_nc_u32_e32 v4, v4, v7
	v_cndmask_b32_e64 v7, 0, 1, vcc_lo
	v_add_co_ci_u32_e64 v9, null, 0, v4, vcc_lo
	v_lshrrev_b32_e32 v8, v7, v8
; %bb.4010:                             ;   in Loop: Header=BB6_3222 Depth=4
	s_andn2_saveexec_b32 s16, s16
; %bb.4011:                             ;   in Loop: Header=BB6_3222 Depth=4
	v_bfe_u32 v9, v8, 23, 1
; %bb.4012:                             ;   in Loop: Header=BB6_3222 Depth=4
	s_or_b32 exec_lo, exec_lo, s16
	v_and_b32_sdwa v4, v6, v117 dst_sel:DWORD dst_unused:UNUSED_PAD src0_sel:BYTE_3 src1_sel:DWORD
	v_lshrrev_b32_e32 v6, 21, v8
	v_min_i32_e32 v7, 31, v9
	v_cmp_gt_i32_e32 vcc_lo, 32, v9
	v_lshlrev_b32_e32 v7, 2, v7
	v_cndmask_b32_e32 v6, 3, v6, vcc_lo
	v_and_b32_e32 v7, 0xfc, v7
	v_or_b32_e32 v8, v9, v6
	v_and_b32_e32 v6, 3, v6
	v_cmp_ne_u32_e32 vcc_lo, 0, v8
	v_or3_b32 v4, v4, v7, v6
	v_lshlrev_b32_e32 v4, 8, v4
	v_cndmask_b32_e32 v4, 0, v4, vcc_lo
.LBB6_4013:                             ;   in Loop: Header=BB6_3222 Depth=4
	s_or_b32 exec_lo, exec_lo, s74
.LBB6_4014:                             ;   in Loop: Header=BB6_3222 Depth=4
	s_or_b32 exec_lo, exec_lo, s73
	v_cmp_gt_i16_sdwa s16, v10, v116 src0_sel:BYTE_0 src1_sel:DWORD
	s_mov_b32 s73, 0
	s_and_saveexec_b32 s74, s16
	s_xor_b32 s16, exec_lo, s74
	s_cbranch_execz .LBB6_5516
; %bb.4015:                             ;   in Loop: Header=BB6_3222 Depth=4
	v_cmp_eq_u16_sdwa s75, v10, v117 src0_sel:BYTE_0 src1_sel:DWORD
	s_mov_b32 s73, -1
	s_and_saveexec_b32 s74, s75
; %bb.4016:                             ;   in Loop: Header=BB6_3222 Depth=4
	s_xor_b32 s73, exec_lo, -1
; %bb.4017:                             ;   in Loop: Header=BB6_3222 Depth=4
	s_or_b32 exec_lo, exec_lo, s74
	s_and_b32 s73, s73, exec_lo
	s_or_saveexec_b32 s16, s16
	v_mov_b32_e32 v6, 0x7f800001
	s_xor_b32 exec_lo, exec_lo, s16
	s_cbranch_execnz .LBB6_5517
.LBB6_4018:                             ;   in Loop: Header=BB6_3222 Depth=4
	s_or_b32 exec_lo, exec_lo, s16
	s_and_saveexec_b32 s16, s73
	s_cbranch_execz .LBB6_4020
.LBB6_4019:                             ;   in Loop: Header=BB6_3222 Depth=4
	v_and_b32_e32 v6, 3, v10
	v_bfe_u32 v7, v10, 2, 5
	v_ffbh_u32_e32 v8, v6
	v_cmp_eq_u32_e32 vcc_lo, 0, v7
	v_min_u32_e32 v8, 32, v8
	v_subrev_nc_u32_e32 v9, 29, v8
	v_sub_nc_u32_e32 v8, 30, v8
	v_lshlrev_b32_e32 v9, v9, v10
	v_cndmask_b32_e32 v7, v7, v8, vcc_lo
	v_lshlrev_b32_e32 v8, 24, v10
	v_and_b32_e32 v9, 3, v9
	v_lshl_add_u32 v7, v7, 23, 0x37800000
	v_and_b32_e32 v8, 0x80000000, v8
	v_cndmask_b32_e32 v6, v6, v9, vcc_lo
	v_lshlrev_b32_e32 v6, 21, v6
	v_or3_b32 v6, v8, v7, v6
.LBB6_4020:                             ;   in Loop: Header=BB6_3222 Depth=4
	s_or_b32 exec_lo, exec_lo, s16
	v_mul_f32_e32 v6, s72, v6
	v_mov_b32_e32 v52, 0x80
	s_mov_b32 s73, exec_lo
	v_and_b32_e32 v7, 0x7f800000, v6
	v_cmpx_ne_u32_e32 0x7f800000, v7
	s_cbranch_execz .LBB6_4028
; %bb.4021:                             ;   in Loop: Header=BB6_3222 Depth=4
	v_mov_b32_e32 v52, 0
	s_mov_b32 s74, exec_lo
	v_cmpx_ne_u32_e32 0, v6
	s_cbranch_execz .LBB6_4027
; %bb.4022:                             ;   in Loop: Header=BB6_3222 Depth=4
	v_bfe_u32 v8, v6, 23, 8
	v_and_b32_e32 v7, 0x7fffff, v6
	v_cmp_gt_u32_e64 s16, 0x71, v8
	v_sub_nc_u32_e32 v9, 0x70, v8
	v_cmp_eq_u32_e32 vcc_lo, 0, v8
	v_or_b32_e32 v14, 0x800000, v7
	v_cndmask_b32_e64 v9, 0, v9, s16
	v_cndmask_b32_e32 v7, v14, v7, vcc_lo
	v_cndmask_b32_e64 v9, v9, 0x6f, vcc_lo
	v_lshl_add_u32 v14, 0x200000, v9, -1
	v_lshlrev_b32_e64 v15, v9, 0x100000
	v_and_b32_e32 v14, v14, v7
	v_cmp_eq_u32_e64 s16, v14, v15
	v_lshrrev_b32_e32 v14, v9, v7
	v_add_nc_u32_e32 v7, 0xffffff91, v8
	v_lshrrev_b32_e32 v8, 23, v14
	v_cndmask_b32_e64 v7, v7, 0xffffff92, vcc_lo
	v_xor_b32_e32 v8, 1, v8
	v_add_nc_u32_e32 v7, v9, v7
	v_bfe_u32 v9, v14, 21, 1
	v_add_nc_u32_e32 v9, -1, v9
	v_cndmask_b32_e64 v9, 0, v9, s16
	s_mov_b32 s16, exec_lo
	v_add_nc_u32_e32 v9, v9, v14
	v_and_b32_e32 v9, 0x1fffff, v9
	v_add_nc_u32_e32 v9, v9, v14
                                        ; implicit-def: $vgpr14
	v_cmpx_ne_u32_e64 v7, v8
	s_xor_b32 s16, exec_lo, s16
; %bb.4023:                             ;   in Loop: Header=BB6_3222 Depth=4
	v_cmp_lt_u32_e32 vcc_lo, 0xffffff, v9
	v_sub_nc_u32_e32 v7, v7, v8
	v_cndmask_b32_e64 v8, 0, 1, vcc_lo
	v_add_co_ci_u32_e64 v14, null, 0, v7, vcc_lo
	v_lshrrev_b32_e32 v9, v8, v9
; %bb.4024:                             ;   in Loop: Header=BB6_3222 Depth=4
	s_andn2_saveexec_b32 s16, s16
; %bb.4025:                             ;   in Loop: Header=BB6_3222 Depth=4
	v_bfe_u32 v14, v9, 23, 1
; %bb.4026:                             ;   in Loop: Header=BB6_3222 Depth=4
	s_or_b32 exec_lo, exec_lo, s16
	v_lshrrev_b32_e32 v7, 21, v9
	v_min_i32_e32 v8, 31, v14
	v_cmp_gt_i32_e32 vcc_lo, 32, v14
	v_and_b32_sdwa v6, v6, v117 dst_sel:DWORD dst_unused:UNUSED_PAD src0_sel:BYTE_3 src1_sel:DWORD
	v_lshlrev_b32_e32 v8, 2, v8
	v_cndmask_b32_e32 v7, 3, v7, vcc_lo
	v_and_b32_e32 v8, 0xfc, v8
	v_or_b32_e32 v9, v14, v7
	v_and_b32_e32 v7, 3, v7
	v_cmp_ne_u32_e32 vcc_lo, 0, v9
	v_or3_b32 v6, v8, v6, v7
	v_cndmask_b32_e32 v52, 0, v6, vcc_lo
.LBB6_4027:                             ;   in Loop: Header=BB6_3222 Depth=4
	s_or_b32 exec_lo, exec_lo, s74
.LBB6_4028:                             ;   in Loop: Header=BB6_3222 Depth=4
	s_or_b32 exec_lo, exec_lo, s73
	v_cmp_gt_i16_sdwa s73, v10, v116 src0_sel:BYTE_1 src1_sel:DWORD
	s_mov_b32 s16, 0
	s_and_saveexec_b32 s74, s73
	s_xor_b32 s73, exec_lo, s74
	s_cbranch_execz .LBB6_5518
; %bb.4029:                             ;   in Loop: Header=BB6_3222 Depth=4
	v_cmp_eq_u16_sdwa s75, v10, v117 src0_sel:BYTE_1 src1_sel:DWORD
	s_mov_b32 s16, -1
	s_and_saveexec_b32 s74, s75
; %bb.4030:                             ;   in Loop: Header=BB6_3222 Depth=4
	s_xor_b32 s16, exec_lo, -1
; %bb.4031:                             ;   in Loop: Header=BB6_3222 Depth=4
	s_or_b32 exec_lo, exec_lo, s74
	s_and_b32 s16, s16, exec_lo
	s_or_saveexec_b32 s73, s73
	v_mov_b32_e32 v6, 0x7f800001
	s_xor_b32 exec_lo, exec_lo, s73
	s_cbranch_execnz .LBB6_5519
.LBB6_4032:                             ;   in Loop: Header=BB6_3222 Depth=4
	s_or_b32 exec_lo, exec_lo, s73
	s_and_saveexec_b32 s73, s16
	s_cbranch_execz .LBB6_4034
.LBB6_4033:                             ;   in Loop: Header=BB6_3222 Depth=4
	v_and_b32_sdwa v6, v118, v10 dst_sel:DWORD dst_unused:UNUSED_PAD src0_sel:DWORD src1_sel:BYTE_1
	v_and_b32_e32 v7, 3, v6
	v_bfe_u32 v14, v6, 2, 5
	v_ffbh_u32_e32 v8, v7
	v_cmp_eq_u32_e32 vcc_lo, 0, v14
	v_min_u32_e32 v8, 32, v8
	v_subrev_nc_u32_e32 v9, 29, v8
	v_sub_nc_u32_e32 v8, 30, v8
	v_lshlrev_b32_e32 v6, v9, v6
	v_lshlrev_b32_sdwa v9, v119, v10 dst_sel:DWORD dst_unused:UNUSED_PAD src0_sel:DWORD src1_sel:BYTE_1
	v_cndmask_b32_e32 v8, v14, v8, vcc_lo
	v_and_b32_e32 v6, 3, v6
	v_lshl_add_u32 v8, v8, 23, 0x37800000
	v_cndmask_b32_e32 v6, v7, v6, vcc_lo
	v_and_b32_e32 v7, 0x80000000, v9
	v_lshlrev_b32_e32 v6, 21, v6
	v_or3_b32 v6, v7, v8, v6
.LBB6_4034:                             ;   in Loop: Header=BB6_3222 Depth=4
	s_or_b32 exec_lo, exec_lo, s73
	v_mul_f32_e32 v6, s72, v6
	v_mov_b32_e32 v79, 0x8000
	s_mov_b32 s73, exec_lo
	v_and_b32_e32 v7, 0x7f800000, v6
	v_cmpx_ne_u32_e32 0x7f800000, v7
	s_cbranch_execz .LBB6_4042
; %bb.4035:                             ;   in Loop: Header=BB6_3222 Depth=4
	v_mov_b32_e32 v79, 0
	s_mov_b32 s74, exec_lo
	v_cmpx_ne_u32_e32 0, v6
	s_cbranch_execz .LBB6_4041
; %bb.4036:                             ;   in Loop: Header=BB6_3222 Depth=4
	v_bfe_u32 v8, v6, 23, 8
	v_and_b32_e32 v7, 0x7fffff, v6
	v_cmp_gt_u32_e64 s16, 0x71, v8
	v_sub_nc_u32_e32 v9, 0x70, v8
	v_cmp_eq_u32_e32 vcc_lo, 0, v8
	v_or_b32_e32 v14, 0x800000, v7
	v_cndmask_b32_e64 v9, 0, v9, s16
	v_cndmask_b32_e32 v7, v14, v7, vcc_lo
	v_cndmask_b32_e64 v9, v9, 0x6f, vcc_lo
	v_lshl_add_u32 v14, 0x200000, v9, -1
	v_lshlrev_b32_e64 v15, v9, 0x100000
	v_and_b32_e32 v14, v14, v7
	v_cmp_eq_u32_e64 s16, v14, v15
	v_lshrrev_b32_e32 v14, v9, v7
	v_add_nc_u32_e32 v7, 0xffffff91, v8
	v_lshrrev_b32_e32 v8, 23, v14
	v_cndmask_b32_e64 v7, v7, 0xffffff92, vcc_lo
	v_xor_b32_e32 v8, 1, v8
	v_add_nc_u32_e32 v7, v9, v7
	v_bfe_u32 v9, v14, 21, 1
	v_add_nc_u32_e32 v9, -1, v9
	v_cndmask_b32_e64 v9, 0, v9, s16
	s_mov_b32 s16, exec_lo
	v_add_nc_u32_e32 v9, v9, v14
	v_and_b32_e32 v9, 0x1fffff, v9
	v_add_nc_u32_e32 v9, v9, v14
                                        ; implicit-def: $vgpr14
	v_cmpx_ne_u32_e64 v7, v8
	s_xor_b32 s16, exec_lo, s16
; %bb.4037:                             ;   in Loop: Header=BB6_3222 Depth=4
	v_cmp_lt_u32_e32 vcc_lo, 0xffffff, v9
	v_sub_nc_u32_e32 v7, v7, v8
	v_cndmask_b32_e64 v8, 0, 1, vcc_lo
	v_add_co_ci_u32_e64 v14, null, 0, v7, vcc_lo
	v_lshrrev_b32_e32 v9, v8, v9
; %bb.4038:                             ;   in Loop: Header=BB6_3222 Depth=4
	s_andn2_saveexec_b32 s16, s16
; %bb.4039:                             ;   in Loop: Header=BB6_3222 Depth=4
	v_bfe_u32 v14, v9, 23, 1
; %bb.4040:                             ;   in Loop: Header=BB6_3222 Depth=4
	s_or_b32 exec_lo, exec_lo, s16
	v_lshrrev_b32_e32 v7, 21, v9
	v_min_i32_e32 v8, 31, v14
	v_cmp_gt_i32_e32 vcc_lo, 32, v14
	v_and_b32_sdwa v6, v6, v117 dst_sel:DWORD dst_unused:UNUSED_PAD src0_sel:BYTE_3 src1_sel:DWORD
	v_lshlrev_b32_e32 v8, 2, v8
	v_cndmask_b32_e32 v7, 3, v7, vcc_lo
	v_and_b32_e32 v8, 0xfc, v8
	v_or_b32_e32 v9, v14, v7
	v_and_b32_e32 v7, 3, v7
	v_cmp_ne_u32_e32 vcc_lo, 0, v9
	v_or3_b32 v6, v6, v8, v7
	v_lshlrev_b32_e32 v6, 8, v6
	v_cndmask_b32_e32 v79, 0, v6, vcc_lo
.LBB6_4041:                             ;   in Loop: Header=BB6_3222 Depth=4
	s_or_b32 exec_lo, exec_lo, s74
.LBB6_4042:                             ;   in Loop: Header=BB6_3222 Depth=4
	s_or_b32 exec_lo, exec_lo, s73
	v_and_b32_sdwa v7, v10, v40 dst_sel:DWORD dst_unused:UNUSED_PAD src0_sel:WORD_1 src1_sel:DWORD
	s_mov_b32 s73, 0
	s_mov_b32 s16, exec_lo
	v_cmpx_lt_i16_e32 0x7f, v7
	s_xor_b32 s16, exec_lo, s16
	s_cbranch_execz .LBB6_5520
; %bb.4043:                             ;   in Loop: Header=BB6_3222 Depth=4
	s_mov_b32 s73, -1
	s_mov_b32 s74, exec_lo
	v_cmpx_eq_u16_e32 0x80, v7
; %bb.4044:                             ;   in Loop: Header=BB6_3222 Depth=4
	s_xor_b32 s73, exec_lo, -1
; %bb.4045:                             ;   in Loop: Header=BB6_3222 Depth=4
	s_or_b32 exec_lo, exec_lo, s74
	s_and_b32 s73, s73, exec_lo
                                        ; implicit-def: $vgpr7
	s_or_saveexec_b32 s16, s16
	v_mov_b32_e32 v6, 0x7f800001
	s_xor_b32 exec_lo, exec_lo, s16
	s_cbranch_execnz .LBB6_5521
.LBB6_4046:                             ;   in Loop: Header=BB6_3222 Depth=4
	s_or_b32 exec_lo, exec_lo, s16
	s_and_saveexec_b32 s16, s73
	s_cbranch_execz .LBB6_4048
.LBB6_4047:                             ;   in Loop: Header=BB6_3222 Depth=4
	v_bfe_u32 v6, v10, 16, 2
	v_bfe_u32 v7, v10, 18, 5
	v_ffbh_u32_e32 v8, v6
	v_cmp_eq_u32_e32 vcc_lo, 0, v7
	v_min_u32_e32 v8, 32, v8
	v_subrev_nc_u32_e32 v9, 29, v8
	v_sub_nc_u32_e32 v8, 30, v8
	v_lshlrev_b32_sdwa v9, v9, v10 dst_sel:DWORD dst_unused:UNUSED_PAD src0_sel:DWORD src1_sel:WORD_1
	v_cndmask_b32_e32 v7, v7, v8, vcc_lo
	v_lshlrev_b32_e32 v8, 8, v10
	v_and_b32_e32 v9, 3, v9
	v_lshl_add_u32 v7, v7, 23, 0x37800000
	v_and_b32_e32 v8, 0x80000000, v8
	v_cndmask_b32_e32 v6, v6, v9, vcc_lo
	v_lshlrev_b32_e32 v6, 21, v6
	v_or3_b32 v6, v8, v7, v6
.LBB6_4048:                             ;   in Loop: Header=BB6_3222 Depth=4
	s_or_b32 exec_lo, exec_lo, s16
	v_mul_f32_e32 v6, s72, v6
	v_mov_b32_e32 v29, 0x80
	s_mov_b32 s73, exec_lo
	v_and_b32_e32 v7, 0x7f800000, v6
	v_cmpx_ne_u32_e32 0x7f800000, v7
	s_cbranch_execz .LBB6_4056
; %bb.4049:                             ;   in Loop: Header=BB6_3222 Depth=4
	v_mov_b32_e32 v29, 0
	s_mov_b32 s74, exec_lo
	v_cmpx_ne_u32_e32 0, v6
	s_cbranch_execz .LBB6_4055
; %bb.4050:                             ;   in Loop: Header=BB6_3222 Depth=4
	v_bfe_u32 v8, v6, 23, 8
	v_and_b32_e32 v7, 0x7fffff, v6
	v_cmp_gt_u32_e64 s16, 0x71, v8
	v_sub_nc_u32_e32 v9, 0x70, v8
	v_cmp_eq_u32_e32 vcc_lo, 0, v8
	v_or_b32_e32 v14, 0x800000, v7
	v_cndmask_b32_e64 v9, 0, v9, s16
	v_cndmask_b32_e32 v7, v14, v7, vcc_lo
	v_cndmask_b32_e64 v9, v9, 0x6f, vcc_lo
	v_lshl_add_u32 v14, 0x200000, v9, -1
	v_lshlrev_b32_e64 v15, v9, 0x100000
	v_and_b32_e32 v14, v14, v7
	v_cmp_eq_u32_e64 s16, v14, v15
	v_lshrrev_b32_e32 v14, v9, v7
	v_add_nc_u32_e32 v7, 0xffffff91, v8
	v_lshrrev_b32_e32 v8, 23, v14
	v_cndmask_b32_e64 v7, v7, 0xffffff92, vcc_lo
	v_xor_b32_e32 v8, 1, v8
	v_add_nc_u32_e32 v7, v9, v7
	v_bfe_u32 v9, v14, 21, 1
	v_add_nc_u32_e32 v9, -1, v9
	v_cndmask_b32_e64 v9, 0, v9, s16
	s_mov_b32 s16, exec_lo
	v_add_nc_u32_e32 v9, v9, v14
	v_and_b32_e32 v9, 0x1fffff, v9
	v_add_nc_u32_e32 v9, v9, v14
                                        ; implicit-def: $vgpr14
	v_cmpx_ne_u32_e64 v7, v8
	s_xor_b32 s16, exec_lo, s16
; %bb.4051:                             ;   in Loop: Header=BB6_3222 Depth=4
	v_cmp_lt_u32_e32 vcc_lo, 0xffffff, v9
	v_sub_nc_u32_e32 v7, v7, v8
	v_cndmask_b32_e64 v8, 0, 1, vcc_lo
	v_add_co_ci_u32_e64 v14, null, 0, v7, vcc_lo
	v_lshrrev_b32_e32 v9, v8, v9
; %bb.4052:                             ;   in Loop: Header=BB6_3222 Depth=4
	s_andn2_saveexec_b32 s16, s16
; %bb.4053:                             ;   in Loop: Header=BB6_3222 Depth=4
	v_bfe_u32 v14, v9, 23, 1
; %bb.4054:                             ;   in Loop: Header=BB6_3222 Depth=4
	s_or_b32 exec_lo, exec_lo, s16
	v_lshrrev_b32_e32 v7, 21, v9
	v_min_i32_e32 v8, 31, v14
	v_cmp_gt_i32_e32 vcc_lo, 32, v14
	v_and_b32_sdwa v6, v6, v117 dst_sel:DWORD dst_unused:UNUSED_PAD src0_sel:BYTE_3 src1_sel:DWORD
	v_lshlrev_b32_e32 v8, 2, v8
	v_cndmask_b32_e32 v7, 3, v7, vcc_lo
	v_and_b32_e32 v8, 0xfc, v8
	v_or_b32_e32 v9, v14, v7
	v_and_b32_e32 v7, 3, v7
	v_cmp_ne_u32_e32 vcc_lo, 0, v9
	v_or3_b32 v6, v8, v6, v7
	v_cndmask_b32_e32 v29, 0, v6, vcc_lo
.LBB6_4055:                             ;   in Loop: Header=BB6_3222 Depth=4
	s_or_b32 exec_lo, exec_lo, s74
.LBB6_4056:                             ;   in Loop: Header=BB6_3222 Depth=4
	s_or_b32 exec_lo, exec_lo, s73
	v_cmp_gt_i16_sdwa s73, v10, v116 src0_sel:BYTE_3 src1_sel:DWORD
	s_mov_b32 s16, 0
	s_and_saveexec_b32 s74, s73
	s_xor_b32 s73, exec_lo, s74
	s_cbranch_execz .LBB6_5522
; %bb.4057:                             ;   in Loop: Header=BB6_3222 Depth=4
	v_cmp_eq_u16_sdwa s75, v10, v117 src0_sel:BYTE_3 src1_sel:DWORD
	s_mov_b32 s16, -1
	s_and_saveexec_b32 s74, s75
; %bb.4058:                             ;   in Loop: Header=BB6_3222 Depth=4
	s_xor_b32 s16, exec_lo, -1
; %bb.4059:                             ;   in Loop: Header=BB6_3222 Depth=4
	s_or_b32 exec_lo, exec_lo, s74
	s_and_b32 s16, s16, exec_lo
	s_or_saveexec_b32 s73, s73
	v_mov_b32_e32 v6, 0x7f800001
	s_xor_b32 exec_lo, exec_lo, s73
	s_cbranch_execnz .LBB6_5523
.LBB6_4060:                             ;   in Loop: Header=BB6_3222 Depth=4
	s_or_b32 exec_lo, exec_lo, s73
	s_and_saveexec_b32 s73, s16
	s_cbranch_execz .LBB6_4062
.LBB6_4061:                             ;   in Loop: Header=BB6_3222 Depth=4
	v_bfe_u32 v6, v10, 24, 2
	v_bfe_u32 v9, v10, 26, 5
	v_ffbh_u32_e32 v7, v6
	v_cmp_eq_u32_e32 vcc_lo, 0, v9
	v_min_u32_e32 v7, 32, v7
	v_subrev_nc_u32_e32 v8, 29, v7
	v_sub_nc_u32_e32 v7, 30, v7
	v_lshlrev_b32_sdwa v8, v8, v10 dst_sel:DWORD dst_unused:UNUSED_PAD src0_sel:DWORD src1_sel:BYTE_3
	v_cndmask_b32_e32 v7, v9, v7, vcc_lo
	v_and_b32_e32 v8, 3, v8
	v_lshl_add_u32 v7, v7, 23, 0x37800000
	v_cndmask_b32_e32 v6, v6, v8, vcc_lo
	v_and_b32_e32 v8, 0x80000000, v10
	v_lshlrev_b32_e32 v6, 21, v6
	v_or3_b32 v6, v8, v7, v6
.LBB6_4062:                             ;   in Loop: Header=BB6_3222 Depth=4
	s_or_b32 exec_lo, exec_lo, s73
	v_mul_f32_e32 v6, s72, v6
	v_mov_b32_e32 v77, 0x8000
	s_mov_b32 s73, exec_lo
	v_and_b32_e32 v7, 0x7f800000, v6
	v_cmpx_ne_u32_e32 0x7f800000, v7
	s_cbranch_execz .LBB6_4070
; %bb.4063:                             ;   in Loop: Header=BB6_3222 Depth=4
	v_mov_b32_e32 v77, 0
	s_mov_b32 s74, exec_lo
	v_cmpx_ne_u32_e32 0, v6
	s_cbranch_execz .LBB6_4069
; %bb.4064:                             ;   in Loop: Header=BB6_3222 Depth=4
	v_bfe_u32 v8, v6, 23, 8
	v_and_b32_e32 v7, 0x7fffff, v6
	v_cmp_gt_u32_e64 s16, 0x71, v8
	v_sub_nc_u32_e32 v9, 0x70, v8
	v_cmp_eq_u32_e32 vcc_lo, 0, v8
	v_or_b32_e32 v10, 0x800000, v7
	v_cndmask_b32_e64 v9, 0, v9, s16
	v_cndmask_b32_e32 v7, v10, v7, vcc_lo
	v_cndmask_b32_e64 v9, v9, 0x6f, vcc_lo
	v_lshl_add_u32 v10, 0x200000, v9, -1
	v_lshlrev_b32_e64 v14, v9, 0x100000
	v_and_b32_e32 v10, v10, v7
	v_cmp_eq_u32_e64 s16, v10, v14
	v_lshrrev_b32_e32 v10, v9, v7
	v_add_nc_u32_e32 v7, 0xffffff91, v8
	v_lshrrev_b32_e32 v8, 23, v10
	v_cndmask_b32_e64 v7, v7, 0xffffff92, vcc_lo
	v_xor_b32_e32 v8, 1, v8
	v_add_nc_u32_e32 v7, v9, v7
	v_bfe_u32 v9, v10, 21, 1
	v_add_nc_u32_e32 v9, -1, v9
	v_cndmask_b32_e64 v9, 0, v9, s16
	s_mov_b32 s16, exec_lo
	v_add_nc_u32_e32 v9, v9, v10
	v_and_b32_e32 v9, 0x1fffff, v9
	v_add_nc_u32_e32 v9, v9, v10
                                        ; implicit-def: $vgpr10
	v_cmpx_ne_u32_e64 v7, v8
	s_xor_b32 s16, exec_lo, s16
; %bb.4065:                             ;   in Loop: Header=BB6_3222 Depth=4
	v_cmp_lt_u32_e32 vcc_lo, 0xffffff, v9
	v_sub_nc_u32_e32 v7, v7, v8
	v_cndmask_b32_e64 v8, 0, 1, vcc_lo
	v_add_co_ci_u32_e64 v10, null, 0, v7, vcc_lo
	v_lshrrev_b32_e32 v9, v8, v9
; %bb.4066:                             ;   in Loop: Header=BB6_3222 Depth=4
	s_andn2_saveexec_b32 s16, s16
; %bb.4067:                             ;   in Loop: Header=BB6_3222 Depth=4
	v_bfe_u32 v10, v9, 23, 1
; %bb.4068:                             ;   in Loop: Header=BB6_3222 Depth=4
	s_or_b32 exec_lo, exec_lo, s16
	v_lshrrev_b32_e32 v7, 21, v9
	v_min_i32_e32 v8, 31, v10
	v_cmp_gt_i32_e32 vcc_lo, 32, v10
	v_and_b32_sdwa v6, v6, v117 dst_sel:DWORD dst_unused:UNUSED_PAD src0_sel:BYTE_3 src1_sel:DWORD
	v_lshlrev_b32_e32 v8, 2, v8
	v_cndmask_b32_e32 v7, 3, v7, vcc_lo
	v_and_b32_e32 v8, 0xfc, v8
	v_or_b32_e32 v9, v10, v7
	v_and_b32_e32 v7, 3, v7
	v_cmp_ne_u32_e32 vcc_lo, 0, v9
	v_or3_b32 v6, v6, v8, v7
	v_lshlrev_b32_e32 v6, 8, v6
	v_cndmask_b32_e32 v77, 0, v6, vcc_lo
.LBB6_4069:                             ;   in Loop: Header=BB6_3222 Depth=4
	s_or_b32 exec_lo, exec_lo, s74
.LBB6_4070:                             ;   in Loop: Header=BB6_3222 Depth=4
	s_or_b32 exec_lo, exec_lo, s73
	v_cmp_gt_i16_sdwa s16, v11, v116 src0_sel:BYTE_0 src1_sel:DWORD
	s_mov_b32 s73, 0
	s_and_saveexec_b32 s74, s16
	s_xor_b32 s16, exec_lo, s74
	s_cbranch_execz .LBB6_5524
; %bb.4071:                             ;   in Loop: Header=BB6_3222 Depth=4
	v_cmp_eq_u16_sdwa s75, v11, v117 src0_sel:BYTE_0 src1_sel:DWORD
	s_mov_b32 s73, -1
	s_and_saveexec_b32 s74, s75
; %bb.4072:                             ;   in Loop: Header=BB6_3222 Depth=4
	s_xor_b32 s73, exec_lo, -1
; %bb.4073:                             ;   in Loop: Header=BB6_3222 Depth=4
	s_or_b32 exec_lo, exec_lo, s74
	s_and_b32 s73, s73, exec_lo
	s_or_saveexec_b32 s16, s16
	v_mov_b32_e32 v6, 0x7f800001
	s_xor_b32 exec_lo, exec_lo, s16
	s_cbranch_execnz .LBB6_5525
.LBB6_4074:                             ;   in Loop: Header=BB6_3222 Depth=4
	s_or_b32 exec_lo, exec_lo, s16
	s_and_saveexec_b32 s16, s73
	s_cbranch_execz .LBB6_4076
.LBB6_4075:                             ;   in Loop: Header=BB6_3222 Depth=4
	v_and_b32_e32 v6, 3, v11
	v_bfe_u32 v7, v11, 2, 5
	v_ffbh_u32_e32 v8, v6
	v_cmp_eq_u32_e32 vcc_lo, 0, v7
	v_min_u32_e32 v8, 32, v8
	v_subrev_nc_u32_e32 v9, 29, v8
	v_sub_nc_u32_e32 v8, 30, v8
	v_lshlrev_b32_e32 v9, v9, v11
	v_cndmask_b32_e32 v7, v7, v8, vcc_lo
	v_lshlrev_b32_e32 v8, 24, v11
	v_and_b32_e32 v9, 3, v9
	v_lshl_add_u32 v7, v7, 23, 0x37800000
	v_and_b32_e32 v8, 0x80000000, v8
	v_cndmask_b32_e32 v6, v6, v9, vcc_lo
	v_lshlrev_b32_e32 v6, 21, v6
	v_or3_b32 v6, v8, v7, v6
.LBB6_4076:                             ;   in Loop: Header=BB6_3222 Depth=4
	s_or_b32 exec_lo, exec_lo, s16
	v_mul_f32_e32 v6, s72, v6
	v_mov_b32_e32 v25, 0x80
	s_mov_b32 s73, exec_lo
	v_and_b32_e32 v7, 0x7f800000, v6
	v_cmpx_ne_u32_e32 0x7f800000, v7
	s_cbranch_execz .LBB6_4084
; %bb.4077:                             ;   in Loop: Header=BB6_3222 Depth=4
	v_mov_b32_e32 v25, 0
	s_mov_b32 s74, exec_lo
	v_cmpx_ne_u32_e32 0, v6
	s_cbranch_execz .LBB6_4083
; %bb.4078:                             ;   in Loop: Header=BB6_3222 Depth=4
	v_bfe_u32 v8, v6, 23, 8
	v_and_b32_e32 v7, 0x7fffff, v6
	v_cmp_gt_u32_e64 s16, 0x71, v8
	v_sub_nc_u32_e32 v9, 0x70, v8
	v_cmp_eq_u32_e32 vcc_lo, 0, v8
	v_or_b32_e32 v10, 0x800000, v7
	v_cndmask_b32_e64 v9, 0, v9, s16
	v_cndmask_b32_e32 v7, v10, v7, vcc_lo
	v_cndmask_b32_e64 v9, v9, 0x6f, vcc_lo
	v_lshl_add_u32 v10, 0x200000, v9, -1
	v_lshlrev_b32_e64 v14, v9, 0x100000
	v_and_b32_e32 v10, v10, v7
	v_cmp_eq_u32_e64 s16, v10, v14
	v_lshrrev_b32_e32 v10, v9, v7
	v_add_nc_u32_e32 v7, 0xffffff91, v8
	v_lshrrev_b32_e32 v8, 23, v10
	v_cndmask_b32_e64 v7, v7, 0xffffff92, vcc_lo
	v_xor_b32_e32 v8, 1, v8
	v_add_nc_u32_e32 v7, v9, v7
	v_bfe_u32 v9, v10, 21, 1
	v_add_nc_u32_e32 v9, -1, v9
	v_cndmask_b32_e64 v9, 0, v9, s16
	s_mov_b32 s16, exec_lo
	v_add_nc_u32_e32 v9, v9, v10
	v_and_b32_e32 v9, 0x1fffff, v9
	v_add_nc_u32_e32 v9, v9, v10
                                        ; implicit-def: $vgpr10
	v_cmpx_ne_u32_e64 v7, v8
	s_xor_b32 s16, exec_lo, s16
; %bb.4079:                             ;   in Loop: Header=BB6_3222 Depth=4
	v_cmp_lt_u32_e32 vcc_lo, 0xffffff, v9
	v_sub_nc_u32_e32 v7, v7, v8
	v_cndmask_b32_e64 v8, 0, 1, vcc_lo
	v_add_co_ci_u32_e64 v10, null, 0, v7, vcc_lo
	v_lshrrev_b32_e32 v9, v8, v9
; %bb.4080:                             ;   in Loop: Header=BB6_3222 Depth=4
	s_andn2_saveexec_b32 s16, s16
; %bb.4081:                             ;   in Loop: Header=BB6_3222 Depth=4
	v_bfe_u32 v10, v9, 23, 1
; %bb.4082:                             ;   in Loop: Header=BB6_3222 Depth=4
	s_or_b32 exec_lo, exec_lo, s16
	v_lshrrev_b32_e32 v7, 21, v9
	v_min_i32_e32 v8, 31, v10
	v_cmp_gt_i32_e32 vcc_lo, 32, v10
	v_and_b32_sdwa v6, v6, v117 dst_sel:DWORD dst_unused:UNUSED_PAD src0_sel:BYTE_3 src1_sel:DWORD
	v_lshlrev_b32_e32 v8, 2, v8
	v_cndmask_b32_e32 v7, 3, v7, vcc_lo
	v_and_b32_e32 v8, 0xfc, v8
	v_or_b32_e32 v9, v10, v7
	v_and_b32_e32 v7, 3, v7
	v_cmp_ne_u32_e32 vcc_lo, 0, v9
	v_or3_b32 v6, v8, v6, v7
	v_cndmask_b32_e32 v25, 0, v6, vcc_lo
.LBB6_4083:                             ;   in Loop: Header=BB6_3222 Depth=4
	s_or_b32 exec_lo, exec_lo, s74
.LBB6_4084:                             ;   in Loop: Header=BB6_3222 Depth=4
	s_or_b32 exec_lo, exec_lo, s73
	v_cmp_gt_i16_sdwa s73, v11, v116 src0_sel:BYTE_1 src1_sel:DWORD
	s_mov_b32 s16, 0
	s_and_saveexec_b32 s74, s73
	s_xor_b32 s73, exec_lo, s74
	s_cbranch_execz .LBB6_5526
; %bb.4085:                             ;   in Loop: Header=BB6_3222 Depth=4
	v_cmp_eq_u16_sdwa s75, v11, v117 src0_sel:BYTE_1 src1_sel:DWORD
	s_mov_b32 s16, -1
	s_and_saveexec_b32 s74, s75
; %bb.4086:                             ;   in Loop: Header=BB6_3222 Depth=4
	s_xor_b32 s16, exec_lo, -1
; %bb.4087:                             ;   in Loop: Header=BB6_3222 Depth=4
	s_or_b32 exec_lo, exec_lo, s74
	s_and_b32 s16, s16, exec_lo
	s_or_saveexec_b32 s73, s73
	v_mov_b32_e32 v6, 0x7f800001
	s_xor_b32 exec_lo, exec_lo, s73
	s_cbranch_execnz .LBB6_5527
.LBB6_4088:                             ;   in Loop: Header=BB6_3222 Depth=4
	s_or_b32 exec_lo, exec_lo, s73
	s_and_saveexec_b32 s73, s16
	s_cbranch_execz .LBB6_4090
.LBB6_4089:                             ;   in Loop: Header=BB6_3222 Depth=4
	v_and_b32_sdwa v6, v118, v11 dst_sel:DWORD dst_unused:UNUSED_PAD src0_sel:DWORD src1_sel:BYTE_1
	v_and_b32_e32 v7, 3, v6
	v_bfe_u32 v10, v6, 2, 5
	v_ffbh_u32_e32 v8, v7
	v_cmp_eq_u32_e32 vcc_lo, 0, v10
	v_min_u32_e32 v8, 32, v8
	v_subrev_nc_u32_e32 v9, 29, v8
	v_sub_nc_u32_e32 v8, 30, v8
	v_lshlrev_b32_e32 v6, v9, v6
	v_lshlrev_b32_sdwa v9, v119, v11 dst_sel:DWORD dst_unused:UNUSED_PAD src0_sel:DWORD src1_sel:BYTE_1
	v_cndmask_b32_e32 v8, v10, v8, vcc_lo
	v_and_b32_e32 v6, 3, v6
	v_lshl_add_u32 v8, v8, 23, 0x37800000
	v_cndmask_b32_e32 v6, v7, v6, vcc_lo
	v_and_b32_e32 v7, 0x80000000, v9
	v_lshlrev_b32_e32 v6, 21, v6
	v_or3_b32 v6, v7, v8, v6
.LBB6_4090:                             ;   in Loop: Header=BB6_3222 Depth=4
	s_or_b32 exec_lo, exec_lo, s73
	v_mul_f32_e32 v6, s72, v6
	v_mov_b32_e32 v30, 0x8000
	s_mov_b32 s73, exec_lo
	v_and_b32_e32 v7, 0x7f800000, v6
	v_cmpx_ne_u32_e32 0x7f800000, v7
	s_cbranch_execz .LBB6_4098
; %bb.4091:                             ;   in Loop: Header=BB6_3222 Depth=4
	v_mov_b32_e32 v30, 0
	s_mov_b32 s74, exec_lo
	v_cmpx_ne_u32_e32 0, v6
	s_cbranch_execz .LBB6_4097
; %bb.4092:                             ;   in Loop: Header=BB6_3222 Depth=4
	v_bfe_u32 v8, v6, 23, 8
	v_and_b32_e32 v7, 0x7fffff, v6
	v_cmp_gt_u32_e64 s16, 0x71, v8
	v_sub_nc_u32_e32 v9, 0x70, v8
	v_cmp_eq_u32_e32 vcc_lo, 0, v8
	v_or_b32_e32 v10, 0x800000, v7
	v_cndmask_b32_e64 v9, 0, v9, s16
	v_cndmask_b32_e32 v7, v10, v7, vcc_lo
	v_cndmask_b32_e64 v9, v9, 0x6f, vcc_lo
	v_lshl_add_u32 v10, 0x200000, v9, -1
	v_lshlrev_b32_e64 v14, v9, 0x100000
	v_and_b32_e32 v10, v10, v7
	v_cmp_eq_u32_e64 s16, v10, v14
	v_lshrrev_b32_e32 v10, v9, v7
	v_add_nc_u32_e32 v7, 0xffffff91, v8
	v_lshrrev_b32_e32 v8, 23, v10
	v_cndmask_b32_e64 v7, v7, 0xffffff92, vcc_lo
	v_xor_b32_e32 v8, 1, v8
	v_add_nc_u32_e32 v7, v9, v7
	v_bfe_u32 v9, v10, 21, 1
	v_add_nc_u32_e32 v9, -1, v9
	v_cndmask_b32_e64 v9, 0, v9, s16
	s_mov_b32 s16, exec_lo
	v_add_nc_u32_e32 v9, v9, v10
	v_and_b32_e32 v9, 0x1fffff, v9
	v_add_nc_u32_e32 v9, v9, v10
                                        ; implicit-def: $vgpr10
	v_cmpx_ne_u32_e64 v7, v8
	s_xor_b32 s16, exec_lo, s16
; %bb.4093:                             ;   in Loop: Header=BB6_3222 Depth=4
	v_cmp_lt_u32_e32 vcc_lo, 0xffffff, v9
	v_sub_nc_u32_e32 v7, v7, v8
	v_cndmask_b32_e64 v8, 0, 1, vcc_lo
	v_add_co_ci_u32_e64 v10, null, 0, v7, vcc_lo
	v_lshrrev_b32_e32 v9, v8, v9
; %bb.4094:                             ;   in Loop: Header=BB6_3222 Depth=4
	s_andn2_saveexec_b32 s16, s16
; %bb.4095:                             ;   in Loop: Header=BB6_3222 Depth=4
	v_bfe_u32 v10, v9, 23, 1
; %bb.4096:                             ;   in Loop: Header=BB6_3222 Depth=4
	s_or_b32 exec_lo, exec_lo, s16
	v_lshrrev_b32_e32 v7, 21, v9
	v_min_i32_e32 v8, 31, v10
	v_cmp_gt_i32_e32 vcc_lo, 32, v10
	v_and_b32_sdwa v6, v6, v117 dst_sel:DWORD dst_unused:UNUSED_PAD src0_sel:BYTE_3 src1_sel:DWORD
	v_lshlrev_b32_e32 v8, 2, v8
	v_cndmask_b32_e32 v7, 3, v7, vcc_lo
	v_and_b32_e32 v8, 0xfc, v8
	v_or_b32_e32 v9, v10, v7
	v_and_b32_e32 v7, 3, v7
	v_cmp_ne_u32_e32 vcc_lo, 0, v9
	v_or3_b32 v6, v6, v8, v7
	v_lshlrev_b32_e32 v6, 8, v6
	v_cndmask_b32_e32 v30, 0, v6, vcc_lo
.LBB6_4097:                             ;   in Loop: Header=BB6_3222 Depth=4
	s_or_b32 exec_lo, exec_lo, s74
.LBB6_4098:                             ;   in Loop: Header=BB6_3222 Depth=4
	s_or_b32 exec_lo, exec_lo, s73
	v_and_b32_sdwa v7, v11, v40 dst_sel:DWORD dst_unused:UNUSED_PAD src0_sel:WORD_1 src1_sel:DWORD
	s_mov_b32 s73, 0
	s_mov_b32 s16, exec_lo
	v_cmpx_lt_i16_e32 0x7f, v7
	s_xor_b32 s16, exec_lo, s16
	s_cbranch_execz .LBB6_5528
; %bb.4099:                             ;   in Loop: Header=BB6_3222 Depth=4
	s_mov_b32 s73, -1
	s_mov_b32 s74, exec_lo
	v_cmpx_eq_u16_e32 0x80, v7
; %bb.4100:                             ;   in Loop: Header=BB6_3222 Depth=4
	s_xor_b32 s73, exec_lo, -1
; %bb.4101:                             ;   in Loop: Header=BB6_3222 Depth=4
	s_or_b32 exec_lo, exec_lo, s74
	s_and_b32 s73, s73, exec_lo
                                        ; implicit-def: $vgpr7
	s_or_saveexec_b32 s16, s16
	v_mov_b32_e32 v6, 0x7f800001
	s_xor_b32 exec_lo, exec_lo, s16
	s_cbranch_execnz .LBB6_5529
.LBB6_4102:                             ;   in Loop: Header=BB6_3222 Depth=4
	s_or_b32 exec_lo, exec_lo, s16
	s_and_saveexec_b32 s16, s73
	s_cbranch_execz .LBB6_4104
.LBB6_4103:                             ;   in Loop: Header=BB6_3222 Depth=4
	v_bfe_u32 v6, v11, 16, 2
	v_bfe_u32 v7, v11, 18, 5
	v_ffbh_u32_e32 v8, v6
	v_cmp_eq_u32_e32 vcc_lo, 0, v7
	v_min_u32_e32 v8, 32, v8
	v_subrev_nc_u32_e32 v9, 29, v8
	v_sub_nc_u32_e32 v8, 30, v8
	v_lshlrev_b32_sdwa v9, v9, v11 dst_sel:DWORD dst_unused:UNUSED_PAD src0_sel:DWORD src1_sel:WORD_1
	v_cndmask_b32_e32 v7, v7, v8, vcc_lo
	v_lshlrev_b32_e32 v8, 8, v11
	v_and_b32_e32 v9, 3, v9
	v_lshl_add_u32 v7, v7, 23, 0x37800000
	v_and_b32_e32 v8, 0x80000000, v8
	v_cndmask_b32_e32 v6, v6, v9, vcc_lo
	v_lshlrev_b32_e32 v6, 21, v6
	v_or3_b32 v6, v8, v7, v6
.LBB6_4104:                             ;   in Loop: Header=BB6_3222 Depth=4
	s_or_b32 exec_lo, exec_lo, s16
	v_mul_f32_e32 v6, s72, v6
	v_mov_b32_e32 v24, 0x80
	s_mov_b32 s73, exec_lo
	v_and_b32_e32 v7, 0x7f800000, v6
	v_cmpx_ne_u32_e32 0x7f800000, v7
	s_cbranch_execz .LBB6_4112
; %bb.4105:                             ;   in Loop: Header=BB6_3222 Depth=4
	v_mov_b32_e32 v24, 0
	s_mov_b32 s74, exec_lo
	v_cmpx_ne_u32_e32 0, v6
	s_cbranch_execz .LBB6_4111
; %bb.4106:                             ;   in Loop: Header=BB6_3222 Depth=4
	v_bfe_u32 v8, v6, 23, 8
	v_and_b32_e32 v7, 0x7fffff, v6
	v_cmp_gt_u32_e64 s16, 0x71, v8
	v_sub_nc_u32_e32 v9, 0x70, v8
	v_cmp_eq_u32_e32 vcc_lo, 0, v8
	v_or_b32_e32 v10, 0x800000, v7
	v_cndmask_b32_e64 v9, 0, v9, s16
	v_cndmask_b32_e32 v7, v10, v7, vcc_lo
	v_cndmask_b32_e64 v9, v9, 0x6f, vcc_lo
	v_lshl_add_u32 v10, 0x200000, v9, -1
	v_lshlrev_b32_e64 v14, v9, 0x100000
	v_and_b32_e32 v10, v10, v7
	v_cmp_eq_u32_e64 s16, v10, v14
	v_lshrrev_b32_e32 v10, v9, v7
	v_add_nc_u32_e32 v7, 0xffffff91, v8
	v_lshrrev_b32_e32 v8, 23, v10
	v_cndmask_b32_e64 v7, v7, 0xffffff92, vcc_lo
	v_xor_b32_e32 v8, 1, v8
	v_add_nc_u32_e32 v7, v9, v7
	v_bfe_u32 v9, v10, 21, 1
	v_add_nc_u32_e32 v9, -1, v9
	v_cndmask_b32_e64 v9, 0, v9, s16
	s_mov_b32 s16, exec_lo
	v_add_nc_u32_e32 v9, v9, v10
	v_and_b32_e32 v9, 0x1fffff, v9
	v_add_nc_u32_e32 v9, v9, v10
                                        ; implicit-def: $vgpr10
	v_cmpx_ne_u32_e64 v7, v8
	s_xor_b32 s16, exec_lo, s16
; %bb.4107:                             ;   in Loop: Header=BB6_3222 Depth=4
	v_cmp_lt_u32_e32 vcc_lo, 0xffffff, v9
	v_sub_nc_u32_e32 v7, v7, v8
	v_cndmask_b32_e64 v8, 0, 1, vcc_lo
	v_add_co_ci_u32_e64 v10, null, 0, v7, vcc_lo
	v_lshrrev_b32_e32 v9, v8, v9
; %bb.4108:                             ;   in Loop: Header=BB6_3222 Depth=4
	s_andn2_saveexec_b32 s16, s16
; %bb.4109:                             ;   in Loop: Header=BB6_3222 Depth=4
	v_bfe_u32 v10, v9, 23, 1
; %bb.4110:                             ;   in Loop: Header=BB6_3222 Depth=4
	s_or_b32 exec_lo, exec_lo, s16
	v_lshrrev_b32_e32 v7, 21, v9
	v_min_i32_e32 v8, 31, v10
	v_cmp_gt_i32_e32 vcc_lo, 32, v10
	v_and_b32_sdwa v6, v6, v117 dst_sel:DWORD dst_unused:UNUSED_PAD src0_sel:BYTE_3 src1_sel:DWORD
	v_lshlrev_b32_e32 v8, 2, v8
	v_cndmask_b32_e32 v7, 3, v7, vcc_lo
	v_and_b32_e32 v8, 0xfc, v8
	v_or_b32_e32 v9, v10, v7
	v_and_b32_e32 v7, 3, v7
	v_cmp_ne_u32_e32 vcc_lo, 0, v9
	v_or3_b32 v6, v8, v6, v7
	v_cndmask_b32_e32 v24, 0, v6, vcc_lo
.LBB6_4111:                             ;   in Loop: Header=BB6_3222 Depth=4
	s_or_b32 exec_lo, exec_lo, s74
.LBB6_4112:                             ;   in Loop: Header=BB6_3222 Depth=4
	s_or_b32 exec_lo, exec_lo, s73
	v_cmp_gt_i16_sdwa s73, v11, v116 src0_sel:BYTE_3 src1_sel:DWORD
	s_mov_b32 s16, 0
	s_and_saveexec_b32 s74, s73
	s_xor_b32 s73, exec_lo, s74
	s_cbranch_execz .LBB6_5530
; %bb.4113:                             ;   in Loop: Header=BB6_3222 Depth=4
	v_cmp_eq_u16_sdwa s75, v11, v117 src0_sel:BYTE_3 src1_sel:DWORD
	s_mov_b32 s16, -1
	s_and_saveexec_b32 s74, s75
; %bb.4114:                             ;   in Loop: Header=BB6_3222 Depth=4
	s_xor_b32 s16, exec_lo, -1
; %bb.4115:                             ;   in Loop: Header=BB6_3222 Depth=4
	s_or_b32 exec_lo, exec_lo, s74
	s_and_b32 s16, s16, exec_lo
	s_or_saveexec_b32 s73, s73
	v_mov_b32_e32 v6, 0x7f800001
	s_xor_b32 exec_lo, exec_lo, s73
	s_cbranch_execnz .LBB6_5531
.LBB6_4116:                             ;   in Loop: Header=BB6_3222 Depth=4
	s_or_b32 exec_lo, exec_lo, s73
	s_and_saveexec_b32 s73, s16
	s_cbranch_execz .LBB6_4118
.LBB6_4117:                             ;   in Loop: Header=BB6_3222 Depth=4
	v_bfe_u32 v6, v11, 24, 2
	v_bfe_u32 v9, v11, 26, 5
	v_ffbh_u32_e32 v7, v6
	v_cmp_eq_u32_e32 vcc_lo, 0, v9
	v_min_u32_e32 v7, 32, v7
	v_subrev_nc_u32_e32 v8, 29, v7
	v_sub_nc_u32_e32 v7, 30, v7
	v_lshlrev_b32_sdwa v8, v8, v11 dst_sel:DWORD dst_unused:UNUSED_PAD src0_sel:DWORD src1_sel:BYTE_3
	v_cndmask_b32_e32 v7, v9, v7, vcc_lo
	v_and_b32_e32 v8, 3, v8
	v_lshl_add_u32 v7, v7, 23, 0x37800000
	v_cndmask_b32_e32 v6, v6, v8, vcc_lo
	v_and_b32_e32 v8, 0x80000000, v11
	v_lshlrev_b32_e32 v6, 21, v6
	v_or3_b32 v6, v8, v7, v6
.LBB6_4118:                             ;   in Loop: Header=BB6_3222 Depth=4
	s_or_b32 exec_lo, exec_lo, s73
	v_mul_f32_e32 v6, s72, v6
	v_mov_b32_e32 v28, 0x8000
	s_mov_b32 s72, exec_lo
	v_and_b32_e32 v7, 0x7f800000, v6
	v_cmpx_ne_u32_e32 0x7f800000, v7
	s_cbranch_execz .LBB6_4126
; %bb.4119:                             ;   in Loop: Header=BB6_3222 Depth=4
	v_mov_b32_e32 v28, 0
	s_mov_b32 s73, exec_lo
	v_cmpx_ne_u32_e32 0, v6
	s_cbranch_execz .LBB6_4125
; %bb.4120:                             ;   in Loop: Header=BB6_3222 Depth=4
	v_bfe_u32 v8, v6, 23, 8
	v_and_b32_e32 v7, 0x7fffff, v6
	v_cmp_gt_u32_e64 s16, 0x71, v8
	v_sub_nc_u32_e32 v9, 0x70, v8
	v_cmp_eq_u32_e32 vcc_lo, 0, v8
	v_or_b32_e32 v10, 0x800000, v7
	v_cndmask_b32_e64 v9, 0, v9, s16
	v_cndmask_b32_e32 v7, v10, v7, vcc_lo
	v_cndmask_b32_e64 v9, v9, 0x6f, vcc_lo
	v_lshl_add_u32 v10, 0x200000, v9, -1
	v_lshlrev_b32_e64 v11, v9, 0x100000
	v_and_b32_e32 v10, v10, v7
	v_cmp_eq_u32_e64 s16, v10, v11
	v_lshrrev_b32_e32 v10, v9, v7
	v_add_nc_u32_e32 v7, 0xffffff91, v8
	v_lshrrev_b32_e32 v8, 23, v10
	v_cndmask_b32_e64 v7, v7, 0xffffff92, vcc_lo
	v_xor_b32_e32 v8, 1, v8
	v_add_nc_u32_e32 v7, v9, v7
	v_bfe_u32 v9, v10, 21, 1
	v_add_nc_u32_e32 v9, -1, v9
	v_cndmask_b32_e64 v9, 0, v9, s16
	s_mov_b32 s16, exec_lo
	v_add_nc_u32_e32 v9, v9, v10
	v_and_b32_e32 v9, 0x1fffff, v9
	v_add_nc_u32_e32 v9, v9, v10
                                        ; implicit-def: $vgpr10
	v_cmpx_ne_u32_e64 v7, v8
	s_xor_b32 s16, exec_lo, s16
; %bb.4121:                             ;   in Loop: Header=BB6_3222 Depth=4
	v_cmp_lt_u32_e32 vcc_lo, 0xffffff, v9
	v_sub_nc_u32_e32 v7, v7, v8
	v_cndmask_b32_e64 v8, 0, 1, vcc_lo
	v_add_co_ci_u32_e64 v10, null, 0, v7, vcc_lo
	v_lshrrev_b32_e32 v9, v8, v9
; %bb.4122:                             ;   in Loop: Header=BB6_3222 Depth=4
	s_andn2_saveexec_b32 s16, s16
; %bb.4123:                             ;   in Loop: Header=BB6_3222 Depth=4
	v_bfe_u32 v10, v9, 23, 1
; %bb.4124:                             ;   in Loop: Header=BB6_3222 Depth=4
	s_or_b32 exec_lo, exec_lo, s16
	v_lshrrev_b32_e32 v7, 21, v9
	v_min_i32_e32 v8, 31, v10
	v_cmp_gt_i32_e32 vcc_lo, 32, v10
	v_and_b32_sdwa v6, v6, v117 dst_sel:DWORD dst_unused:UNUSED_PAD src0_sel:BYTE_3 src1_sel:DWORD
	v_lshlrev_b32_e32 v8, 2, v8
	v_cndmask_b32_e32 v7, 3, v7, vcc_lo
	v_and_b32_e32 v8, 0xfc, v8
	v_or_b32_e32 v9, v10, v7
	v_and_b32_e32 v7, 3, v7
	v_cmp_ne_u32_e32 vcc_lo, 0, v9
	v_or3_b32 v6, v6, v8, v7
	v_lshlrev_b32_e32 v6, 8, v6
	v_cndmask_b32_e32 v28, 0, v6, vcc_lo
.LBB6_4125:                             ;   in Loop: Header=BB6_3222 Depth=4
	s_or_b32 exec_lo, exec_lo, s73
.LBB6_4126:                             ;   in Loop: Header=BB6_3222 Depth=4
	s_or_b32 exec_lo, exec_lo, s72
	v_or_b32_e32 v6, v13, v12
	s_clause 0x3
	global_load_dwordx4 v[20:23], v[96:97], off slc
	global_load_dwordx4 v[16:19], v[96:97], off offset:512 slc
	global_load_dwordx4 v[12:15], v[96:97], off offset:1024 slc
	;; [unrolled: 1-line block ×3, first 2 shown]
	s_mov_b32 s72, 0
	v_cmp_gt_i16_sdwa s16, v6, v116 src0_sel:BYTE_0 src1_sel:DWORD
	s_and_saveexec_b32 s73, s16
	s_xor_b32 s16, exec_lo, s73
	s_cbranch_execz .LBB6_5532
; %bb.4127:                             ;   in Loop: Header=BB6_3222 Depth=4
	v_cmp_eq_u16_sdwa s74, v6, v117 src0_sel:BYTE_0 src1_sel:DWORD
	s_mov_b32 s72, -1
	s_and_saveexec_b32 s73, s74
; %bb.4128:                             ;   in Loop: Header=BB6_3222 Depth=4
	s_xor_b32 s72, exec_lo, -1
; %bb.4129:                             ;   in Loop: Header=BB6_3222 Depth=4
	s_or_b32 exec_lo, exec_lo, s73
	s_and_b32 s72, s72, exec_lo
	s_or_saveexec_b32 s16, s16
	v_mov_b32_e32 v7, 0x7f800001
	s_xor_b32 exec_lo, exec_lo, s16
	s_cbranch_execnz .LBB6_5533
.LBB6_4130:                             ;   in Loop: Header=BB6_3222 Depth=4
	s_or_b32 exec_lo, exec_lo, s16
	s_and_saveexec_b32 s16, s72
	s_cbranch_execz .LBB6_4132
.LBB6_4131:                             ;   in Loop: Header=BB6_3222 Depth=4
	v_and_b32_e32 v7, 3, v6
	v_bfe_u32 v26, v6, 2, 5
	v_ffbh_u32_e32 v27, v7
	v_cmp_eq_u32_e32 vcc_lo, 0, v26
	v_min_u32_e32 v27, 32, v27
	v_subrev_nc_u32_e32 v36, 29, v27
	v_sub_nc_u32_e32 v27, 30, v27
	v_lshlrev_b32_e32 v36, v36, v6
	v_cndmask_b32_e32 v26, v26, v27, vcc_lo
	v_lshlrev_b32_e32 v27, 24, v6
	v_and_b32_e32 v36, 3, v36
	v_lshl_add_u32 v26, v26, 23, 0x37800000
	v_and_b32_e32 v27, 0x80000000, v27
	v_cndmask_b32_e32 v7, v7, v36, vcc_lo
	v_lshlrev_b32_e32 v7, 21, v7
	v_or3_b32 v7, v27, v26, v7
.LBB6_4132:                             ;   in Loop: Header=BB6_3222 Depth=4
	s_or_b32 exec_lo, exec_lo, s16
	s_waitcnt vmcnt(3)
	v_cmp_gt_i16_sdwa s16, v20, v116 src0_sel:BYTE_0 src1_sel:DWORD
	s_mov_b32 s72, 0
	s_and_saveexec_b32 s73, s16
	s_xor_b32 s16, exec_lo, s73
	s_cbranch_execz .LBB6_5534
; %bb.4133:                             ;   in Loop: Header=BB6_3222 Depth=4
	v_cmp_eq_u16_sdwa s74, v20, v117 src0_sel:BYTE_0 src1_sel:DWORD
	s_mov_b32 s72, -1
	s_and_saveexec_b32 s73, s74
; %bb.4134:                             ;   in Loop: Header=BB6_3222 Depth=4
	s_xor_b32 s72, exec_lo, -1
; %bb.4135:                             ;   in Loop: Header=BB6_3222 Depth=4
	s_or_b32 exec_lo, exec_lo, s73
	s_and_b32 s72, s72, exec_lo
	s_or_saveexec_b32 s16, s16
	v_mov_b32_e32 v26, 0x7f800001
	s_xor_b32 exec_lo, exec_lo, s16
	s_cbranch_execnz .LBB6_5535
.LBB6_4136:                             ;   in Loop: Header=BB6_3222 Depth=4
	s_or_b32 exec_lo, exec_lo, s16
	s_and_saveexec_b32 s16, s72
	s_cbranch_execz .LBB6_4138
.LBB6_4137:                             ;   in Loop: Header=BB6_3222 Depth=4
	v_and_b32_e32 v26, 3, v20
	v_bfe_u32 v27, v20, 2, 5
	v_ffbh_u32_e32 v36, v26
	v_cmp_eq_u32_e32 vcc_lo, 0, v27
	v_min_u32_e32 v36, 32, v36
	v_subrev_nc_u32_e32 v37, 29, v36
	v_sub_nc_u32_e32 v36, 30, v36
	v_lshlrev_b32_e32 v37, v37, v20
	v_cndmask_b32_e32 v27, v27, v36, vcc_lo
	v_lshlrev_b32_e32 v36, 24, v20
	v_and_b32_e32 v37, 3, v37
	v_lshl_add_u32 v27, v27, 23, 0x37800000
	v_and_b32_e32 v36, 0x80000000, v36
	v_cndmask_b32_e32 v26, v26, v37, vcc_lo
	v_lshlrev_b32_e32 v26, 21, v26
	v_or3_b32 v26, v36, v27, v26
.LBB6_4138:                             ;   in Loop: Header=BB6_3222 Depth=4
	s_or_b32 exec_lo, exec_lo, s16
	v_add_f32_e32 v7, v7, v26
	v_and_b32_e32 v26, 0x7f800000, v7
	v_cmp_ne_u32_e32 vcc_lo, 0x7f800000, v26
	v_mov_b32_e32 v26, 0x80
	s_and_saveexec_b32 s72, vcc_lo
	s_cbranch_execz .LBB6_4146
; %bb.4139:                             ;   in Loop: Header=BB6_3222 Depth=4
	v_mov_b32_e32 v26, 0
	s_mov_b32 s73, exec_lo
	v_cmpx_ne_u32_e32 0, v7
	s_cbranch_execz .LBB6_4145
; %bb.4140:                             ;   in Loop: Header=BB6_3222 Depth=4
	v_bfe_u32 v27, v7, 23, 8
	v_and_b32_e32 v26, 0x7fffff, v7
	v_cmp_gt_u32_e64 s16, 0x71, v27
	v_sub_nc_u32_e32 v36, 0x70, v27
	v_cmp_eq_u32_e32 vcc_lo, 0, v27
	v_or_b32_e32 v37, 0x800000, v26
	v_cndmask_b32_e64 v36, 0, v36, s16
	v_cndmask_b32_e32 v26, v37, v26, vcc_lo
	v_cndmask_b32_e64 v36, v36, 0x6f, vcc_lo
	v_lshl_add_u32 v37, 0x200000, v36, -1
	v_lshlrev_b32_e64 v101, v36, 0x100000
	v_and_b32_e32 v37, v37, v26
	v_cmp_eq_u32_e64 s16, v37, v101
	v_lshrrev_b32_e32 v37, v36, v26
	v_add_nc_u32_e32 v26, 0xffffff91, v27
	v_lshrrev_b32_e32 v27, 23, v37
	v_cndmask_b32_e64 v26, v26, 0xffffff92, vcc_lo
	v_xor_b32_e32 v27, 1, v27
	v_add_nc_u32_e32 v26, v36, v26
	v_bfe_u32 v36, v37, 21, 1
	v_add_nc_u32_e32 v36, -1, v36
	v_cndmask_b32_e64 v36, 0, v36, s16
	s_mov_b32 s16, exec_lo
	v_add_nc_u32_e32 v36, v36, v37
	v_and_b32_e32 v36, 0x1fffff, v36
	v_add_nc_u32_e32 v36, v36, v37
                                        ; implicit-def: $vgpr37
	v_cmpx_ne_u32_e64 v26, v27
	s_xor_b32 s16, exec_lo, s16
; %bb.4141:                             ;   in Loop: Header=BB6_3222 Depth=4
	v_cmp_lt_u32_e32 vcc_lo, 0xffffff, v36
	v_sub_nc_u32_e32 v26, v26, v27
	v_cndmask_b32_e64 v27, 0, 1, vcc_lo
	v_add_co_ci_u32_e64 v37, null, 0, v26, vcc_lo
	v_lshrrev_b32_e32 v36, v27, v36
; %bb.4142:                             ;   in Loop: Header=BB6_3222 Depth=4
	s_andn2_saveexec_b32 s16, s16
; %bb.4143:                             ;   in Loop: Header=BB6_3222 Depth=4
	v_bfe_u32 v37, v36, 23, 1
; %bb.4144:                             ;   in Loop: Header=BB6_3222 Depth=4
	s_or_b32 exec_lo, exec_lo, s16
	v_lshrrev_b32_e32 v26, 21, v36
	v_min_i32_e32 v27, 31, v37
	v_cmp_gt_i32_e32 vcc_lo, 32, v37
	v_and_b32_sdwa v7, v7, v117 dst_sel:DWORD dst_unused:UNUSED_PAD src0_sel:BYTE_3 src1_sel:DWORD
	v_lshlrev_b32_e32 v27, 2, v27
	v_cndmask_b32_e32 v26, 3, v26, vcc_lo
	v_and_b32_e32 v27, 0xfc, v27
	v_or_b32_e32 v36, v37, v26
	v_and_b32_e32 v26, 3, v26
	v_cmp_ne_u32_e32 vcc_lo, 0, v36
	v_or3_b32 v7, v27, v7, v26
	v_cndmask_b32_e32 v26, 0, v7, vcc_lo
.LBB6_4145:                             ;   in Loop: Header=BB6_3222 Depth=4
	s_or_b32 exec_lo, exec_lo, s73
.LBB6_4146:                             ;   in Loop: Header=BB6_3222 Depth=4
	s_or_b32 exec_lo, exec_lo, s72
	v_cmp_gt_i16_sdwa s16, v6, v116 src0_sel:BYTE_1 src1_sel:DWORD
	s_mov_b32 s72, 0
	s_and_saveexec_b32 s73, s16
	s_xor_b32 s16, exec_lo, s73
	s_cbranch_execz .LBB6_5536
; %bb.4147:                             ;   in Loop: Header=BB6_3222 Depth=4
	v_cmp_eq_u16_sdwa s74, v6, v117 src0_sel:BYTE_1 src1_sel:DWORD
	s_mov_b32 s72, -1
	s_and_saveexec_b32 s73, s74
; %bb.4148:                             ;   in Loop: Header=BB6_3222 Depth=4
	s_xor_b32 s72, exec_lo, -1
; %bb.4149:                             ;   in Loop: Header=BB6_3222 Depth=4
	s_or_b32 exec_lo, exec_lo, s73
	s_and_b32 s72, s72, exec_lo
	s_or_saveexec_b32 s16, s16
	v_mov_b32_e32 v7, 0x7f800001
	s_xor_b32 exec_lo, exec_lo, s16
	s_cbranch_execnz .LBB6_5537
.LBB6_4150:                             ;   in Loop: Header=BB6_3222 Depth=4
	s_or_b32 exec_lo, exec_lo, s16
	s_and_saveexec_b32 s16, s72
	s_cbranch_execz .LBB6_4152
.LBB6_4151:                             ;   in Loop: Header=BB6_3222 Depth=4
	v_and_b32_sdwa v7, v118, v6 dst_sel:DWORD dst_unused:UNUSED_PAD src0_sel:DWORD src1_sel:BYTE_1
	v_and_b32_e32 v27, 3, v7
	v_bfe_u32 v101, v7, 2, 5
	v_ffbh_u32_e32 v36, v27
	v_cmp_eq_u32_e32 vcc_lo, 0, v101
	v_min_u32_e32 v36, 32, v36
	v_subrev_nc_u32_e32 v37, 29, v36
	v_sub_nc_u32_e32 v36, 30, v36
	v_lshlrev_b32_e32 v7, v37, v7
	v_lshlrev_b32_sdwa v37, v119, v6 dst_sel:DWORD dst_unused:UNUSED_PAD src0_sel:DWORD src1_sel:BYTE_1
	v_cndmask_b32_e32 v36, v101, v36, vcc_lo
	v_and_b32_e32 v7, 3, v7
	v_lshl_add_u32 v36, v36, 23, 0x37800000
	v_cndmask_b32_e32 v7, v27, v7, vcc_lo
	v_and_b32_e32 v27, 0x80000000, v37
	v_lshlrev_b32_e32 v7, 21, v7
	v_or3_b32 v7, v27, v36, v7
.LBB6_4152:                             ;   in Loop: Header=BB6_3222 Depth=4
	s_or_b32 exec_lo, exec_lo, s16
	v_cmp_gt_i16_sdwa s16, v20, v116 src0_sel:BYTE_1 src1_sel:DWORD
	s_mov_b32 s72, 0
	s_and_saveexec_b32 s73, s16
	s_xor_b32 s16, exec_lo, s73
	s_cbranch_execz .LBB6_5538
; %bb.4153:                             ;   in Loop: Header=BB6_3222 Depth=4
	v_cmp_eq_u16_sdwa s74, v20, v117 src0_sel:BYTE_1 src1_sel:DWORD
	s_mov_b32 s72, -1
	s_and_saveexec_b32 s73, s74
; %bb.4154:                             ;   in Loop: Header=BB6_3222 Depth=4
	s_xor_b32 s72, exec_lo, -1
; %bb.4155:                             ;   in Loop: Header=BB6_3222 Depth=4
	s_or_b32 exec_lo, exec_lo, s73
	s_and_b32 s72, s72, exec_lo
	s_or_saveexec_b32 s16, s16
	v_mov_b32_e32 v27, 0x7f800001
	s_xor_b32 exec_lo, exec_lo, s16
	s_cbranch_execnz .LBB6_5539
.LBB6_4156:                             ;   in Loop: Header=BB6_3222 Depth=4
	s_or_b32 exec_lo, exec_lo, s16
	s_and_saveexec_b32 s16, s72
	s_cbranch_execz .LBB6_4158
.LBB6_4157:                             ;   in Loop: Header=BB6_3222 Depth=4
	v_and_b32_sdwa v27, v118, v20 dst_sel:DWORD dst_unused:UNUSED_PAD src0_sel:DWORD src1_sel:BYTE_1
	v_and_b32_e32 v36, 3, v27
	v_bfe_u32 v42, v27, 2, 5
	v_ffbh_u32_e32 v37, v36
	v_cmp_eq_u32_e32 vcc_lo, 0, v42
	v_min_u32_e32 v37, 32, v37
	v_subrev_nc_u32_e32 v101, 29, v37
	v_sub_nc_u32_e32 v37, 30, v37
	v_lshlrev_b32_e32 v27, v101, v27
	v_lshlrev_b32_sdwa v101, v119, v20 dst_sel:DWORD dst_unused:UNUSED_PAD src0_sel:DWORD src1_sel:BYTE_1
	v_cndmask_b32_e32 v37, v42, v37, vcc_lo
	v_and_b32_e32 v27, 3, v27
	v_lshl_add_u32 v37, v37, 23, 0x37800000
	v_cndmask_b32_e32 v27, v36, v27, vcc_lo
	v_and_b32_e32 v36, 0x80000000, v101
	v_lshlrev_b32_e32 v27, 21, v27
	v_or3_b32 v27, v36, v37, v27
.LBB6_4158:                             ;   in Loop: Header=BB6_3222 Depth=4
	s_or_b32 exec_lo, exec_lo, s16
	v_add_f32_e32 v7, v7, v27
	v_and_b32_e32 v27, 0x7f800000, v7
	v_cmp_ne_u32_e32 vcc_lo, 0x7f800000, v27
	v_mov_b32_e32 v27, 0x8000
	s_and_saveexec_b32 s72, vcc_lo
	s_cbranch_execz .LBB6_4166
; %bb.4159:                             ;   in Loop: Header=BB6_3222 Depth=4
	v_mov_b32_e32 v27, 0
	s_mov_b32 s73, exec_lo
	v_cmpx_ne_u32_e32 0, v7
	s_cbranch_execz .LBB6_4165
; %bb.4160:                             ;   in Loop: Header=BB6_3222 Depth=4
	v_bfe_u32 v36, v7, 23, 8
	v_and_b32_e32 v27, 0x7fffff, v7
	v_cmp_gt_u32_e64 s16, 0x71, v36
	v_sub_nc_u32_e32 v37, 0x70, v36
	v_cmp_eq_u32_e32 vcc_lo, 0, v36
	v_or_b32_e32 v101, 0x800000, v27
	v_cndmask_b32_e64 v37, 0, v37, s16
	v_cndmask_b32_e32 v27, v101, v27, vcc_lo
	v_cndmask_b32_e64 v37, v37, 0x6f, vcc_lo
	v_lshl_add_u32 v101, 0x200000, v37, -1
	v_lshlrev_b32_e64 v42, v37, 0x100000
	v_and_b32_e32 v101, v101, v27
	v_cmp_eq_u32_e64 s16, v101, v42
	v_lshrrev_b32_e32 v101, v37, v27
	v_add_nc_u32_e32 v27, 0xffffff91, v36
	v_lshrrev_b32_e32 v36, 23, v101
	v_cndmask_b32_e64 v27, v27, 0xffffff92, vcc_lo
	v_xor_b32_e32 v36, 1, v36
	v_add_nc_u32_e32 v27, v37, v27
	v_bfe_u32 v37, v101, 21, 1
	v_add_nc_u32_e32 v37, -1, v37
	v_cndmask_b32_e64 v37, 0, v37, s16
	s_mov_b32 s16, exec_lo
	v_add_nc_u32_e32 v37, v37, v101
	v_and_b32_e32 v37, 0x1fffff, v37
	v_add_nc_u32_e32 v37, v37, v101
                                        ; implicit-def: $vgpr101
	v_cmpx_ne_u32_e64 v27, v36
	s_xor_b32 s16, exec_lo, s16
; %bb.4161:                             ;   in Loop: Header=BB6_3222 Depth=4
	v_cmp_lt_u32_e32 vcc_lo, 0xffffff, v37
	v_sub_nc_u32_e32 v27, v27, v36
	v_cndmask_b32_e64 v36, 0, 1, vcc_lo
	v_add_co_ci_u32_e64 v101, null, 0, v27, vcc_lo
	v_lshrrev_b32_e32 v37, v36, v37
; %bb.4162:                             ;   in Loop: Header=BB6_3222 Depth=4
	s_andn2_saveexec_b32 s16, s16
; %bb.4163:                             ;   in Loop: Header=BB6_3222 Depth=4
	v_bfe_u32 v101, v37, 23, 1
; %bb.4164:                             ;   in Loop: Header=BB6_3222 Depth=4
	s_or_b32 exec_lo, exec_lo, s16
	v_lshrrev_b32_e32 v27, 21, v37
	v_min_i32_e32 v36, 31, v101
	v_cmp_gt_i32_e32 vcc_lo, 32, v101
	v_and_b32_sdwa v7, v7, v117 dst_sel:DWORD dst_unused:UNUSED_PAD src0_sel:BYTE_3 src1_sel:DWORD
	v_lshlrev_b32_e32 v36, 2, v36
	v_cndmask_b32_e32 v27, 3, v27, vcc_lo
	v_and_b32_e32 v36, 0xfc, v36
	v_or_b32_e32 v37, v101, v27
	v_and_b32_e32 v27, 3, v27
	v_cmp_ne_u32_e32 vcc_lo, 0, v37
	v_or3_b32 v7, v7, v36, v27
	v_lshlrev_b32_e32 v7, 8, v7
	v_cndmask_b32_e32 v27, 0, v7, vcc_lo
.LBB6_4165:                             ;   in Loop: Header=BB6_3222 Depth=4
	s_or_b32 exec_lo, exec_lo, s73
.LBB6_4166:                             ;   in Loop: Header=BB6_3222 Depth=4
	s_or_b32 exec_lo, exec_lo, s72
	v_or_b32_e32 v36, v44, v53
	s_mov_b32 s72, 0
	v_cmp_gt_i16_sdwa s16, v36, v116 src0_sel:BYTE_0 src1_sel:DWORD
	s_and_saveexec_b32 s73, s16
	s_xor_b32 s16, exec_lo, s73
	s_cbranch_execz .LBB6_5540
; %bb.4167:                             ;   in Loop: Header=BB6_3222 Depth=4
	v_cmp_eq_u16_sdwa s74, v36, v117 src0_sel:BYTE_0 src1_sel:DWORD
	s_mov_b32 s72, -1
	s_and_saveexec_b32 s73, s74
; %bb.4168:                             ;   in Loop: Header=BB6_3222 Depth=4
	s_xor_b32 s72, exec_lo, -1
; %bb.4169:                             ;   in Loop: Header=BB6_3222 Depth=4
	s_or_b32 exec_lo, exec_lo, s73
	s_and_b32 s72, s72, exec_lo
	s_or_saveexec_b32 s16, s16
	v_mov_b32_e32 v7, 0x7f800001
	s_xor_b32 exec_lo, exec_lo, s16
	s_cbranch_execnz .LBB6_5541
.LBB6_4170:                             ;   in Loop: Header=BB6_3222 Depth=4
	s_or_b32 exec_lo, exec_lo, s16
	v_lshl_or_b32 v6, v36, 16, v6
	s_and_saveexec_b32 s16, s72
	s_cbranch_execz .LBB6_4172
.LBB6_4171:                             ;   in Loop: Header=BB6_3222 Depth=4
	v_bfe_u32 v7, v6, 16, 2
	v_bfe_u32 v36, v6, 18, 5
	v_ffbh_u32_e32 v37, v7
	v_cmp_eq_u32_e32 vcc_lo, 0, v36
	v_min_u32_e32 v37, 32, v37
	v_subrev_nc_u32_e32 v53, 29, v37
	v_sub_nc_u32_e32 v37, 30, v37
	v_lshlrev_b32_sdwa v53, v53, v6 dst_sel:DWORD dst_unused:UNUSED_PAD src0_sel:DWORD src1_sel:WORD_1
	v_cndmask_b32_e32 v36, v36, v37, vcc_lo
	v_lshlrev_b32_e32 v37, 8, v6
	v_and_b32_e32 v53, 3, v53
	v_lshl_add_u32 v36, v36, 23, 0x37800000
	v_and_b32_e32 v37, 0x80000000, v37
	v_cndmask_b32_e32 v7, v7, v53, vcc_lo
	v_lshlrev_b32_e32 v7, 21, v7
	v_or3_b32 v7, v37, v36, v7
.LBB6_4172:                             ;   in Loop: Header=BB6_3222 Depth=4
	s_or_b32 exec_lo, exec_lo, s16
	v_and_b32_sdwa v37, v20, v40 dst_sel:DWORD dst_unused:UNUSED_PAD src0_sel:WORD_1 src1_sel:DWORD
	s_mov_b32 s72, 0
	s_mov_b32 s16, exec_lo
	v_cmpx_lt_i16_e32 0x7f, v37
	s_xor_b32 s16, exec_lo, s16
	s_cbranch_execz .LBB6_5542
; %bb.4173:                             ;   in Loop: Header=BB6_3222 Depth=4
	s_mov_b32 s72, -1
	s_mov_b32 s73, exec_lo
	v_cmpx_eq_u16_e32 0x80, v37
; %bb.4174:                             ;   in Loop: Header=BB6_3222 Depth=4
	s_xor_b32 s72, exec_lo, -1
; %bb.4175:                             ;   in Loop: Header=BB6_3222 Depth=4
	s_or_b32 exec_lo, exec_lo, s73
	s_and_b32 s72, s72, exec_lo
                                        ; implicit-def: $vgpr37
	s_or_saveexec_b32 s16, s16
	v_mov_b32_e32 v36, 0x7f800001
	s_xor_b32 exec_lo, exec_lo, s16
	s_cbranch_execnz .LBB6_5543
.LBB6_4176:                             ;   in Loop: Header=BB6_3222 Depth=4
	s_or_b32 exec_lo, exec_lo, s16
	s_and_saveexec_b32 s16, s72
	s_cbranch_execz .LBB6_4178
.LBB6_4177:                             ;   in Loop: Header=BB6_3222 Depth=4
	v_bfe_u32 v36, v20, 16, 2
	v_bfe_u32 v37, v20, 18, 5
	v_ffbh_u32_e32 v53, v36
	v_cmp_eq_u32_e32 vcc_lo, 0, v37
	v_min_u32_e32 v53, 32, v53
	v_subrev_nc_u32_e32 v101, 29, v53
	v_sub_nc_u32_e32 v53, 30, v53
	v_lshlrev_b32_sdwa v101, v101, v20 dst_sel:DWORD dst_unused:UNUSED_PAD src0_sel:DWORD src1_sel:WORD_1
	v_cndmask_b32_e32 v37, v37, v53, vcc_lo
	v_lshlrev_b32_e32 v53, 8, v20
	v_and_b32_e32 v101, 3, v101
	v_lshl_add_u32 v37, v37, 23, 0x37800000
	v_and_b32_e32 v53, 0x80000000, v53
	v_cndmask_b32_e32 v36, v36, v101, vcc_lo
	v_lshlrev_b32_e32 v36, 21, v36
	v_or3_b32 v36, v53, v37, v36
.LBB6_4178:                             ;   in Loop: Header=BB6_3222 Depth=4
	s_or_b32 exec_lo, exec_lo, s16
	v_add_f32_e32 v7, v7, v36
	v_mov_b32_e32 v53, 0x80
	s_mov_b32 s72, exec_lo
	v_and_b32_e32 v36, 0x7f800000, v7
	v_cmpx_ne_u32_e32 0x7f800000, v36
	s_cbranch_execz .LBB6_4186
; %bb.4179:                             ;   in Loop: Header=BB6_3222 Depth=4
	v_mov_b32_e32 v53, 0
	s_mov_b32 s73, exec_lo
	v_cmpx_ne_u32_e32 0, v7
	s_cbranch_execz .LBB6_4185
; %bb.4180:                             ;   in Loop: Header=BB6_3222 Depth=4
	v_bfe_u32 v37, v7, 23, 8
	v_and_b32_e32 v36, 0x7fffff, v7
	v_cmp_gt_u32_e64 s16, 0x71, v37
	v_sub_nc_u32_e32 v53, 0x70, v37
	v_cmp_eq_u32_e32 vcc_lo, 0, v37
	v_or_b32_e32 v101, 0x800000, v36
	v_cndmask_b32_e64 v53, 0, v53, s16
	v_cndmask_b32_e32 v36, v101, v36, vcc_lo
	v_cndmask_b32_e64 v53, v53, 0x6f, vcc_lo
	v_lshl_add_u32 v101, 0x200000, v53, -1
	v_lshlrev_b32_e64 v42, v53, 0x100000
	v_and_b32_e32 v101, v101, v36
	v_cmp_eq_u32_e64 s16, v101, v42
	v_lshrrev_b32_e32 v101, v53, v36
	v_add_nc_u32_e32 v36, 0xffffff91, v37
	v_lshrrev_b32_e32 v37, 23, v101
	v_cndmask_b32_e64 v36, v36, 0xffffff92, vcc_lo
	v_xor_b32_e32 v37, 1, v37
	v_add_nc_u32_e32 v36, v53, v36
	v_bfe_u32 v53, v101, 21, 1
	v_add_nc_u32_e32 v53, -1, v53
	v_cndmask_b32_e64 v53, 0, v53, s16
	s_mov_b32 s16, exec_lo
	v_add_nc_u32_e32 v53, v53, v101
	v_and_b32_e32 v53, 0x1fffff, v53
	v_add_nc_u32_e32 v53, v53, v101
                                        ; implicit-def: $vgpr101
	v_cmpx_ne_u32_e64 v36, v37
	s_xor_b32 s16, exec_lo, s16
; %bb.4181:                             ;   in Loop: Header=BB6_3222 Depth=4
	v_cmp_lt_u32_e32 vcc_lo, 0xffffff, v53
	v_sub_nc_u32_e32 v36, v36, v37
	v_cndmask_b32_e64 v37, 0, 1, vcc_lo
	v_add_co_ci_u32_e64 v101, null, 0, v36, vcc_lo
	v_lshrrev_b32_e32 v53, v37, v53
; %bb.4182:                             ;   in Loop: Header=BB6_3222 Depth=4
	s_andn2_saveexec_b32 s16, s16
; %bb.4183:                             ;   in Loop: Header=BB6_3222 Depth=4
	v_bfe_u32 v101, v53, 23, 1
; %bb.4184:                             ;   in Loop: Header=BB6_3222 Depth=4
	s_or_b32 exec_lo, exec_lo, s16
	v_lshrrev_b32_e32 v36, 21, v53
	v_min_i32_e32 v37, 31, v101
	v_cmp_gt_i32_e32 vcc_lo, 32, v101
	v_and_b32_sdwa v7, v7, v117 dst_sel:DWORD dst_unused:UNUSED_PAD src0_sel:BYTE_3 src1_sel:DWORD
	v_lshlrev_b32_e32 v37, 2, v37
	v_cndmask_b32_e32 v36, 3, v36, vcc_lo
	v_and_b32_e32 v37, 0xfc, v37
	v_or_b32_e32 v53, v101, v36
	v_and_b32_e32 v36, 3, v36
	v_cmp_ne_u32_e32 vcc_lo, 0, v53
	v_or3_b32 v7, v37, v7, v36
	v_cndmask_b32_e32 v53, 0, v7, vcc_lo
.LBB6_4185:                             ;   in Loop: Header=BB6_3222 Depth=4
	s_or_b32 exec_lo, exec_lo, s73
.LBB6_4186:                             ;   in Loop: Header=BB6_3222 Depth=4
	s_or_b32 exec_lo, exec_lo, s72
	v_cmp_gt_i16_sdwa s16, v6, v116 src0_sel:BYTE_3 src1_sel:DWORD
	s_mov_b32 s72, 0
	s_and_saveexec_b32 s73, s16
	s_xor_b32 s16, exec_lo, s73
	s_cbranch_execz .LBB6_5544
; %bb.4187:                             ;   in Loop: Header=BB6_3222 Depth=4
	v_cmp_eq_u16_sdwa s74, v6, v117 src0_sel:BYTE_3 src1_sel:DWORD
	s_mov_b32 s72, -1
	s_and_saveexec_b32 s73, s74
; %bb.4188:                             ;   in Loop: Header=BB6_3222 Depth=4
	s_xor_b32 s72, exec_lo, -1
; %bb.4189:                             ;   in Loop: Header=BB6_3222 Depth=4
	s_or_b32 exec_lo, exec_lo, s73
	s_and_b32 s72, s72, exec_lo
	s_or_saveexec_b32 s16, s16
	v_mov_b32_e32 v7, 0x7f800001
	s_xor_b32 exec_lo, exec_lo, s16
	s_cbranch_execnz .LBB6_5545
.LBB6_4190:                             ;   in Loop: Header=BB6_3222 Depth=4
	s_or_b32 exec_lo, exec_lo, s16
	s_and_saveexec_b32 s16, s72
	s_cbranch_execz .LBB6_4192
.LBB6_4191:                             ;   in Loop: Header=BB6_3222 Depth=4
	v_bfe_u32 v7, v6, 24, 2
	v_bfe_u32 v101, v6, 26, 5
	v_ffbh_u32_e32 v36, v7
	v_cmp_eq_u32_e32 vcc_lo, 0, v101
	v_min_u32_e32 v36, 32, v36
	v_subrev_nc_u32_e32 v37, 29, v36
	v_sub_nc_u32_e32 v36, 30, v36
	v_lshlrev_b32_sdwa v37, v37, v6 dst_sel:DWORD dst_unused:UNUSED_PAD src0_sel:DWORD src1_sel:BYTE_3
	v_cndmask_b32_e32 v36, v101, v36, vcc_lo
	v_and_b32_e32 v6, 0x80000000, v6
	v_and_b32_e32 v37, 3, v37
	v_lshl_add_u32 v36, v36, 23, 0x37800000
	v_cndmask_b32_e32 v7, v7, v37, vcc_lo
	v_lshlrev_b32_e32 v7, 21, v7
	v_or3_b32 v7, v6, v36, v7
.LBB6_4192:                             ;   in Loop: Header=BB6_3222 Depth=4
	s_or_b32 exec_lo, exec_lo, s16
	v_cmp_gt_i16_sdwa s16, v20, v116 src0_sel:BYTE_3 src1_sel:DWORD
	s_mov_b32 s72, 0
	s_and_saveexec_b32 s73, s16
	s_xor_b32 s16, exec_lo, s73
	s_cbranch_execz .LBB6_5546
; %bb.4193:                             ;   in Loop: Header=BB6_3222 Depth=4
	v_cmp_eq_u16_sdwa s74, v20, v117 src0_sel:BYTE_3 src1_sel:DWORD
	s_mov_b32 s72, -1
	s_and_saveexec_b32 s73, s74
; %bb.4194:                             ;   in Loop: Header=BB6_3222 Depth=4
	s_xor_b32 s72, exec_lo, -1
; %bb.4195:                             ;   in Loop: Header=BB6_3222 Depth=4
	s_or_b32 exec_lo, exec_lo, s73
	s_and_b32 s72, s72, exec_lo
	s_or_saveexec_b32 s16, s16
	v_mov_b32_e32 v6, 0x7f800001
	s_xor_b32 exec_lo, exec_lo, s16
	s_cbranch_execnz .LBB6_5547
.LBB6_4196:                             ;   in Loop: Header=BB6_3222 Depth=4
	s_or_b32 exec_lo, exec_lo, s16
	s_and_saveexec_b32 s16, s72
	s_cbranch_execz .LBB6_4198
.LBB6_4197:                             ;   in Loop: Header=BB6_3222 Depth=4
	v_bfe_u32 v6, v20, 24, 2
	v_bfe_u32 v101, v20, 26, 5
	v_ffbh_u32_e32 v36, v6
	v_cmp_eq_u32_e32 vcc_lo, 0, v101
	v_min_u32_e32 v36, 32, v36
	v_subrev_nc_u32_e32 v37, 29, v36
	v_sub_nc_u32_e32 v36, 30, v36
	v_lshlrev_b32_sdwa v37, v37, v20 dst_sel:DWORD dst_unused:UNUSED_PAD src0_sel:DWORD src1_sel:BYTE_3
	v_cndmask_b32_e32 v36, v101, v36, vcc_lo
	v_and_b32_e32 v20, 0x80000000, v20
	v_and_b32_e32 v37, 3, v37
	v_lshl_add_u32 v36, v36, 23, 0x37800000
	v_cndmask_b32_e32 v6, v6, v37, vcc_lo
	v_lshlrev_b32_e32 v6, 21, v6
	v_or3_b32 v6, v20, v36, v6
.LBB6_4198:                             ;   in Loop: Header=BB6_3222 Depth=4
	s_or_b32 exec_lo, exec_lo, s16
	v_add_f32_e32 v6, v7, v6
	v_mov_b32_e32 v20, 0x8000
	s_mov_b32 s72, exec_lo
	v_and_b32_e32 v7, 0x7f800000, v6
	v_cmpx_ne_u32_e32 0x7f800000, v7
	s_cbranch_execz .LBB6_4206
; %bb.4199:                             ;   in Loop: Header=BB6_3222 Depth=4
	v_mov_b32_e32 v20, 0
	s_mov_b32 s73, exec_lo
	v_cmpx_ne_u32_e32 0, v6
	s_cbranch_execz .LBB6_4205
; %bb.4200:                             ;   in Loop: Header=BB6_3222 Depth=4
	v_bfe_u32 v20, v6, 23, 8
	v_and_b32_e32 v7, 0x7fffff, v6
	v_cmp_gt_u32_e64 s16, 0x71, v20
	v_sub_nc_u32_e32 v36, 0x70, v20
	v_cmp_eq_u32_e32 vcc_lo, 0, v20
	v_or_b32_e32 v37, 0x800000, v7
	v_cndmask_b32_e64 v36, 0, v36, s16
	v_cndmask_b32_e32 v7, v37, v7, vcc_lo
	v_cndmask_b32_e64 v36, v36, 0x6f, vcc_lo
	v_lshl_add_u32 v37, 0x200000, v36, -1
	v_lshlrev_b32_e64 v101, v36, 0x100000
	v_and_b32_e32 v37, v37, v7
	v_cmp_eq_u32_e64 s16, v37, v101
	v_lshrrev_b32_e32 v37, v36, v7
	v_add_nc_u32_e32 v7, 0xffffff91, v20
	v_lshrrev_b32_e32 v20, 23, v37
	v_cndmask_b32_e64 v7, v7, 0xffffff92, vcc_lo
	v_xor_b32_e32 v20, 1, v20
	v_add_nc_u32_e32 v7, v36, v7
	v_bfe_u32 v36, v37, 21, 1
	v_add_nc_u32_e32 v36, -1, v36
	v_cndmask_b32_e64 v36, 0, v36, s16
	s_mov_b32 s16, exec_lo
	v_add_nc_u32_e32 v36, v36, v37
	v_and_b32_e32 v36, 0x1fffff, v36
	v_add_nc_u32_e32 v36, v36, v37
                                        ; implicit-def: $vgpr37
	v_cmpx_ne_u32_e64 v7, v20
	s_xor_b32 s16, exec_lo, s16
; %bb.4201:                             ;   in Loop: Header=BB6_3222 Depth=4
	v_cmp_lt_u32_e32 vcc_lo, 0xffffff, v36
	v_sub_nc_u32_e32 v7, v7, v20
	v_cndmask_b32_e64 v20, 0, 1, vcc_lo
	v_add_co_ci_u32_e64 v37, null, 0, v7, vcc_lo
	v_lshrrev_b32_e32 v36, v20, v36
; %bb.4202:                             ;   in Loop: Header=BB6_3222 Depth=4
	s_andn2_saveexec_b32 s16, s16
; %bb.4203:                             ;   in Loop: Header=BB6_3222 Depth=4
	v_bfe_u32 v37, v36, 23, 1
; %bb.4204:                             ;   in Loop: Header=BB6_3222 Depth=4
	s_or_b32 exec_lo, exec_lo, s16
	v_lshrrev_b32_e32 v7, 21, v36
	v_min_i32_e32 v20, 31, v37
	v_cmp_gt_i32_e32 vcc_lo, 32, v37
	v_and_b32_sdwa v6, v6, v117 dst_sel:DWORD dst_unused:UNUSED_PAD src0_sel:BYTE_3 src1_sel:DWORD
	v_lshlrev_b32_e32 v20, 2, v20
	v_cndmask_b32_e32 v7, 3, v7, vcc_lo
	v_and_b32_e32 v20, 0xfc, v20
	v_or_b32_e32 v36, v37, v7
	v_and_b32_e32 v7, 3, v7
	v_cmp_ne_u32_e32 vcc_lo, 0, v36
	v_or3_b32 v6, v6, v20, v7
	v_lshlrev_b32_e32 v6, 8, v6
	v_cndmask_b32_e32 v20, 0, v6, vcc_lo
.LBB6_4205:                             ;   in Loop: Header=BB6_3222 Depth=4
	s_or_b32 exec_lo, exec_lo, s73
.LBB6_4206:                             ;   in Loop: Header=BB6_3222 Depth=4
	s_or_b32 exec_lo, exec_lo, s72
	v_or_b32_e32 v6, v94, v91
	s_mov_b32 s72, 0
	v_cmp_gt_i16_sdwa s16, v6, v116 src0_sel:BYTE_0 src1_sel:DWORD
	s_and_saveexec_b32 s73, s16
	s_xor_b32 s16, exec_lo, s73
	s_cbranch_execz .LBB6_5548
; %bb.4207:                             ;   in Loop: Header=BB6_3222 Depth=4
	v_cmp_eq_u16_sdwa s74, v6, v117 src0_sel:BYTE_0 src1_sel:DWORD
	s_mov_b32 s72, -1
	s_and_saveexec_b32 s73, s74
; %bb.4208:                             ;   in Loop: Header=BB6_3222 Depth=4
	s_xor_b32 s72, exec_lo, -1
; %bb.4209:                             ;   in Loop: Header=BB6_3222 Depth=4
	s_or_b32 exec_lo, exec_lo, s73
	s_and_b32 s72, s72, exec_lo
	s_or_saveexec_b32 s16, s16
	v_mov_b32_e32 v7, 0x7f800001
	s_xor_b32 exec_lo, exec_lo, s16
	s_cbranch_execnz .LBB6_5549
.LBB6_4210:                             ;   in Loop: Header=BB6_3222 Depth=4
	s_or_b32 exec_lo, exec_lo, s16
	s_and_saveexec_b32 s16, s72
	s_cbranch_execz .LBB6_4212
.LBB6_4211:                             ;   in Loop: Header=BB6_3222 Depth=4
	v_and_b32_e32 v7, 3, v6
	v_bfe_u32 v36, v6, 2, 5
	v_ffbh_u32_e32 v37, v7
	v_cmp_eq_u32_e32 vcc_lo, 0, v36
	v_min_u32_e32 v37, 32, v37
	v_subrev_nc_u32_e32 v101, 29, v37
	v_sub_nc_u32_e32 v37, 30, v37
	v_lshlrev_b32_e32 v101, v101, v6
	v_cndmask_b32_e32 v36, v36, v37, vcc_lo
	v_lshlrev_b32_e32 v37, 24, v6
	v_and_b32_e32 v101, 3, v101
	v_lshl_add_u32 v36, v36, 23, 0x37800000
	v_and_b32_e32 v37, 0x80000000, v37
	v_cndmask_b32_e32 v7, v7, v101, vcc_lo
	v_lshlrev_b32_e32 v7, 21, v7
	v_or3_b32 v7, v37, v36, v7
.LBB6_4212:                             ;   in Loop: Header=BB6_3222 Depth=4
	s_or_b32 exec_lo, exec_lo, s16
	v_cmp_gt_i16_sdwa s16, v21, v116 src0_sel:BYTE_0 src1_sel:DWORD
	s_mov_b32 s72, 0
	s_and_saveexec_b32 s73, s16
	s_xor_b32 s16, exec_lo, s73
	s_cbranch_execz .LBB6_5550
; %bb.4213:                             ;   in Loop: Header=BB6_3222 Depth=4
	v_cmp_eq_u16_sdwa s74, v21, v117 src0_sel:BYTE_0 src1_sel:DWORD
	s_mov_b32 s72, -1
	s_and_saveexec_b32 s73, s74
; %bb.4214:                             ;   in Loop: Header=BB6_3222 Depth=4
	s_xor_b32 s72, exec_lo, -1
; %bb.4215:                             ;   in Loop: Header=BB6_3222 Depth=4
	s_or_b32 exec_lo, exec_lo, s73
	s_and_b32 s72, s72, exec_lo
	s_or_saveexec_b32 s16, s16
	v_mov_b32_e32 v36, 0x7f800001
	s_xor_b32 exec_lo, exec_lo, s16
	s_cbranch_execnz .LBB6_5551
.LBB6_4216:                             ;   in Loop: Header=BB6_3222 Depth=4
	s_or_b32 exec_lo, exec_lo, s16
	s_and_saveexec_b32 s16, s72
	s_cbranch_execz .LBB6_4218
.LBB6_4217:                             ;   in Loop: Header=BB6_3222 Depth=4
	v_and_b32_e32 v36, 3, v21
	v_bfe_u32 v37, v21, 2, 5
	v_ffbh_u32_e32 v101, v36
	v_cmp_eq_u32_e32 vcc_lo, 0, v37
	v_min_u32_e32 v101, 32, v101
	v_subrev_nc_u32_e32 v42, 29, v101
	v_sub_nc_u32_e32 v101, 30, v101
	v_lshlrev_b32_e32 v42, v42, v21
	v_cndmask_b32_e32 v37, v37, v101, vcc_lo
	v_lshlrev_b32_e32 v101, 24, v21
	v_and_b32_e32 v42, 3, v42
	v_lshl_add_u32 v37, v37, 23, 0x37800000
	v_and_b32_e32 v101, 0x80000000, v101
	v_cndmask_b32_e32 v36, v36, v42, vcc_lo
	v_lshlrev_b32_e32 v36, 21, v36
	v_or3_b32 v36, v101, v37, v36
.LBB6_4218:                             ;   in Loop: Header=BB6_3222 Depth=4
	s_or_b32 exec_lo, exec_lo, s16
	v_add_f32_e32 v7, v7, v36
	v_mov_b32_e32 v91, 0x80
	s_mov_b32 s72, exec_lo
	v_and_b32_e32 v36, 0x7f800000, v7
	v_cmpx_ne_u32_e32 0x7f800000, v36
	s_cbranch_execz .LBB6_4226
; %bb.4219:                             ;   in Loop: Header=BB6_3222 Depth=4
	v_mov_b32_e32 v91, 0
	s_mov_b32 s73, exec_lo
	v_cmpx_ne_u32_e32 0, v7
	s_cbranch_execz .LBB6_4225
; %bb.4220:                             ;   in Loop: Header=BB6_3222 Depth=4
	v_bfe_u32 v37, v7, 23, 8
	v_and_b32_e32 v36, 0x7fffff, v7
	v_cmp_gt_u32_e64 s16, 0x71, v37
	v_sub_nc_u32_e32 v101, 0x70, v37
	v_cmp_eq_u32_e32 vcc_lo, 0, v37
	v_or_b32_e32 v42, 0x800000, v36
	v_cndmask_b32_e64 v101, 0, v101, s16
	v_cndmask_b32_e32 v36, v42, v36, vcc_lo
	v_cndmask_b32_e64 v101, v101, 0x6f, vcc_lo
	v_lshl_add_u32 v42, 0x200000, v101, -1
	v_lshlrev_b32_e64 v44, v101, 0x100000
	v_and_b32_e32 v42, v42, v36
	v_cmp_eq_u32_e64 s16, v42, v44
	v_lshrrev_b32_e32 v42, v101, v36
	v_add_nc_u32_e32 v36, 0xffffff91, v37
	v_lshrrev_b32_e32 v37, 23, v42
	v_cndmask_b32_e64 v36, v36, 0xffffff92, vcc_lo
	v_xor_b32_e32 v37, 1, v37
	v_add_nc_u32_e32 v36, v101, v36
	v_bfe_u32 v101, v42, 21, 1
	v_add_nc_u32_e32 v101, -1, v101
	v_cndmask_b32_e64 v101, 0, v101, s16
	s_mov_b32 s16, exec_lo
	v_add_nc_u32_e32 v101, v101, v42
	v_and_b32_e32 v101, 0x1fffff, v101
	v_add_nc_u32_e32 v101, v101, v42
                                        ; implicit-def: $vgpr42
	v_cmpx_ne_u32_e64 v36, v37
	s_xor_b32 s16, exec_lo, s16
; %bb.4221:                             ;   in Loop: Header=BB6_3222 Depth=4
	v_cmp_lt_u32_e32 vcc_lo, 0xffffff, v101
	v_sub_nc_u32_e32 v36, v36, v37
	v_cndmask_b32_e64 v37, 0, 1, vcc_lo
	v_add_co_ci_u32_e64 v42, null, 0, v36, vcc_lo
	v_lshrrev_b32_e32 v101, v37, v101
; %bb.4222:                             ;   in Loop: Header=BB6_3222 Depth=4
	s_andn2_saveexec_b32 s16, s16
; %bb.4223:                             ;   in Loop: Header=BB6_3222 Depth=4
	v_bfe_u32 v42, v101, 23, 1
; %bb.4224:                             ;   in Loop: Header=BB6_3222 Depth=4
	s_or_b32 exec_lo, exec_lo, s16
	v_lshrrev_b32_e32 v36, 21, v101
	v_min_i32_e32 v37, 31, v42
	v_cmp_gt_i32_e32 vcc_lo, 32, v42
	v_and_b32_sdwa v7, v7, v117 dst_sel:DWORD dst_unused:UNUSED_PAD src0_sel:BYTE_3 src1_sel:DWORD
	v_lshlrev_b32_e32 v37, 2, v37
	v_cndmask_b32_e32 v36, 3, v36, vcc_lo
	v_and_b32_e32 v37, 0xfc, v37
	v_or_b32_e32 v101, v42, v36
	v_and_b32_e32 v36, 3, v36
	v_cmp_ne_u32_e32 vcc_lo, 0, v101
	v_or3_b32 v7, v37, v7, v36
	v_cndmask_b32_e32 v91, 0, v7, vcc_lo
.LBB6_4225:                             ;   in Loop: Header=BB6_3222 Depth=4
	s_or_b32 exec_lo, exec_lo, s73
.LBB6_4226:                             ;   in Loop: Header=BB6_3222 Depth=4
	s_or_b32 exec_lo, exec_lo, s72
	v_cmp_gt_i16_sdwa s16, v6, v116 src0_sel:BYTE_1 src1_sel:DWORD
	s_mov_b32 s72, 0
	s_and_saveexec_b32 s73, s16
	s_xor_b32 s16, exec_lo, s73
	s_cbranch_execz .LBB6_5552
; %bb.4227:                             ;   in Loop: Header=BB6_3222 Depth=4
	v_cmp_eq_u16_sdwa s74, v6, v117 src0_sel:BYTE_1 src1_sel:DWORD
	s_mov_b32 s72, -1
	s_and_saveexec_b32 s73, s74
; %bb.4228:                             ;   in Loop: Header=BB6_3222 Depth=4
	s_xor_b32 s72, exec_lo, -1
; %bb.4229:                             ;   in Loop: Header=BB6_3222 Depth=4
	s_or_b32 exec_lo, exec_lo, s73
	s_and_b32 s72, s72, exec_lo
	s_or_saveexec_b32 s16, s16
	v_mov_b32_e32 v7, 0x7f800001
	s_xor_b32 exec_lo, exec_lo, s16
	s_cbranch_execnz .LBB6_5553
.LBB6_4230:                             ;   in Loop: Header=BB6_3222 Depth=4
	s_or_b32 exec_lo, exec_lo, s16
	s_and_saveexec_b32 s16, s72
	s_cbranch_execz .LBB6_4232
.LBB6_4231:                             ;   in Loop: Header=BB6_3222 Depth=4
	v_and_b32_sdwa v7, v118, v6 dst_sel:DWORD dst_unused:UNUSED_PAD src0_sel:DWORD src1_sel:BYTE_1
	v_and_b32_e32 v36, 3, v7
	v_bfe_u32 v42, v7, 2, 5
	v_ffbh_u32_e32 v37, v36
	v_cmp_eq_u32_e32 vcc_lo, 0, v42
	v_min_u32_e32 v37, 32, v37
	v_subrev_nc_u32_e32 v101, 29, v37
	v_sub_nc_u32_e32 v37, 30, v37
	v_lshlrev_b32_e32 v7, v101, v7
	v_lshlrev_b32_sdwa v101, v119, v6 dst_sel:DWORD dst_unused:UNUSED_PAD src0_sel:DWORD src1_sel:BYTE_1
	v_cndmask_b32_e32 v37, v42, v37, vcc_lo
	v_and_b32_e32 v7, 3, v7
	v_lshl_add_u32 v37, v37, 23, 0x37800000
	v_cndmask_b32_e32 v7, v36, v7, vcc_lo
	v_and_b32_e32 v36, 0x80000000, v101
	v_lshlrev_b32_e32 v7, 21, v7
	v_or3_b32 v7, v36, v37, v7
.LBB6_4232:                             ;   in Loop: Header=BB6_3222 Depth=4
	s_or_b32 exec_lo, exec_lo, s16
	v_cmp_gt_i16_sdwa s16, v21, v116 src0_sel:BYTE_1 src1_sel:DWORD
	s_mov_b32 s72, 0
	s_and_saveexec_b32 s73, s16
	s_xor_b32 s16, exec_lo, s73
	s_cbranch_execz .LBB6_5554
; %bb.4233:                             ;   in Loop: Header=BB6_3222 Depth=4
	v_cmp_eq_u16_sdwa s74, v21, v117 src0_sel:BYTE_1 src1_sel:DWORD
	s_mov_b32 s72, -1
	s_and_saveexec_b32 s73, s74
; %bb.4234:                             ;   in Loop: Header=BB6_3222 Depth=4
	s_xor_b32 s72, exec_lo, -1
; %bb.4235:                             ;   in Loop: Header=BB6_3222 Depth=4
	s_or_b32 exec_lo, exec_lo, s73
	s_and_b32 s72, s72, exec_lo
	s_or_saveexec_b32 s16, s16
	v_mov_b32_e32 v36, 0x7f800001
	s_xor_b32 exec_lo, exec_lo, s16
	s_cbranch_execnz .LBB6_5555
.LBB6_4236:                             ;   in Loop: Header=BB6_3222 Depth=4
	s_or_b32 exec_lo, exec_lo, s16
	s_and_saveexec_b32 s16, s72
	s_cbranch_execz .LBB6_4238
.LBB6_4237:                             ;   in Loop: Header=BB6_3222 Depth=4
	v_and_b32_sdwa v36, v118, v21 dst_sel:DWORD dst_unused:UNUSED_PAD src0_sel:DWORD src1_sel:BYTE_1
	v_and_b32_e32 v37, 3, v36
	v_bfe_u32 v44, v36, 2, 5
	v_ffbh_u32_e32 v101, v37
	v_cmp_eq_u32_e32 vcc_lo, 0, v44
	v_min_u32_e32 v101, 32, v101
	v_subrev_nc_u32_e32 v42, 29, v101
	v_sub_nc_u32_e32 v101, 30, v101
	v_lshlrev_b32_e32 v36, v42, v36
	v_lshlrev_b32_sdwa v42, v119, v21 dst_sel:DWORD dst_unused:UNUSED_PAD src0_sel:DWORD src1_sel:BYTE_1
	v_cndmask_b32_e32 v101, v44, v101, vcc_lo
	v_and_b32_e32 v36, 3, v36
	v_lshl_add_u32 v101, v101, 23, 0x37800000
	v_cndmask_b32_e32 v36, v37, v36, vcc_lo
	v_and_b32_e32 v37, 0x80000000, v42
	v_lshlrev_b32_e32 v36, 21, v36
	v_or3_b32 v36, v37, v101, v36
.LBB6_4238:                             ;   in Loop: Header=BB6_3222 Depth=4
	s_or_b32 exec_lo, exec_lo, s16
	v_add_f32_e32 v7, v7, v36
	v_mov_b32_e32 v94, 0x8000
	s_mov_b32 s72, exec_lo
	v_and_b32_e32 v36, 0x7f800000, v7
	v_cmpx_ne_u32_e32 0x7f800000, v36
	s_cbranch_execz .LBB6_4246
; %bb.4239:                             ;   in Loop: Header=BB6_3222 Depth=4
	v_mov_b32_e32 v94, 0
	s_mov_b32 s73, exec_lo
	v_cmpx_ne_u32_e32 0, v7
	s_cbranch_execz .LBB6_4245
; %bb.4240:                             ;   in Loop: Header=BB6_3222 Depth=4
	v_bfe_u32 v37, v7, 23, 8
	v_and_b32_e32 v36, 0x7fffff, v7
	v_cmp_gt_u32_e64 s16, 0x71, v37
	v_sub_nc_u32_e32 v101, 0x70, v37
	v_cmp_eq_u32_e32 vcc_lo, 0, v37
	v_or_b32_e32 v42, 0x800000, v36
	v_cndmask_b32_e64 v101, 0, v101, s16
	v_cndmask_b32_e32 v36, v42, v36, vcc_lo
	v_cndmask_b32_e64 v101, v101, 0x6f, vcc_lo
	v_lshl_add_u32 v42, 0x200000, v101, -1
	v_lshlrev_b32_e64 v44, v101, 0x100000
	v_and_b32_e32 v42, v42, v36
	v_cmp_eq_u32_e64 s16, v42, v44
	v_lshrrev_b32_e32 v42, v101, v36
	v_add_nc_u32_e32 v36, 0xffffff91, v37
	v_lshrrev_b32_e32 v37, 23, v42
	v_cndmask_b32_e64 v36, v36, 0xffffff92, vcc_lo
	v_xor_b32_e32 v37, 1, v37
	v_add_nc_u32_e32 v36, v101, v36
	v_bfe_u32 v101, v42, 21, 1
	v_add_nc_u32_e32 v101, -1, v101
	v_cndmask_b32_e64 v101, 0, v101, s16
	s_mov_b32 s16, exec_lo
	v_add_nc_u32_e32 v101, v101, v42
	v_and_b32_e32 v101, 0x1fffff, v101
	v_add_nc_u32_e32 v101, v101, v42
                                        ; implicit-def: $vgpr42
	v_cmpx_ne_u32_e64 v36, v37
	s_xor_b32 s16, exec_lo, s16
; %bb.4241:                             ;   in Loop: Header=BB6_3222 Depth=4
	v_cmp_lt_u32_e32 vcc_lo, 0xffffff, v101
	v_sub_nc_u32_e32 v36, v36, v37
	v_cndmask_b32_e64 v37, 0, 1, vcc_lo
	v_add_co_ci_u32_e64 v42, null, 0, v36, vcc_lo
	v_lshrrev_b32_e32 v101, v37, v101
; %bb.4242:                             ;   in Loop: Header=BB6_3222 Depth=4
	s_andn2_saveexec_b32 s16, s16
; %bb.4243:                             ;   in Loop: Header=BB6_3222 Depth=4
	v_bfe_u32 v42, v101, 23, 1
; %bb.4244:                             ;   in Loop: Header=BB6_3222 Depth=4
	s_or_b32 exec_lo, exec_lo, s16
	v_lshrrev_b32_e32 v36, 21, v101
	v_min_i32_e32 v37, 31, v42
	v_cmp_gt_i32_e32 vcc_lo, 32, v42
	v_and_b32_sdwa v7, v7, v117 dst_sel:DWORD dst_unused:UNUSED_PAD src0_sel:BYTE_3 src1_sel:DWORD
	v_lshlrev_b32_e32 v37, 2, v37
	v_cndmask_b32_e32 v36, 3, v36, vcc_lo
	v_and_b32_e32 v37, 0xfc, v37
	v_or_b32_e32 v101, v42, v36
	v_and_b32_e32 v36, 3, v36
	v_cmp_ne_u32_e32 vcc_lo, 0, v101
	v_or3_b32 v7, v7, v37, v36
	v_lshlrev_b32_e32 v7, 8, v7
	v_cndmask_b32_e32 v94, 0, v7, vcc_lo
.LBB6_4245:                             ;   in Loop: Header=BB6_3222 Depth=4
	s_or_b32 exec_lo, exec_lo, s73
.LBB6_4246:                             ;   in Loop: Header=BB6_3222 Depth=4
	s_or_b32 exec_lo, exec_lo, s72
	v_or_b32_e32 v36, v115, v107
	s_mov_b32 s72, 0
	v_cmp_gt_i16_sdwa s16, v36, v116 src0_sel:BYTE_0 src1_sel:DWORD
	s_and_saveexec_b32 s73, s16
	s_xor_b32 s16, exec_lo, s73
	s_cbranch_execz .LBB6_5556
; %bb.4247:                             ;   in Loop: Header=BB6_3222 Depth=4
	v_cmp_eq_u16_sdwa s74, v36, v117 src0_sel:BYTE_0 src1_sel:DWORD
	s_mov_b32 s72, -1
	s_and_saveexec_b32 s73, s74
; %bb.4248:                             ;   in Loop: Header=BB6_3222 Depth=4
	s_xor_b32 s72, exec_lo, -1
; %bb.4249:                             ;   in Loop: Header=BB6_3222 Depth=4
	s_or_b32 exec_lo, exec_lo, s73
	s_and_b32 s72, s72, exec_lo
	s_or_saveexec_b32 s16, s16
	v_mov_b32_e32 v7, 0x7f800001
	s_xor_b32 exec_lo, exec_lo, s16
	s_cbranch_execnz .LBB6_5557
.LBB6_4250:                             ;   in Loop: Header=BB6_3222 Depth=4
	s_or_b32 exec_lo, exec_lo, s16
	v_lshl_or_b32 v6, v36, 16, v6
	s_and_saveexec_b32 s16, s72
	s_cbranch_execz .LBB6_4252
.LBB6_4251:                             ;   in Loop: Header=BB6_3222 Depth=4
	v_bfe_u32 v7, v6, 16, 2
	v_bfe_u32 v36, v6, 18, 5
	v_ffbh_u32_e32 v37, v7
	v_cmp_eq_u32_e32 vcc_lo, 0, v36
	v_min_u32_e32 v37, 32, v37
	v_subrev_nc_u32_e32 v101, 29, v37
	v_sub_nc_u32_e32 v37, 30, v37
	v_lshlrev_b32_sdwa v101, v101, v6 dst_sel:DWORD dst_unused:UNUSED_PAD src0_sel:DWORD src1_sel:WORD_1
	v_cndmask_b32_e32 v36, v36, v37, vcc_lo
	v_lshlrev_b32_e32 v37, 8, v6
	v_and_b32_e32 v101, 3, v101
	v_lshl_add_u32 v36, v36, 23, 0x37800000
	v_and_b32_e32 v37, 0x80000000, v37
	v_cndmask_b32_e32 v7, v7, v101, vcc_lo
	v_lshlrev_b32_e32 v7, 21, v7
	v_or3_b32 v7, v37, v36, v7
.LBB6_4252:                             ;   in Loop: Header=BB6_3222 Depth=4
	s_or_b32 exec_lo, exec_lo, s16
	v_and_b32_sdwa v37, v21, v40 dst_sel:DWORD dst_unused:UNUSED_PAD src0_sel:WORD_1 src1_sel:DWORD
	s_mov_b32 s72, 0
	s_mov_b32 s16, exec_lo
	v_cmpx_lt_i16_e32 0x7f, v37
	s_xor_b32 s16, exec_lo, s16
	s_cbranch_execz .LBB6_5558
; %bb.4253:                             ;   in Loop: Header=BB6_3222 Depth=4
	s_mov_b32 s72, -1
	s_mov_b32 s73, exec_lo
	v_cmpx_eq_u16_e32 0x80, v37
; %bb.4254:                             ;   in Loop: Header=BB6_3222 Depth=4
	s_xor_b32 s72, exec_lo, -1
; %bb.4255:                             ;   in Loop: Header=BB6_3222 Depth=4
	s_or_b32 exec_lo, exec_lo, s73
	s_and_b32 s72, s72, exec_lo
                                        ; implicit-def: $vgpr37
	s_or_saveexec_b32 s16, s16
	v_mov_b32_e32 v36, 0x7f800001
	s_xor_b32 exec_lo, exec_lo, s16
	s_cbranch_execnz .LBB6_5559
.LBB6_4256:                             ;   in Loop: Header=BB6_3222 Depth=4
	s_or_b32 exec_lo, exec_lo, s16
	s_and_saveexec_b32 s16, s72
	s_cbranch_execz .LBB6_4258
.LBB6_4257:                             ;   in Loop: Header=BB6_3222 Depth=4
	v_bfe_u32 v36, v21, 16, 2
	v_bfe_u32 v37, v21, 18, 5
	v_ffbh_u32_e32 v101, v36
	v_cmp_eq_u32_e32 vcc_lo, 0, v37
	v_min_u32_e32 v101, 32, v101
	v_subrev_nc_u32_e32 v115, 29, v101
	v_sub_nc_u32_e32 v101, 30, v101
	v_lshlrev_b32_sdwa v115, v115, v21 dst_sel:DWORD dst_unused:UNUSED_PAD src0_sel:DWORD src1_sel:WORD_1
	v_cndmask_b32_e32 v37, v37, v101, vcc_lo
	v_lshlrev_b32_e32 v101, 8, v21
	v_and_b32_e32 v115, 3, v115
	v_lshl_add_u32 v37, v37, 23, 0x37800000
	v_and_b32_e32 v101, 0x80000000, v101
	v_cndmask_b32_e32 v36, v36, v115, vcc_lo
	v_lshlrev_b32_e32 v36, 21, v36
	v_or3_b32 v36, v101, v37, v36
.LBB6_4258:                             ;   in Loop: Header=BB6_3222 Depth=4
	s_or_b32 exec_lo, exec_lo, s16
	v_add_f32_e32 v7, v7, v36
	v_mov_b32_e32 v107, 0x80
	s_mov_b32 s72, exec_lo
	v_and_b32_e32 v36, 0x7f800000, v7
	v_cmpx_ne_u32_e32 0x7f800000, v36
	s_cbranch_execz .LBB6_4266
; %bb.4259:                             ;   in Loop: Header=BB6_3222 Depth=4
	v_mov_b32_e32 v107, 0
	s_mov_b32 s73, exec_lo
	v_cmpx_ne_u32_e32 0, v7
	s_cbranch_execz .LBB6_4265
; %bb.4260:                             ;   in Loop: Header=BB6_3222 Depth=4
	v_bfe_u32 v37, v7, 23, 8
	v_and_b32_e32 v36, 0x7fffff, v7
	v_cmp_gt_u32_e64 s16, 0x71, v37
	v_sub_nc_u32_e32 v101, 0x70, v37
	v_cmp_eq_u32_e32 vcc_lo, 0, v37
	v_or_b32_e32 v115, 0x800000, v36
	v_cndmask_b32_e64 v101, 0, v101, s16
	v_cndmask_b32_e32 v36, v115, v36, vcc_lo
	v_cndmask_b32_e64 v101, v101, 0x6f, vcc_lo
	v_lshl_add_u32 v115, 0x200000, v101, -1
	v_lshlrev_b32_e64 v42, v101, 0x100000
	v_and_b32_e32 v115, v115, v36
	v_cmp_eq_u32_e64 s16, v115, v42
	v_lshrrev_b32_e32 v115, v101, v36
	v_add_nc_u32_e32 v36, 0xffffff91, v37
	v_lshrrev_b32_e32 v37, 23, v115
	v_cndmask_b32_e64 v36, v36, 0xffffff92, vcc_lo
	v_xor_b32_e32 v37, 1, v37
	v_add_nc_u32_e32 v36, v101, v36
	v_bfe_u32 v101, v115, 21, 1
	v_add_nc_u32_e32 v101, -1, v101
	v_cndmask_b32_e64 v101, 0, v101, s16
	s_mov_b32 s16, exec_lo
	v_add_nc_u32_e32 v101, v101, v115
	v_and_b32_e32 v101, 0x1fffff, v101
	v_add_nc_u32_e32 v101, v101, v115
                                        ; implicit-def: $vgpr115
	v_cmpx_ne_u32_e64 v36, v37
	s_xor_b32 s16, exec_lo, s16
; %bb.4261:                             ;   in Loop: Header=BB6_3222 Depth=4
	v_cmp_lt_u32_e32 vcc_lo, 0xffffff, v101
	v_sub_nc_u32_e32 v36, v36, v37
	v_cndmask_b32_e64 v37, 0, 1, vcc_lo
	v_add_co_ci_u32_e64 v115, null, 0, v36, vcc_lo
	v_lshrrev_b32_e32 v101, v37, v101
; %bb.4262:                             ;   in Loop: Header=BB6_3222 Depth=4
	s_andn2_saveexec_b32 s16, s16
; %bb.4263:                             ;   in Loop: Header=BB6_3222 Depth=4
	v_bfe_u32 v115, v101, 23, 1
; %bb.4264:                             ;   in Loop: Header=BB6_3222 Depth=4
	s_or_b32 exec_lo, exec_lo, s16
	v_lshrrev_b32_e32 v36, 21, v101
	v_min_i32_e32 v37, 31, v115
	v_cmp_gt_i32_e32 vcc_lo, 32, v115
	v_and_b32_sdwa v7, v7, v117 dst_sel:DWORD dst_unused:UNUSED_PAD src0_sel:BYTE_3 src1_sel:DWORD
	v_lshlrev_b32_e32 v37, 2, v37
	v_cndmask_b32_e32 v36, 3, v36, vcc_lo
	v_and_b32_e32 v37, 0xfc, v37
	v_or_b32_e32 v101, v115, v36
	v_and_b32_e32 v36, 3, v36
	v_cmp_ne_u32_e32 vcc_lo, 0, v101
	v_or3_b32 v7, v37, v7, v36
	v_cndmask_b32_e32 v107, 0, v7, vcc_lo
.LBB6_4265:                             ;   in Loop: Header=BB6_3222 Depth=4
	s_or_b32 exec_lo, exec_lo, s73
.LBB6_4266:                             ;   in Loop: Header=BB6_3222 Depth=4
	s_or_b32 exec_lo, exec_lo, s72
	v_cmp_gt_i16_sdwa s16, v6, v116 src0_sel:BYTE_3 src1_sel:DWORD
	s_mov_b32 s72, 0
	s_and_saveexec_b32 s73, s16
	s_xor_b32 s16, exec_lo, s73
	s_cbranch_execz .LBB6_5560
; %bb.4267:                             ;   in Loop: Header=BB6_3222 Depth=4
	v_cmp_eq_u16_sdwa s74, v6, v117 src0_sel:BYTE_3 src1_sel:DWORD
	s_mov_b32 s72, -1
	s_and_saveexec_b32 s73, s74
; %bb.4268:                             ;   in Loop: Header=BB6_3222 Depth=4
	s_xor_b32 s72, exec_lo, -1
; %bb.4269:                             ;   in Loop: Header=BB6_3222 Depth=4
	s_or_b32 exec_lo, exec_lo, s73
	s_and_b32 s72, s72, exec_lo
	s_or_saveexec_b32 s16, s16
	v_mov_b32_e32 v7, 0x7f800001
	s_xor_b32 exec_lo, exec_lo, s16
	s_cbranch_execnz .LBB6_5561
.LBB6_4270:                             ;   in Loop: Header=BB6_3222 Depth=4
	s_or_b32 exec_lo, exec_lo, s16
	s_and_saveexec_b32 s16, s72
	s_cbranch_execz .LBB6_4272
.LBB6_4271:                             ;   in Loop: Header=BB6_3222 Depth=4
	v_bfe_u32 v7, v6, 24, 2
	v_bfe_u32 v101, v6, 26, 5
	v_ffbh_u32_e32 v36, v7
	v_cmp_eq_u32_e32 vcc_lo, 0, v101
	v_min_u32_e32 v36, 32, v36
	v_subrev_nc_u32_e32 v37, 29, v36
	v_sub_nc_u32_e32 v36, 30, v36
	v_lshlrev_b32_sdwa v37, v37, v6 dst_sel:DWORD dst_unused:UNUSED_PAD src0_sel:DWORD src1_sel:BYTE_3
	v_cndmask_b32_e32 v36, v101, v36, vcc_lo
	v_and_b32_e32 v6, 0x80000000, v6
	v_and_b32_e32 v37, 3, v37
	v_lshl_add_u32 v36, v36, 23, 0x37800000
	v_cndmask_b32_e32 v7, v7, v37, vcc_lo
	v_lshlrev_b32_e32 v7, 21, v7
	v_or3_b32 v7, v6, v36, v7
.LBB6_4272:                             ;   in Loop: Header=BB6_3222 Depth=4
	s_or_b32 exec_lo, exec_lo, s16
	v_cmp_gt_i16_sdwa s16, v21, v116 src0_sel:BYTE_3 src1_sel:DWORD
	s_mov_b32 s72, 0
	s_and_saveexec_b32 s73, s16
	s_xor_b32 s16, exec_lo, s73
	s_cbranch_execz .LBB6_5562
; %bb.4273:                             ;   in Loop: Header=BB6_3222 Depth=4
	v_cmp_eq_u16_sdwa s74, v21, v117 src0_sel:BYTE_3 src1_sel:DWORD
	s_mov_b32 s72, -1
	s_and_saveexec_b32 s73, s74
; %bb.4274:                             ;   in Loop: Header=BB6_3222 Depth=4
	s_xor_b32 s72, exec_lo, -1
; %bb.4275:                             ;   in Loop: Header=BB6_3222 Depth=4
	s_or_b32 exec_lo, exec_lo, s73
	s_and_b32 s72, s72, exec_lo
	s_or_saveexec_b32 s16, s16
	v_mov_b32_e32 v6, 0x7f800001
	s_xor_b32 exec_lo, exec_lo, s16
	s_cbranch_execnz .LBB6_5563
.LBB6_4276:                             ;   in Loop: Header=BB6_3222 Depth=4
	s_or_b32 exec_lo, exec_lo, s16
	s_and_saveexec_b32 s16, s72
	s_cbranch_execz .LBB6_4278
.LBB6_4277:                             ;   in Loop: Header=BB6_3222 Depth=4
	v_bfe_u32 v6, v21, 24, 2
	v_bfe_u32 v101, v21, 26, 5
	v_ffbh_u32_e32 v36, v6
	v_cmp_eq_u32_e32 vcc_lo, 0, v101
	v_min_u32_e32 v36, 32, v36
	v_subrev_nc_u32_e32 v37, 29, v36
	v_sub_nc_u32_e32 v36, 30, v36
	v_lshlrev_b32_sdwa v37, v37, v21 dst_sel:DWORD dst_unused:UNUSED_PAD src0_sel:DWORD src1_sel:BYTE_3
	v_cndmask_b32_e32 v36, v101, v36, vcc_lo
	v_and_b32_e32 v21, 0x80000000, v21
	v_and_b32_e32 v37, 3, v37
	v_lshl_add_u32 v36, v36, 23, 0x37800000
	v_cndmask_b32_e32 v6, v6, v37, vcc_lo
	v_lshlrev_b32_e32 v6, 21, v6
	v_or3_b32 v6, v21, v36, v6
.LBB6_4278:                             ;   in Loop: Header=BB6_3222 Depth=4
	s_or_b32 exec_lo, exec_lo, s16
	v_add_f32_e32 v6, v7, v6
	v_mov_b32_e32 v21, 0x8000
	s_mov_b32 s72, exec_lo
	v_and_b32_e32 v7, 0x7f800000, v6
	v_cmpx_ne_u32_e32 0x7f800000, v7
	s_cbranch_execz .LBB6_4286
; %bb.4279:                             ;   in Loop: Header=BB6_3222 Depth=4
	v_mov_b32_e32 v21, 0
	s_mov_b32 s73, exec_lo
	v_cmpx_ne_u32_e32 0, v6
	s_cbranch_execz .LBB6_4285
; %bb.4280:                             ;   in Loop: Header=BB6_3222 Depth=4
	v_bfe_u32 v21, v6, 23, 8
	v_and_b32_e32 v7, 0x7fffff, v6
	v_cmp_gt_u32_e64 s16, 0x71, v21
	v_sub_nc_u32_e32 v36, 0x70, v21
	v_cmp_eq_u32_e32 vcc_lo, 0, v21
	v_or_b32_e32 v37, 0x800000, v7
	v_cndmask_b32_e64 v36, 0, v36, s16
	v_cndmask_b32_e32 v7, v37, v7, vcc_lo
	v_cndmask_b32_e64 v36, v36, 0x6f, vcc_lo
	v_lshl_add_u32 v37, 0x200000, v36, -1
	v_lshlrev_b32_e64 v101, v36, 0x100000
	v_and_b32_e32 v37, v37, v7
	v_cmp_eq_u32_e64 s16, v37, v101
	v_lshrrev_b32_e32 v37, v36, v7
	v_add_nc_u32_e32 v7, 0xffffff91, v21
	v_lshrrev_b32_e32 v21, 23, v37
	v_cndmask_b32_e64 v7, v7, 0xffffff92, vcc_lo
	v_xor_b32_e32 v21, 1, v21
	v_add_nc_u32_e32 v7, v36, v7
	v_bfe_u32 v36, v37, 21, 1
	v_add_nc_u32_e32 v36, -1, v36
	v_cndmask_b32_e64 v36, 0, v36, s16
	s_mov_b32 s16, exec_lo
	v_add_nc_u32_e32 v36, v36, v37
	v_and_b32_e32 v36, 0x1fffff, v36
	v_add_nc_u32_e32 v36, v36, v37
                                        ; implicit-def: $vgpr37
	v_cmpx_ne_u32_e64 v7, v21
	s_xor_b32 s16, exec_lo, s16
; %bb.4281:                             ;   in Loop: Header=BB6_3222 Depth=4
	v_cmp_lt_u32_e32 vcc_lo, 0xffffff, v36
	v_sub_nc_u32_e32 v7, v7, v21
	v_cndmask_b32_e64 v21, 0, 1, vcc_lo
	v_add_co_ci_u32_e64 v37, null, 0, v7, vcc_lo
	v_lshrrev_b32_e32 v36, v21, v36
; %bb.4282:                             ;   in Loop: Header=BB6_3222 Depth=4
	s_andn2_saveexec_b32 s16, s16
; %bb.4283:                             ;   in Loop: Header=BB6_3222 Depth=4
	v_bfe_u32 v37, v36, 23, 1
; %bb.4284:                             ;   in Loop: Header=BB6_3222 Depth=4
	s_or_b32 exec_lo, exec_lo, s16
	v_lshrrev_b32_e32 v7, 21, v36
	v_min_i32_e32 v21, 31, v37
	v_cmp_gt_i32_e32 vcc_lo, 32, v37
	v_and_b32_sdwa v6, v6, v117 dst_sel:DWORD dst_unused:UNUSED_PAD src0_sel:BYTE_3 src1_sel:DWORD
	v_lshlrev_b32_e32 v21, 2, v21
	v_cndmask_b32_e32 v7, 3, v7, vcc_lo
	v_and_b32_e32 v21, 0xfc, v21
	v_or_b32_e32 v36, v37, v7
	v_and_b32_e32 v7, 3, v7
	v_cmp_ne_u32_e32 vcc_lo, 0, v36
	v_or3_b32 v6, v6, v21, v7
	v_lshlrev_b32_e32 v6, 8, v6
	v_cndmask_b32_e32 v21, 0, v6, vcc_lo
.LBB6_4285:                             ;   in Loop: Header=BB6_3222 Depth=4
	s_or_b32 exec_lo, exec_lo, s73
.LBB6_4286:                             ;   in Loop: Header=BB6_3222 Depth=4
	s_or_b32 exec_lo, exec_lo, s72
	v_or_b32_e32 v6, v124, v121
	s_mov_b32 s72, 0
	v_cmp_gt_i16_sdwa s16, v6, v116 src0_sel:BYTE_0 src1_sel:DWORD
	s_and_saveexec_b32 s73, s16
	s_xor_b32 s16, exec_lo, s73
	s_cbranch_execz .LBB6_5564
; %bb.4287:                             ;   in Loop: Header=BB6_3222 Depth=4
	v_cmp_eq_u16_sdwa s74, v6, v117 src0_sel:BYTE_0 src1_sel:DWORD
	s_mov_b32 s72, -1
	s_and_saveexec_b32 s73, s74
; %bb.4288:                             ;   in Loop: Header=BB6_3222 Depth=4
	s_xor_b32 s72, exec_lo, -1
; %bb.4289:                             ;   in Loop: Header=BB6_3222 Depth=4
	s_or_b32 exec_lo, exec_lo, s73
	s_and_b32 s72, s72, exec_lo
	s_or_saveexec_b32 s16, s16
	v_mov_b32_e32 v7, 0x7f800001
	s_xor_b32 exec_lo, exec_lo, s16
	s_cbranch_execnz .LBB6_5565
.LBB6_4290:                             ;   in Loop: Header=BB6_3222 Depth=4
	s_or_b32 exec_lo, exec_lo, s16
	s_and_saveexec_b32 s16, s72
	s_cbranch_execz .LBB6_4292
.LBB6_4291:                             ;   in Loop: Header=BB6_3222 Depth=4
	v_and_b32_e32 v7, 3, v6
	v_bfe_u32 v36, v6, 2, 5
	v_ffbh_u32_e32 v37, v7
	v_cmp_eq_u32_e32 vcc_lo, 0, v36
	v_min_u32_e32 v37, 32, v37
	v_subrev_nc_u32_e32 v101, 29, v37
	v_sub_nc_u32_e32 v37, 30, v37
	v_lshlrev_b32_e32 v101, v101, v6
	v_cndmask_b32_e32 v36, v36, v37, vcc_lo
	v_lshlrev_b32_e32 v37, 24, v6
	v_and_b32_e32 v101, 3, v101
	v_lshl_add_u32 v36, v36, 23, 0x37800000
	v_and_b32_e32 v37, 0x80000000, v37
	v_cndmask_b32_e32 v7, v7, v101, vcc_lo
	v_lshlrev_b32_e32 v7, 21, v7
	v_or3_b32 v7, v37, v36, v7
.LBB6_4292:                             ;   in Loop: Header=BB6_3222 Depth=4
	s_or_b32 exec_lo, exec_lo, s16
	v_cmp_gt_i16_sdwa s16, v22, v116 src0_sel:BYTE_0 src1_sel:DWORD
	s_mov_b32 s72, 0
	s_and_saveexec_b32 s73, s16
	s_xor_b32 s16, exec_lo, s73
	s_cbranch_execz .LBB6_5566
; %bb.4293:                             ;   in Loop: Header=BB6_3222 Depth=4
	v_cmp_eq_u16_sdwa s74, v22, v117 src0_sel:BYTE_0 src1_sel:DWORD
	s_mov_b32 s72, -1
	s_and_saveexec_b32 s73, s74
; %bb.4294:                             ;   in Loop: Header=BB6_3222 Depth=4
	s_xor_b32 s72, exec_lo, -1
; %bb.4295:                             ;   in Loop: Header=BB6_3222 Depth=4
	s_or_b32 exec_lo, exec_lo, s73
	s_and_b32 s72, s72, exec_lo
	s_or_saveexec_b32 s16, s16
	v_mov_b32_e32 v36, 0x7f800001
	s_xor_b32 exec_lo, exec_lo, s16
	s_cbranch_execnz .LBB6_5567
.LBB6_4296:                             ;   in Loop: Header=BB6_3222 Depth=4
	s_or_b32 exec_lo, exec_lo, s16
	s_and_saveexec_b32 s16, s72
	s_cbranch_execz .LBB6_4298
.LBB6_4297:                             ;   in Loop: Header=BB6_3222 Depth=4
	v_and_b32_e32 v36, 3, v22
	v_bfe_u32 v37, v22, 2, 5
	v_ffbh_u32_e32 v101, v36
	v_cmp_eq_u32_e32 vcc_lo, 0, v37
	v_min_u32_e32 v101, 32, v101
	v_subrev_nc_u32_e32 v115, 29, v101
	v_sub_nc_u32_e32 v101, 30, v101
	v_lshlrev_b32_e32 v115, v115, v22
	v_cndmask_b32_e32 v37, v37, v101, vcc_lo
	v_lshlrev_b32_e32 v101, 24, v22
	v_and_b32_e32 v115, 3, v115
	v_lshl_add_u32 v37, v37, 23, 0x37800000
	v_and_b32_e32 v101, 0x80000000, v101
	v_cndmask_b32_e32 v36, v36, v115, vcc_lo
	v_lshlrev_b32_e32 v36, 21, v36
	v_or3_b32 v36, v101, v37, v36
.LBB6_4298:                             ;   in Loop: Header=BB6_3222 Depth=4
	s_or_b32 exec_lo, exec_lo, s16
	v_add_f32_e32 v7, v7, v36
	v_mov_b32_e32 v121, 0x80
	s_mov_b32 s72, exec_lo
	v_and_b32_e32 v36, 0x7f800000, v7
	v_cmpx_ne_u32_e32 0x7f800000, v36
	s_cbranch_execz .LBB6_4306
; %bb.4299:                             ;   in Loop: Header=BB6_3222 Depth=4
	v_mov_b32_e32 v121, 0
	s_mov_b32 s73, exec_lo
	v_cmpx_ne_u32_e32 0, v7
	s_cbranch_execz .LBB6_4305
; %bb.4300:                             ;   in Loop: Header=BB6_3222 Depth=4
	v_bfe_u32 v37, v7, 23, 8
	v_and_b32_e32 v36, 0x7fffff, v7
	v_cmp_gt_u32_e64 s16, 0x71, v37
	v_sub_nc_u32_e32 v101, 0x70, v37
	v_cmp_eq_u32_e32 vcc_lo, 0, v37
	v_or_b32_e32 v115, 0x800000, v36
	v_cndmask_b32_e64 v101, 0, v101, s16
	v_cndmask_b32_e32 v36, v115, v36, vcc_lo
	v_cndmask_b32_e64 v101, v101, 0x6f, vcc_lo
	v_lshl_add_u32 v115, 0x200000, v101, -1
	v_lshlrev_b32_e64 v42, v101, 0x100000
	v_and_b32_e32 v115, v115, v36
	v_cmp_eq_u32_e64 s16, v115, v42
	v_lshrrev_b32_e32 v115, v101, v36
	v_add_nc_u32_e32 v36, 0xffffff91, v37
	v_lshrrev_b32_e32 v37, 23, v115
	v_cndmask_b32_e64 v36, v36, 0xffffff92, vcc_lo
	v_xor_b32_e32 v37, 1, v37
	v_add_nc_u32_e32 v36, v101, v36
	v_bfe_u32 v101, v115, 21, 1
	v_add_nc_u32_e32 v101, -1, v101
	v_cndmask_b32_e64 v101, 0, v101, s16
	s_mov_b32 s16, exec_lo
	v_add_nc_u32_e32 v101, v101, v115
	v_and_b32_e32 v101, 0x1fffff, v101
	v_add_nc_u32_e32 v101, v101, v115
                                        ; implicit-def: $vgpr115
	v_cmpx_ne_u32_e64 v36, v37
	s_xor_b32 s16, exec_lo, s16
; %bb.4301:                             ;   in Loop: Header=BB6_3222 Depth=4
	v_cmp_lt_u32_e32 vcc_lo, 0xffffff, v101
	v_sub_nc_u32_e32 v36, v36, v37
	v_cndmask_b32_e64 v37, 0, 1, vcc_lo
	v_add_co_ci_u32_e64 v115, null, 0, v36, vcc_lo
	v_lshrrev_b32_e32 v101, v37, v101
; %bb.4302:                             ;   in Loop: Header=BB6_3222 Depth=4
	s_andn2_saveexec_b32 s16, s16
; %bb.4303:                             ;   in Loop: Header=BB6_3222 Depth=4
	v_bfe_u32 v115, v101, 23, 1
; %bb.4304:                             ;   in Loop: Header=BB6_3222 Depth=4
	s_or_b32 exec_lo, exec_lo, s16
	v_lshrrev_b32_e32 v36, 21, v101
	v_min_i32_e32 v37, 31, v115
	v_cmp_gt_i32_e32 vcc_lo, 32, v115
	v_and_b32_sdwa v7, v7, v117 dst_sel:DWORD dst_unused:UNUSED_PAD src0_sel:BYTE_3 src1_sel:DWORD
	v_lshlrev_b32_e32 v37, 2, v37
	v_cndmask_b32_e32 v36, 3, v36, vcc_lo
	v_and_b32_e32 v37, 0xfc, v37
	v_or_b32_e32 v101, v115, v36
	v_and_b32_e32 v36, 3, v36
	v_cmp_ne_u32_e32 vcc_lo, 0, v101
	v_or3_b32 v7, v37, v7, v36
	v_cndmask_b32_e32 v121, 0, v7, vcc_lo
.LBB6_4305:                             ;   in Loop: Header=BB6_3222 Depth=4
	s_or_b32 exec_lo, exec_lo, s73
.LBB6_4306:                             ;   in Loop: Header=BB6_3222 Depth=4
	s_or_b32 exec_lo, exec_lo, s72
	v_cmp_gt_i16_sdwa s16, v6, v116 src0_sel:BYTE_1 src1_sel:DWORD
	s_mov_b32 s72, 0
	s_and_saveexec_b32 s73, s16
	s_xor_b32 s16, exec_lo, s73
	s_cbranch_execz .LBB6_5568
; %bb.4307:                             ;   in Loop: Header=BB6_3222 Depth=4
	v_cmp_eq_u16_sdwa s74, v6, v117 src0_sel:BYTE_1 src1_sel:DWORD
	s_mov_b32 s72, -1
	s_and_saveexec_b32 s73, s74
; %bb.4308:                             ;   in Loop: Header=BB6_3222 Depth=4
	s_xor_b32 s72, exec_lo, -1
; %bb.4309:                             ;   in Loop: Header=BB6_3222 Depth=4
	s_or_b32 exec_lo, exec_lo, s73
	s_and_b32 s72, s72, exec_lo
	s_or_saveexec_b32 s16, s16
	v_mov_b32_e32 v7, 0x7f800001
	s_xor_b32 exec_lo, exec_lo, s16
	s_cbranch_execnz .LBB6_5569
.LBB6_4310:                             ;   in Loop: Header=BB6_3222 Depth=4
	s_or_b32 exec_lo, exec_lo, s16
	s_and_saveexec_b32 s16, s72
	s_cbranch_execz .LBB6_4312
.LBB6_4311:                             ;   in Loop: Header=BB6_3222 Depth=4
	v_and_b32_sdwa v7, v118, v6 dst_sel:DWORD dst_unused:UNUSED_PAD src0_sel:DWORD src1_sel:BYTE_1
	v_and_b32_e32 v36, 3, v7
	v_bfe_u32 v115, v7, 2, 5
	v_ffbh_u32_e32 v37, v36
	v_cmp_eq_u32_e32 vcc_lo, 0, v115
	v_min_u32_e32 v37, 32, v37
	v_subrev_nc_u32_e32 v101, 29, v37
	v_sub_nc_u32_e32 v37, 30, v37
	v_lshlrev_b32_e32 v7, v101, v7
	v_lshlrev_b32_sdwa v101, v119, v6 dst_sel:DWORD dst_unused:UNUSED_PAD src0_sel:DWORD src1_sel:BYTE_1
	v_cndmask_b32_e32 v37, v115, v37, vcc_lo
	v_and_b32_e32 v7, 3, v7
	v_lshl_add_u32 v37, v37, 23, 0x37800000
	v_cndmask_b32_e32 v7, v36, v7, vcc_lo
	v_and_b32_e32 v36, 0x80000000, v101
	v_lshlrev_b32_e32 v7, 21, v7
	v_or3_b32 v7, v36, v37, v7
.LBB6_4312:                             ;   in Loop: Header=BB6_3222 Depth=4
	s_or_b32 exec_lo, exec_lo, s16
	v_cmp_gt_i16_sdwa s16, v22, v116 src0_sel:BYTE_1 src1_sel:DWORD
	s_mov_b32 s72, 0
	s_and_saveexec_b32 s73, s16
	s_xor_b32 s16, exec_lo, s73
	s_cbranch_execz .LBB6_5570
; %bb.4313:                             ;   in Loop: Header=BB6_3222 Depth=4
	v_cmp_eq_u16_sdwa s74, v22, v117 src0_sel:BYTE_1 src1_sel:DWORD
	s_mov_b32 s72, -1
	s_and_saveexec_b32 s73, s74
; %bb.4314:                             ;   in Loop: Header=BB6_3222 Depth=4
	s_xor_b32 s72, exec_lo, -1
; %bb.4315:                             ;   in Loop: Header=BB6_3222 Depth=4
	s_or_b32 exec_lo, exec_lo, s73
	s_and_b32 s72, s72, exec_lo
	s_or_saveexec_b32 s16, s16
	v_mov_b32_e32 v36, 0x7f800001
	s_xor_b32 exec_lo, exec_lo, s16
	s_cbranch_execnz .LBB6_5571
.LBB6_4316:                             ;   in Loop: Header=BB6_3222 Depth=4
	s_or_b32 exec_lo, exec_lo, s16
	s_and_saveexec_b32 s16, s72
	s_cbranch_execz .LBB6_4318
.LBB6_4317:                             ;   in Loop: Header=BB6_3222 Depth=4
	v_and_b32_sdwa v36, v118, v22 dst_sel:DWORD dst_unused:UNUSED_PAD src0_sel:DWORD src1_sel:BYTE_1
	v_and_b32_e32 v37, 3, v36
	v_bfe_u32 v42, v36, 2, 5
	v_ffbh_u32_e32 v101, v37
	v_cmp_eq_u32_e32 vcc_lo, 0, v42
	v_min_u32_e32 v101, 32, v101
	v_subrev_nc_u32_e32 v115, 29, v101
	v_sub_nc_u32_e32 v101, 30, v101
	v_lshlrev_b32_e32 v36, v115, v36
	v_lshlrev_b32_sdwa v115, v119, v22 dst_sel:DWORD dst_unused:UNUSED_PAD src0_sel:DWORD src1_sel:BYTE_1
	v_cndmask_b32_e32 v101, v42, v101, vcc_lo
	v_and_b32_e32 v36, 3, v36
	v_lshl_add_u32 v101, v101, 23, 0x37800000
	v_cndmask_b32_e32 v36, v37, v36, vcc_lo
	v_and_b32_e32 v37, 0x80000000, v115
	v_lshlrev_b32_e32 v36, 21, v36
	v_or3_b32 v36, v37, v101, v36
.LBB6_4318:                             ;   in Loop: Header=BB6_3222 Depth=4
	s_or_b32 exec_lo, exec_lo, s16
	v_add_f32_e32 v7, v7, v36
	v_mov_b32_e32 v124, 0x8000
	s_mov_b32 s72, exec_lo
	v_and_b32_e32 v36, 0x7f800000, v7
	v_cmpx_ne_u32_e32 0x7f800000, v36
	s_cbranch_execz .LBB6_4326
; %bb.4319:                             ;   in Loop: Header=BB6_3222 Depth=4
	v_mov_b32_e32 v124, 0
	s_mov_b32 s73, exec_lo
	v_cmpx_ne_u32_e32 0, v7
	s_cbranch_execz .LBB6_4325
; %bb.4320:                             ;   in Loop: Header=BB6_3222 Depth=4
	v_bfe_u32 v37, v7, 23, 8
	v_and_b32_e32 v36, 0x7fffff, v7
	v_cmp_gt_u32_e64 s16, 0x71, v37
	v_sub_nc_u32_e32 v101, 0x70, v37
	v_cmp_eq_u32_e32 vcc_lo, 0, v37
	v_or_b32_e32 v115, 0x800000, v36
	v_cndmask_b32_e64 v101, 0, v101, s16
	v_cndmask_b32_e32 v36, v115, v36, vcc_lo
	v_cndmask_b32_e64 v101, v101, 0x6f, vcc_lo
	v_lshl_add_u32 v115, 0x200000, v101, -1
	v_lshlrev_b32_e64 v42, v101, 0x100000
	v_and_b32_e32 v115, v115, v36
	v_cmp_eq_u32_e64 s16, v115, v42
	v_lshrrev_b32_e32 v115, v101, v36
	v_add_nc_u32_e32 v36, 0xffffff91, v37
	v_lshrrev_b32_e32 v37, 23, v115
	v_cndmask_b32_e64 v36, v36, 0xffffff92, vcc_lo
	v_xor_b32_e32 v37, 1, v37
	v_add_nc_u32_e32 v36, v101, v36
	v_bfe_u32 v101, v115, 21, 1
	v_add_nc_u32_e32 v101, -1, v101
	v_cndmask_b32_e64 v101, 0, v101, s16
	s_mov_b32 s16, exec_lo
	v_add_nc_u32_e32 v101, v101, v115
	v_and_b32_e32 v101, 0x1fffff, v101
	v_add_nc_u32_e32 v101, v101, v115
                                        ; implicit-def: $vgpr115
	v_cmpx_ne_u32_e64 v36, v37
	s_xor_b32 s16, exec_lo, s16
; %bb.4321:                             ;   in Loop: Header=BB6_3222 Depth=4
	v_cmp_lt_u32_e32 vcc_lo, 0xffffff, v101
	v_sub_nc_u32_e32 v36, v36, v37
	v_cndmask_b32_e64 v37, 0, 1, vcc_lo
	v_add_co_ci_u32_e64 v115, null, 0, v36, vcc_lo
	v_lshrrev_b32_e32 v101, v37, v101
; %bb.4322:                             ;   in Loop: Header=BB6_3222 Depth=4
	s_andn2_saveexec_b32 s16, s16
; %bb.4323:                             ;   in Loop: Header=BB6_3222 Depth=4
	v_bfe_u32 v115, v101, 23, 1
; %bb.4324:                             ;   in Loop: Header=BB6_3222 Depth=4
	s_or_b32 exec_lo, exec_lo, s16
	v_lshrrev_b32_e32 v36, 21, v101
	v_min_i32_e32 v37, 31, v115
	v_cmp_gt_i32_e32 vcc_lo, 32, v115
	v_and_b32_sdwa v7, v7, v117 dst_sel:DWORD dst_unused:UNUSED_PAD src0_sel:BYTE_3 src1_sel:DWORD
	v_lshlrev_b32_e32 v37, 2, v37
	v_cndmask_b32_e32 v36, 3, v36, vcc_lo
	v_and_b32_e32 v37, 0xfc, v37
	v_or_b32_e32 v101, v115, v36
	v_and_b32_e32 v36, 3, v36
	v_cmp_ne_u32_e32 vcc_lo, 0, v101
	v_or3_b32 v7, v7, v37, v36
	v_lshlrev_b32_e32 v7, 8, v7
	v_cndmask_b32_e32 v124, 0, v7, vcc_lo
.LBB6_4325:                             ;   in Loop: Header=BB6_3222 Depth=4
	s_or_b32 exec_lo, exec_lo, s73
.LBB6_4326:                             ;   in Loop: Header=BB6_3222 Depth=4
	s_or_b32 exec_lo, exec_lo, s72
	v_or_b32_e32 v36, v63, v66
	s_mov_b32 s72, 0
	v_cmp_gt_i16_sdwa s16, v36, v116 src0_sel:BYTE_0 src1_sel:DWORD
	s_and_saveexec_b32 s73, s16
	s_xor_b32 s16, exec_lo, s73
	s_cbranch_execz .LBB6_5572
; %bb.4327:                             ;   in Loop: Header=BB6_3222 Depth=4
	v_cmp_eq_u16_sdwa s74, v36, v117 src0_sel:BYTE_0 src1_sel:DWORD
	s_mov_b32 s72, -1
	s_and_saveexec_b32 s73, s74
; %bb.4328:                             ;   in Loop: Header=BB6_3222 Depth=4
	s_xor_b32 s72, exec_lo, -1
; %bb.4329:                             ;   in Loop: Header=BB6_3222 Depth=4
	s_or_b32 exec_lo, exec_lo, s73
	s_and_b32 s72, s72, exec_lo
	s_or_saveexec_b32 s16, s16
	v_mov_b32_e32 v7, 0x7f800001
	s_xor_b32 exec_lo, exec_lo, s16
	s_cbranch_execnz .LBB6_5573
.LBB6_4330:                             ;   in Loop: Header=BB6_3222 Depth=4
	s_or_b32 exec_lo, exec_lo, s16
	v_lshl_or_b32 v6, v36, 16, v6
	s_and_saveexec_b32 s16, s72
	s_cbranch_execz .LBB6_4332
.LBB6_4331:                             ;   in Loop: Header=BB6_3222 Depth=4
	v_bfe_u32 v7, v6, 16, 2
	v_bfe_u32 v36, v6, 18, 5
	v_ffbh_u32_e32 v37, v7
	v_cmp_eq_u32_e32 vcc_lo, 0, v36
	v_min_u32_e32 v37, 32, v37
	v_subrev_nc_u32_e32 v66, 29, v37
	v_sub_nc_u32_e32 v37, 30, v37
	v_lshlrev_b32_sdwa v66, v66, v6 dst_sel:DWORD dst_unused:UNUSED_PAD src0_sel:DWORD src1_sel:WORD_1
	v_cndmask_b32_e32 v36, v36, v37, vcc_lo
	v_lshlrev_b32_e32 v37, 8, v6
	v_and_b32_e32 v66, 3, v66
	v_lshl_add_u32 v36, v36, 23, 0x37800000
	v_and_b32_e32 v37, 0x80000000, v37
	v_cndmask_b32_e32 v7, v7, v66, vcc_lo
	v_lshlrev_b32_e32 v7, 21, v7
	v_or3_b32 v7, v37, v36, v7
.LBB6_4332:                             ;   in Loop: Header=BB6_3222 Depth=4
	s_or_b32 exec_lo, exec_lo, s16
	v_and_b32_sdwa v37, v22, v40 dst_sel:DWORD dst_unused:UNUSED_PAD src0_sel:WORD_1 src1_sel:DWORD
	s_mov_b32 s72, 0
	s_mov_b32 s16, exec_lo
	v_cmpx_lt_i16_e32 0x7f, v37
	s_xor_b32 s16, exec_lo, s16
	s_cbranch_execz .LBB6_5574
; %bb.4333:                             ;   in Loop: Header=BB6_3222 Depth=4
	s_mov_b32 s72, -1
	s_mov_b32 s73, exec_lo
	v_cmpx_eq_u16_e32 0x80, v37
; %bb.4334:                             ;   in Loop: Header=BB6_3222 Depth=4
	s_xor_b32 s72, exec_lo, -1
; %bb.4335:                             ;   in Loop: Header=BB6_3222 Depth=4
	s_or_b32 exec_lo, exec_lo, s73
	s_and_b32 s72, s72, exec_lo
                                        ; implicit-def: $vgpr37
	s_or_saveexec_b32 s16, s16
	v_mov_b32_e32 v36, 0x7f800001
	s_xor_b32 exec_lo, exec_lo, s16
	s_cbranch_execnz .LBB6_5575
.LBB6_4336:                             ;   in Loop: Header=BB6_3222 Depth=4
	s_or_b32 exec_lo, exec_lo, s16
	s_and_saveexec_b32 s16, s72
	s_cbranch_execz .LBB6_4338
.LBB6_4337:                             ;   in Loop: Header=BB6_3222 Depth=4
	v_bfe_u32 v36, v22, 16, 2
	v_bfe_u32 v37, v22, 18, 5
	v_ffbh_u32_e32 v66, v36
	v_cmp_eq_u32_e32 vcc_lo, 0, v37
	v_min_u32_e32 v66, 32, v66
	v_subrev_nc_u32_e32 v101, 29, v66
	v_sub_nc_u32_e32 v66, 30, v66
	v_lshlrev_b32_sdwa v101, v101, v22 dst_sel:DWORD dst_unused:UNUSED_PAD src0_sel:DWORD src1_sel:WORD_1
	v_cndmask_b32_e32 v37, v37, v66, vcc_lo
	v_lshlrev_b32_e32 v66, 8, v22
	v_and_b32_e32 v101, 3, v101
	v_lshl_add_u32 v37, v37, 23, 0x37800000
	v_and_b32_e32 v66, 0x80000000, v66
	v_cndmask_b32_e32 v36, v36, v101, vcc_lo
	v_lshlrev_b32_e32 v36, 21, v36
	v_or3_b32 v36, v66, v37, v36
.LBB6_4338:                             ;   in Loop: Header=BB6_3222 Depth=4
	s_or_b32 exec_lo, exec_lo, s16
	v_add_f32_e32 v7, v7, v36
	v_mov_b32_e32 v66, 0x80
	s_mov_b32 s72, exec_lo
	v_and_b32_e32 v36, 0x7f800000, v7
	v_cmpx_ne_u32_e32 0x7f800000, v36
	s_cbranch_execz .LBB6_4346
; %bb.4339:                             ;   in Loop: Header=BB6_3222 Depth=4
	v_mov_b32_e32 v66, 0
	s_mov_b32 s73, exec_lo
	v_cmpx_ne_u32_e32 0, v7
	s_cbranch_execz .LBB6_4345
; %bb.4340:                             ;   in Loop: Header=BB6_3222 Depth=4
	v_bfe_u32 v37, v7, 23, 8
	v_and_b32_e32 v36, 0x7fffff, v7
	v_cmp_gt_u32_e64 s16, 0x71, v37
	v_sub_nc_u32_e32 v66, 0x70, v37
	v_cmp_eq_u32_e32 vcc_lo, 0, v37
	v_or_b32_e32 v101, 0x800000, v36
	v_cndmask_b32_e64 v66, 0, v66, s16
	v_cndmask_b32_e32 v36, v101, v36, vcc_lo
	v_cndmask_b32_e64 v66, v66, 0x6f, vcc_lo
	v_lshl_add_u32 v101, 0x200000, v66, -1
	v_lshlrev_b32_e64 v115, v66, 0x100000
	v_and_b32_e32 v101, v101, v36
	v_cmp_eq_u32_e64 s16, v101, v115
	v_lshrrev_b32_e32 v101, v66, v36
	v_add_nc_u32_e32 v36, 0xffffff91, v37
	v_lshrrev_b32_e32 v37, 23, v101
	v_cndmask_b32_e64 v36, v36, 0xffffff92, vcc_lo
	v_xor_b32_e32 v37, 1, v37
	v_add_nc_u32_e32 v36, v66, v36
	v_bfe_u32 v66, v101, 21, 1
	v_add_nc_u32_e32 v66, -1, v66
	v_cndmask_b32_e64 v66, 0, v66, s16
	s_mov_b32 s16, exec_lo
	v_add_nc_u32_e32 v66, v66, v101
	v_and_b32_e32 v66, 0x1fffff, v66
	v_add_nc_u32_e32 v66, v66, v101
                                        ; implicit-def: $vgpr101
	v_cmpx_ne_u32_e64 v36, v37
	s_xor_b32 s16, exec_lo, s16
; %bb.4341:                             ;   in Loop: Header=BB6_3222 Depth=4
	v_cmp_lt_u32_e32 vcc_lo, 0xffffff, v66
	v_sub_nc_u32_e32 v36, v36, v37
	v_cndmask_b32_e64 v37, 0, 1, vcc_lo
	v_add_co_ci_u32_e64 v101, null, 0, v36, vcc_lo
	v_lshrrev_b32_e32 v66, v37, v66
; %bb.4342:                             ;   in Loop: Header=BB6_3222 Depth=4
	s_andn2_saveexec_b32 s16, s16
; %bb.4343:                             ;   in Loop: Header=BB6_3222 Depth=4
	v_bfe_u32 v101, v66, 23, 1
; %bb.4344:                             ;   in Loop: Header=BB6_3222 Depth=4
	s_or_b32 exec_lo, exec_lo, s16
	v_lshrrev_b32_e32 v36, 21, v66
	v_min_i32_e32 v37, 31, v101
	v_cmp_gt_i32_e32 vcc_lo, 32, v101
	v_and_b32_sdwa v7, v7, v117 dst_sel:DWORD dst_unused:UNUSED_PAD src0_sel:BYTE_3 src1_sel:DWORD
	v_lshlrev_b32_e32 v37, 2, v37
	v_cndmask_b32_e32 v36, 3, v36, vcc_lo
	v_and_b32_e32 v37, 0xfc, v37
	v_or_b32_e32 v66, v101, v36
	v_and_b32_e32 v36, 3, v36
	v_cmp_ne_u32_e32 vcc_lo, 0, v66
	v_or3_b32 v7, v37, v7, v36
	v_cndmask_b32_e32 v66, 0, v7, vcc_lo
.LBB6_4345:                             ;   in Loop: Header=BB6_3222 Depth=4
	s_or_b32 exec_lo, exec_lo, s73
.LBB6_4346:                             ;   in Loop: Header=BB6_3222 Depth=4
	s_or_b32 exec_lo, exec_lo, s72
	v_cmp_gt_i16_sdwa s16, v6, v116 src0_sel:BYTE_3 src1_sel:DWORD
	s_mov_b32 s72, 0
	s_and_saveexec_b32 s73, s16
	s_xor_b32 s16, exec_lo, s73
	s_cbranch_execz .LBB6_5576
; %bb.4347:                             ;   in Loop: Header=BB6_3222 Depth=4
	v_cmp_eq_u16_sdwa s74, v6, v117 src0_sel:BYTE_3 src1_sel:DWORD
	s_mov_b32 s72, -1
	s_and_saveexec_b32 s73, s74
; %bb.4348:                             ;   in Loop: Header=BB6_3222 Depth=4
	s_xor_b32 s72, exec_lo, -1
; %bb.4349:                             ;   in Loop: Header=BB6_3222 Depth=4
	s_or_b32 exec_lo, exec_lo, s73
	s_and_b32 s72, s72, exec_lo
	s_or_saveexec_b32 s16, s16
	v_mov_b32_e32 v7, 0x7f800001
	s_xor_b32 exec_lo, exec_lo, s16
	s_cbranch_execnz .LBB6_5577
.LBB6_4350:                             ;   in Loop: Header=BB6_3222 Depth=4
	s_or_b32 exec_lo, exec_lo, s16
	s_and_saveexec_b32 s16, s72
	s_cbranch_execz .LBB6_4352
.LBB6_4351:                             ;   in Loop: Header=BB6_3222 Depth=4
	v_bfe_u32 v7, v6, 24, 2
	v_bfe_u32 v101, v6, 26, 5
	v_ffbh_u32_e32 v36, v7
	v_cmp_eq_u32_e32 vcc_lo, 0, v101
	v_min_u32_e32 v36, 32, v36
	v_subrev_nc_u32_e32 v37, 29, v36
	v_sub_nc_u32_e32 v36, 30, v36
	v_lshlrev_b32_sdwa v37, v37, v6 dst_sel:DWORD dst_unused:UNUSED_PAD src0_sel:DWORD src1_sel:BYTE_3
	v_cndmask_b32_e32 v36, v101, v36, vcc_lo
	v_and_b32_e32 v6, 0x80000000, v6
	v_and_b32_e32 v37, 3, v37
	v_lshl_add_u32 v36, v36, 23, 0x37800000
	v_cndmask_b32_e32 v7, v7, v37, vcc_lo
	v_lshlrev_b32_e32 v7, 21, v7
	v_or3_b32 v7, v6, v36, v7
.LBB6_4352:                             ;   in Loop: Header=BB6_3222 Depth=4
	s_or_b32 exec_lo, exec_lo, s16
	v_cmp_gt_i16_sdwa s16, v22, v116 src0_sel:BYTE_3 src1_sel:DWORD
	s_mov_b32 s72, 0
	s_and_saveexec_b32 s73, s16
	s_xor_b32 s16, exec_lo, s73
	s_cbranch_execz .LBB6_5578
; %bb.4353:                             ;   in Loop: Header=BB6_3222 Depth=4
	v_cmp_eq_u16_sdwa s74, v22, v117 src0_sel:BYTE_3 src1_sel:DWORD
	s_mov_b32 s72, -1
	s_and_saveexec_b32 s73, s74
; %bb.4354:                             ;   in Loop: Header=BB6_3222 Depth=4
	s_xor_b32 s72, exec_lo, -1
; %bb.4355:                             ;   in Loop: Header=BB6_3222 Depth=4
	s_or_b32 exec_lo, exec_lo, s73
	s_and_b32 s72, s72, exec_lo
	s_or_saveexec_b32 s16, s16
	v_mov_b32_e32 v6, 0x7f800001
	s_xor_b32 exec_lo, exec_lo, s16
	s_cbranch_execnz .LBB6_5579
.LBB6_4356:                             ;   in Loop: Header=BB6_3222 Depth=4
	s_or_b32 exec_lo, exec_lo, s16
	s_and_saveexec_b32 s16, s72
	s_cbranch_execz .LBB6_4358
.LBB6_4357:                             ;   in Loop: Header=BB6_3222 Depth=4
	v_bfe_u32 v6, v22, 24, 2
	v_bfe_u32 v101, v22, 26, 5
	v_ffbh_u32_e32 v36, v6
	v_cmp_eq_u32_e32 vcc_lo, 0, v101
	v_min_u32_e32 v36, 32, v36
	v_subrev_nc_u32_e32 v37, 29, v36
	v_sub_nc_u32_e32 v36, 30, v36
	v_lshlrev_b32_sdwa v37, v37, v22 dst_sel:DWORD dst_unused:UNUSED_PAD src0_sel:DWORD src1_sel:BYTE_3
	v_cndmask_b32_e32 v36, v101, v36, vcc_lo
	v_and_b32_e32 v22, 0x80000000, v22
	v_and_b32_e32 v37, 3, v37
	v_lshl_add_u32 v36, v36, 23, 0x37800000
	v_cndmask_b32_e32 v6, v6, v37, vcc_lo
	v_lshlrev_b32_e32 v6, 21, v6
	v_or3_b32 v6, v22, v36, v6
.LBB6_4358:                             ;   in Loop: Header=BB6_3222 Depth=4
	s_or_b32 exec_lo, exec_lo, s16
	v_add_f32_e32 v6, v7, v6
	v_mov_b32_e32 v22, 0x8000
	s_mov_b32 s72, exec_lo
	v_and_b32_e32 v7, 0x7f800000, v6
	v_cmpx_ne_u32_e32 0x7f800000, v7
	s_cbranch_execz .LBB6_4366
; %bb.4359:                             ;   in Loop: Header=BB6_3222 Depth=4
	v_mov_b32_e32 v22, 0
	s_mov_b32 s73, exec_lo
	v_cmpx_ne_u32_e32 0, v6
	s_cbranch_execz .LBB6_4365
; %bb.4360:                             ;   in Loop: Header=BB6_3222 Depth=4
	v_bfe_u32 v22, v6, 23, 8
	v_and_b32_e32 v7, 0x7fffff, v6
	v_cmp_gt_u32_e64 s16, 0x71, v22
	v_sub_nc_u32_e32 v36, 0x70, v22
	v_cmp_eq_u32_e32 vcc_lo, 0, v22
	v_or_b32_e32 v37, 0x800000, v7
	v_cndmask_b32_e64 v36, 0, v36, s16
	v_cndmask_b32_e32 v7, v37, v7, vcc_lo
	v_cndmask_b32_e64 v36, v36, 0x6f, vcc_lo
	v_lshl_add_u32 v37, 0x200000, v36, -1
	v_lshlrev_b32_e64 v101, v36, 0x100000
	v_and_b32_e32 v37, v37, v7
	v_cmp_eq_u32_e64 s16, v37, v101
	v_lshrrev_b32_e32 v37, v36, v7
	v_add_nc_u32_e32 v7, 0xffffff91, v22
	v_lshrrev_b32_e32 v22, 23, v37
	v_cndmask_b32_e64 v7, v7, 0xffffff92, vcc_lo
	v_xor_b32_e32 v22, 1, v22
	v_add_nc_u32_e32 v7, v36, v7
	v_bfe_u32 v36, v37, 21, 1
	v_add_nc_u32_e32 v36, -1, v36
	v_cndmask_b32_e64 v36, 0, v36, s16
	s_mov_b32 s16, exec_lo
	v_add_nc_u32_e32 v36, v36, v37
	v_and_b32_e32 v36, 0x1fffff, v36
	v_add_nc_u32_e32 v36, v36, v37
                                        ; implicit-def: $vgpr37
	v_cmpx_ne_u32_e64 v7, v22
	s_xor_b32 s16, exec_lo, s16
; %bb.4361:                             ;   in Loop: Header=BB6_3222 Depth=4
	v_cmp_lt_u32_e32 vcc_lo, 0xffffff, v36
	v_sub_nc_u32_e32 v7, v7, v22
	v_cndmask_b32_e64 v22, 0, 1, vcc_lo
	v_add_co_ci_u32_e64 v37, null, 0, v7, vcc_lo
	v_lshrrev_b32_e32 v36, v22, v36
; %bb.4362:                             ;   in Loop: Header=BB6_3222 Depth=4
	s_andn2_saveexec_b32 s16, s16
; %bb.4363:                             ;   in Loop: Header=BB6_3222 Depth=4
	v_bfe_u32 v37, v36, 23, 1
; %bb.4364:                             ;   in Loop: Header=BB6_3222 Depth=4
	s_or_b32 exec_lo, exec_lo, s16
	v_lshrrev_b32_e32 v7, 21, v36
	v_min_i32_e32 v22, 31, v37
	v_cmp_gt_i32_e32 vcc_lo, 32, v37
	v_and_b32_sdwa v6, v6, v117 dst_sel:DWORD dst_unused:UNUSED_PAD src0_sel:BYTE_3 src1_sel:DWORD
	v_lshlrev_b32_e32 v22, 2, v22
	v_cndmask_b32_e32 v7, 3, v7, vcc_lo
	v_and_b32_e32 v22, 0xfc, v22
	v_or_b32_e32 v36, v37, v7
	v_and_b32_e32 v7, 3, v7
	v_cmp_ne_u32_e32 vcc_lo, 0, v36
	v_or3_b32 v6, v6, v22, v7
	v_lshlrev_b32_e32 v6, 8, v6
	v_cndmask_b32_e32 v22, 0, v6, vcc_lo
.LBB6_4365:                             ;   in Loop: Header=BB6_3222 Depth=4
	s_or_b32 exec_lo, exec_lo, s73
.LBB6_4366:                             ;   in Loop: Header=BB6_3222 Depth=4
	s_or_b32 exec_lo, exec_lo, s72
	v_or_b32_e32 v6, v41, v54
	s_mov_b32 s72, 0
	v_cmp_gt_i16_sdwa s16, v6, v116 src0_sel:BYTE_0 src1_sel:DWORD
	s_and_saveexec_b32 s73, s16
	s_xor_b32 s16, exec_lo, s73
	s_cbranch_execz .LBB6_5580
; %bb.4367:                             ;   in Loop: Header=BB6_3222 Depth=4
	v_cmp_eq_u16_sdwa s74, v6, v117 src0_sel:BYTE_0 src1_sel:DWORD
	s_mov_b32 s72, -1
	s_and_saveexec_b32 s73, s74
; %bb.4368:                             ;   in Loop: Header=BB6_3222 Depth=4
	s_xor_b32 s72, exec_lo, -1
; %bb.4369:                             ;   in Loop: Header=BB6_3222 Depth=4
	s_or_b32 exec_lo, exec_lo, s73
	s_and_b32 s72, s72, exec_lo
	s_or_saveexec_b32 s16, s16
	v_mov_b32_e32 v7, 0x7f800001
	s_xor_b32 exec_lo, exec_lo, s16
	s_cbranch_execnz .LBB6_5581
.LBB6_4370:                             ;   in Loop: Header=BB6_3222 Depth=4
	s_or_b32 exec_lo, exec_lo, s16
	s_and_saveexec_b32 s16, s72
	s_cbranch_execz .LBB6_4372
.LBB6_4371:                             ;   in Loop: Header=BB6_3222 Depth=4
	v_and_b32_e32 v7, 3, v6
	v_bfe_u32 v36, v6, 2, 5
	v_ffbh_u32_e32 v37, v7
	v_cmp_eq_u32_e32 vcc_lo, 0, v36
	v_min_u32_e32 v37, 32, v37
	v_subrev_nc_u32_e32 v54, 29, v37
	v_sub_nc_u32_e32 v37, 30, v37
	v_lshlrev_b32_e32 v54, v54, v6
	v_cndmask_b32_e32 v36, v36, v37, vcc_lo
	v_lshlrev_b32_e32 v37, 24, v6
	v_and_b32_e32 v54, 3, v54
	v_lshl_add_u32 v36, v36, 23, 0x37800000
	v_and_b32_e32 v37, 0x80000000, v37
	v_cndmask_b32_e32 v7, v7, v54, vcc_lo
	v_lshlrev_b32_e32 v7, 21, v7
	v_or3_b32 v7, v37, v36, v7
.LBB6_4372:                             ;   in Loop: Header=BB6_3222 Depth=4
	s_or_b32 exec_lo, exec_lo, s16
	v_cmp_gt_i16_sdwa s16, v23, v116 src0_sel:BYTE_0 src1_sel:DWORD
	s_mov_b32 s72, 0
	s_and_saveexec_b32 s73, s16
	s_xor_b32 s16, exec_lo, s73
	s_cbranch_execz .LBB6_5582
; %bb.4373:                             ;   in Loop: Header=BB6_3222 Depth=4
	v_cmp_eq_u16_sdwa s74, v23, v117 src0_sel:BYTE_0 src1_sel:DWORD
	s_mov_b32 s72, -1
	s_and_saveexec_b32 s73, s74
; %bb.4374:                             ;   in Loop: Header=BB6_3222 Depth=4
	s_xor_b32 s72, exec_lo, -1
; %bb.4375:                             ;   in Loop: Header=BB6_3222 Depth=4
	s_or_b32 exec_lo, exec_lo, s73
	s_and_b32 s72, s72, exec_lo
	s_or_saveexec_b32 s16, s16
	v_mov_b32_e32 v36, 0x7f800001
	s_xor_b32 exec_lo, exec_lo, s16
	s_cbranch_execnz .LBB6_5583
.LBB6_4376:                             ;   in Loop: Header=BB6_3222 Depth=4
	s_or_b32 exec_lo, exec_lo, s16
	s_and_saveexec_b32 s16, s72
	s_cbranch_execz .LBB6_4378
.LBB6_4377:                             ;   in Loop: Header=BB6_3222 Depth=4
	v_and_b32_e32 v36, 3, v23
	v_bfe_u32 v37, v23, 2, 5
	v_ffbh_u32_e32 v54, v36
	v_cmp_eq_u32_e32 vcc_lo, 0, v37
	v_min_u32_e32 v54, 32, v54
	v_subrev_nc_u32_e32 v101, 29, v54
	v_sub_nc_u32_e32 v54, 30, v54
	v_lshlrev_b32_e32 v101, v101, v23
	v_cndmask_b32_e32 v37, v37, v54, vcc_lo
	v_lshlrev_b32_e32 v54, 24, v23
	v_and_b32_e32 v101, 3, v101
	v_lshl_add_u32 v37, v37, 23, 0x37800000
	v_and_b32_e32 v54, 0x80000000, v54
	v_cndmask_b32_e32 v36, v36, v101, vcc_lo
	v_lshlrev_b32_e32 v36, 21, v36
	v_or3_b32 v36, v54, v37, v36
.LBB6_4378:                             ;   in Loop: Header=BB6_3222 Depth=4
	s_or_b32 exec_lo, exec_lo, s16
	v_add_f32_e32 v7, v7, v36
	v_mov_b32_e32 v41, 0x80
	s_mov_b32 s72, exec_lo
	v_and_b32_e32 v36, 0x7f800000, v7
	v_cmpx_ne_u32_e32 0x7f800000, v36
	s_cbranch_execz .LBB6_4386
; %bb.4379:                             ;   in Loop: Header=BB6_3222 Depth=4
	v_mov_b32_e32 v41, 0
	s_mov_b32 s73, exec_lo
	v_cmpx_ne_u32_e32 0, v7
	s_cbranch_execz .LBB6_4385
; %bb.4380:                             ;   in Loop: Header=BB6_3222 Depth=4
	v_bfe_u32 v37, v7, 23, 8
	v_and_b32_e32 v36, 0x7fffff, v7
	v_cmp_gt_u32_e64 s16, 0x71, v37
	v_sub_nc_u32_e32 v54, 0x70, v37
	v_cmp_eq_u32_e32 vcc_lo, 0, v37
	v_or_b32_e32 v101, 0x800000, v36
	v_cndmask_b32_e64 v54, 0, v54, s16
	v_cndmask_b32_e32 v36, v101, v36, vcc_lo
	v_cndmask_b32_e64 v54, v54, 0x6f, vcc_lo
	v_lshl_add_u32 v101, 0x200000, v54, -1
	v_lshlrev_b32_e64 v115, v54, 0x100000
	v_and_b32_e32 v101, v101, v36
	v_cmp_eq_u32_e64 s16, v101, v115
	v_lshrrev_b32_e32 v101, v54, v36
	v_add_nc_u32_e32 v36, 0xffffff91, v37
	v_lshrrev_b32_e32 v37, 23, v101
	v_cndmask_b32_e64 v36, v36, 0xffffff92, vcc_lo
	v_xor_b32_e32 v37, 1, v37
	v_add_nc_u32_e32 v36, v54, v36
	v_bfe_u32 v54, v101, 21, 1
	v_add_nc_u32_e32 v54, -1, v54
	v_cndmask_b32_e64 v54, 0, v54, s16
	s_mov_b32 s16, exec_lo
	v_add_nc_u32_e32 v54, v54, v101
	v_and_b32_e32 v54, 0x1fffff, v54
	v_add_nc_u32_e32 v54, v54, v101
                                        ; implicit-def: $vgpr101
	v_cmpx_ne_u32_e64 v36, v37
	s_xor_b32 s16, exec_lo, s16
; %bb.4381:                             ;   in Loop: Header=BB6_3222 Depth=4
	v_cmp_lt_u32_e32 vcc_lo, 0xffffff, v54
	v_sub_nc_u32_e32 v36, v36, v37
	v_cndmask_b32_e64 v37, 0, 1, vcc_lo
	v_add_co_ci_u32_e64 v101, null, 0, v36, vcc_lo
	v_lshrrev_b32_e32 v54, v37, v54
; %bb.4382:                             ;   in Loop: Header=BB6_3222 Depth=4
	s_andn2_saveexec_b32 s16, s16
; %bb.4383:                             ;   in Loop: Header=BB6_3222 Depth=4
	v_bfe_u32 v101, v54, 23, 1
; %bb.4384:                             ;   in Loop: Header=BB6_3222 Depth=4
	s_or_b32 exec_lo, exec_lo, s16
	v_lshrrev_b32_e32 v36, 21, v54
	v_min_i32_e32 v37, 31, v101
	v_cmp_gt_i32_e32 vcc_lo, 32, v101
	v_and_b32_sdwa v7, v7, v117 dst_sel:DWORD dst_unused:UNUSED_PAD src0_sel:BYTE_3 src1_sel:DWORD
	v_lshlrev_b32_e32 v37, 2, v37
	v_cndmask_b32_e32 v36, 3, v36, vcc_lo
	v_and_b32_e32 v37, 0xfc, v37
	v_or_b32_e32 v54, v101, v36
	v_and_b32_e32 v36, 3, v36
	v_cmp_ne_u32_e32 vcc_lo, 0, v54
	v_or3_b32 v7, v37, v7, v36
	v_cndmask_b32_e32 v41, 0, v7, vcc_lo
.LBB6_4385:                             ;   in Loop: Header=BB6_3222 Depth=4
	s_or_b32 exec_lo, exec_lo, s73
.LBB6_4386:                             ;   in Loop: Header=BB6_3222 Depth=4
	s_or_b32 exec_lo, exec_lo, s72
	v_cmp_gt_i16_sdwa s16, v6, v116 src0_sel:BYTE_1 src1_sel:DWORD
	s_mov_b32 s72, 0
	s_and_saveexec_b32 s73, s16
	s_xor_b32 s16, exec_lo, s73
	s_cbranch_execz .LBB6_5584
; %bb.4387:                             ;   in Loop: Header=BB6_3222 Depth=4
	v_cmp_eq_u16_sdwa s74, v6, v117 src0_sel:BYTE_1 src1_sel:DWORD
	s_mov_b32 s72, -1
	s_and_saveexec_b32 s73, s74
; %bb.4388:                             ;   in Loop: Header=BB6_3222 Depth=4
	s_xor_b32 s72, exec_lo, -1
; %bb.4389:                             ;   in Loop: Header=BB6_3222 Depth=4
	s_or_b32 exec_lo, exec_lo, s73
	s_and_b32 s72, s72, exec_lo
	s_or_saveexec_b32 s16, s16
	v_mov_b32_e32 v7, 0x7f800001
	s_xor_b32 exec_lo, exec_lo, s16
	s_cbranch_execnz .LBB6_5585
.LBB6_4390:                             ;   in Loop: Header=BB6_3222 Depth=4
	s_or_b32 exec_lo, exec_lo, s16
	s_and_saveexec_b32 s16, s72
	s_cbranch_execz .LBB6_4392
.LBB6_4391:                             ;   in Loop: Header=BB6_3222 Depth=4
	v_and_b32_sdwa v7, v118, v6 dst_sel:DWORD dst_unused:UNUSED_PAD src0_sel:DWORD src1_sel:BYTE_1
	v_and_b32_e32 v36, 3, v7
	v_bfe_u32 v101, v7, 2, 5
	v_ffbh_u32_e32 v37, v36
	v_cmp_eq_u32_e32 vcc_lo, 0, v101
	v_min_u32_e32 v37, 32, v37
	v_subrev_nc_u32_e32 v54, 29, v37
	v_sub_nc_u32_e32 v37, 30, v37
	v_lshlrev_b32_e32 v7, v54, v7
	v_lshlrev_b32_sdwa v54, v119, v6 dst_sel:DWORD dst_unused:UNUSED_PAD src0_sel:DWORD src1_sel:BYTE_1
	v_cndmask_b32_e32 v37, v101, v37, vcc_lo
	v_and_b32_e32 v7, 3, v7
	v_lshl_add_u32 v37, v37, 23, 0x37800000
	v_cndmask_b32_e32 v7, v36, v7, vcc_lo
	v_and_b32_e32 v36, 0x80000000, v54
	v_lshlrev_b32_e32 v7, 21, v7
	v_or3_b32 v7, v36, v37, v7
.LBB6_4392:                             ;   in Loop: Header=BB6_3222 Depth=4
	s_or_b32 exec_lo, exec_lo, s16
	v_cmp_gt_i16_sdwa s16, v23, v116 src0_sel:BYTE_1 src1_sel:DWORD
	s_mov_b32 s72, 0
	s_and_saveexec_b32 s73, s16
	s_xor_b32 s16, exec_lo, s73
	s_cbranch_execz .LBB6_5586
; %bb.4393:                             ;   in Loop: Header=BB6_3222 Depth=4
	v_cmp_eq_u16_sdwa s74, v23, v117 src0_sel:BYTE_1 src1_sel:DWORD
	s_mov_b32 s72, -1
	s_and_saveexec_b32 s73, s74
; %bb.4394:                             ;   in Loop: Header=BB6_3222 Depth=4
	s_xor_b32 s72, exec_lo, -1
; %bb.4395:                             ;   in Loop: Header=BB6_3222 Depth=4
	s_or_b32 exec_lo, exec_lo, s73
	s_and_b32 s72, s72, exec_lo
	s_or_saveexec_b32 s16, s16
	v_mov_b32_e32 v36, 0x7f800001
	s_xor_b32 exec_lo, exec_lo, s16
	s_cbranch_execnz .LBB6_5587
.LBB6_4396:                             ;   in Loop: Header=BB6_3222 Depth=4
	s_or_b32 exec_lo, exec_lo, s16
	s_and_saveexec_b32 s16, s72
	s_cbranch_execz .LBB6_4398
.LBB6_4397:                             ;   in Loop: Header=BB6_3222 Depth=4
	v_and_b32_sdwa v36, v118, v23 dst_sel:DWORD dst_unused:UNUSED_PAD src0_sel:DWORD src1_sel:BYTE_1
	v_and_b32_e32 v37, 3, v36
	v_bfe_u32 v115, v36, 2, 5
	v_ffbh_u32_e32 v54, v37
	v_cmp_eq_u32_e32 vcc_lo, 0, v115
	v_min_u32_e32 v54, 32, v54
	v_subrev_nc_u32_e32 v101, 29, v54
	v_sub_nc_u32_e32 v54, 30, v54
	v_lshlrev_b32_e32 v36, v101, v36
	v_lshlrev_b32_sdwa v101, v119, v23 dst_sel:DWORD dst_unused:UNUSED_PAD src0_sel:DWORD src1_sel:BYTE_1
	v_cndmask_b32_e32 v54, v115, v54, vcc_lo
	v_and_b32_e32 v36, 3, v36
	v_lshl_add_u32 v54, v54, 23, 0x37800000
	v_cndmask_b32_e32 v36, v37, v36, vcc_lo
	v_and_b32_e32 v37, 0x80000000, v101
	v_lshlrev_b32_e32 v36, 21, v36
	v_or3_b32 v36, v37, v54, v36
.LBB6_4398:                             ;   in Loop: Header=BB6_3222 Depth=4
	s_or_b32 exec_lo, exec_lo, s16
	v_add_f32_e32 v7, v7, v36
	v_mov_b32_e32 v54, 0x8000
	s_mov_b32 s72, exec_lo
	v_and_b32_e32 v36, 0x7f800000, v7
	v_cmpx_ne_u32_e32 0x7f800000, v36
	s_cbranch_execz .LBB6_4406
; %bb.4399:                             ;   in Loop: Header=BB6_3222 Depth=4
	v_mov_b32_e32 v54, 0
	s_mov_b32 s73, exec_lo
	v_cmpx_ne_u32_e32 0, v7
	s_cbranch_execz .LBB6_4405
; %bb.4400:                             ;   in Loop: Header=BB6_3222 Depth=4
	v_bfe_u32 v37, v7, 23, 8
	v_and_b32_e32 v36, 0x7fffff, v7
	v_cmp_gt_u32_e64 s16, 0x71, v37
	v_sub_nc_u32_e32 v54, 0x70, v37
	v_cmp_eq_u32_e32 vcc_lo, 0, v37
	v_or_b32_e32 v101, 0x800000, v36
	v_cndmask_b32_e64 v54, 0, v54, s16
	v_cndmask_b32_e32 v36, v101, v36, vcc_lo
	v_cndmask_b32_e64 v54, v54, 0x6f, vcc_lo
	v_lshl_add_u32 v101, 0x200000, v54, -1
	v_lshlrev_b32_e64 v115, v54, 0x100000
	v_and_b32_e32 v101, v101, v36
	v_cmp_eq_u32_e64 s16, v101, v115
	v_lshrrev_b32_e32 v101, v54, v36
	v_add_nc_u32_e32 v36, 0xffffff91, v37
	v_lshrrev_b32_e32 v37, 23, v101
	v_cndmask_b32_e64 v36, v36, 0xffffff92, vcc_lo
	v_xor_b32_e32 v37, 1, v37
	v_add_nc_u32_e32 v36, v54, v36
	v_bfe_u32 v54, v101, 21, 1
	v_add_nc_u32_e32 v54, -1, v54
	v_cndmask_b32_e64 v54, 0, v54, s16
	s_mov_b32 s16, exec_lo
	v_add_nc_u32_e32 v54, v54, v101
	v_and_b32_e32 v54, 0x1fffff, v54
	v_add_nc_u32_e32 v54, v54, v101
                                        ; implicit-def: $vgpr101
	v_cmpx_ne_u32_e64 v36, v37
	s_xor_b32 s16, exec_lo, s16
; %bb.4401:                             ;   in Loop: Header=BB6_3222 Depth=4
	v_cmp_lt_u32_e32 vcc_lo, 0xffffff, v54
	v_sub_nc_u32_e32 v36, v36, v37
	v_cndmask_b32_e64 v37, 0, 1, vcc_lo
	v_add_co_ci_u32_e64 v101, null, 0, v36, vcc_lo
	v_lshrrev_b32_e32 v54, v37, v54
; %bb.4402:                             ;   in Loop: Header=BB6_3222 Depth=4
	s_andn2_saveexec_b32 s16, s16
; %bb.4403:                             ;   in Loop: Header=BB6_3222 Depth=4
	v_bfe_u32 v101, v54, 23, 1
; %bb.4404:                             ;   in Loop: Header=BB6_3222 Depth=4
	s_or_b32 exec_lo, exec_lo, s16
	v_lshrrev_b32_e32 v36, 21, v54
	v_min_i32_e32 v37, 31, v101
	v_cmp_gt_i32_e32 vcc_lo, 32, v101
	v_and_b32_sdwa v7, v7, v117 dst_sel:DWORD dst_unused:UNUSED_PAD src0_sel:BYTE_3 src1_sel:DWORD
	v_lshlrev_b32_e32 v37, 2, v37
	v_cndmask_b32_e32 v36, 3, v36, vcc_lo
	v_and_b32_e32 v37, 0xfc, v37
	v_or_b32_e32 v54, v101, v36
	v_and_b32_e32 v36, 3, v36
	v_cmp_ne_u32_e32 vcc_lo, 0, v54
	v_or3_b32 v7, v7, v37, v36
	v_lshlrev_b32_e32 v7, 8, v7
	v_cndmask_b32_e32 v54, 0, v7, vcc_lo
.LBB6_4405:                             ;   in Loop: Header=BB6_3222 Depth=4
	s_or_b32 exec_lo, exec_lo, s73
.LBB6_4406:                             ;   in Loop: Header=BB6_3222 Depth=4
	s_or_b32 exec_lo, exec_lo, s72
	v_or_b32_e32 v36, v62, v58
	s_mov_b32 s72, 0
	v_cmp_gt_i16_sdwa s16, v36, v116 src0_sel:BYTE_0 src1_sel:DWORD
	s_and_saveexec_b32 s73, s16
	s_xor_b32 s16, exec_lo, s73
	s_cbranch_execz .LBB6_5588
; %bb.4407:                             ;   in Loop: Header=BB6_3222 Depth=4
	v_cmp_eq_u16_sdwa s74, v36, v117 src0_sel:BYTE_0 src1_sel:DWORD
	s_mov_b32 s72, -1
	s_and_saveexec_b32 s73, s74
; %bb.4408:                             ;   in Loop: Header=BB6_3222 Depth=4
	s_xor_b32 s72, exec_lo, -1
; %bb.4409:                             ;   in Loop: Header=BB6_3222 Depth=4
	s_or_b32 exec_lo, exec_lo, s73
	s_and_b32 s72, s72, exec_lo
	s_or_saveexec_b32 s16, s16
	v_mov_b32_e32 v7, 0x7f800001
	s_xor_b32 exec_lo, exec_lo, s16
	s_cbranch_execnz .LBB6_5589
.LBB6_4410:                             ;   in Loop: Header=BB6_3222 Depth=4
	s_or_b32 exec_lo, exec_lo, s16
	v_lshl_or_b32 v6, v36, 16, v6
	s_and_saveexec_b32 s16, s72
	s_cbranch_execz .LBB6_4412
.LBB6_4411:                             ;   in Loop: Header=BB6_3222 Depth=4
	v_bfe_u32 v7, v6, 16, 2
	v_bfe_u32 v36, v6, 18, 5
	v_ffbh_u32_e32 v37, v7
	v_cmp_eq_u32_e32 vcc_lo, 0, v36
	v_min_u32_e32 v37, 32, v37
	v_subrev_nc_u32_e32 v101, 29, v37
	v_sub_nc_u32_e32 v37, 30, v37
	v_lshlrev_b32_sdwa v101, v101, v6 dst_sel:DWORD dst_unused:UNUSED_PAD src0_sel:DWORD src1_sel:WORD_1
	v_cndmask_b32_e32 v36, v36, v37, vcc_lo
	v_lshlrev_b32_e32 v37, 8, v6
	v_and_b32_e32 v101, 3, v101
	v_lshl_add_u32 v36, v36, 23, 0x37800000
	v_and_b32_e32 v37, 0x80000000, v37
	v_cndmask_b32_e32 v7, v7, v101, vcc_lo
	v_lshlrev_b32_e32 v7, 21, v7
	v_or3_b32 v7, v37, v36, v7
.LBB6_4412:                             ;   in Loop: Header=BB6_3222 Depth=4
	s_or_b32 exec_lo, exec_lo, s16
	v_and_b32_sdwa v37, v23, v40 dst_sel:DWORD dst_unused:UNUSED_PAD src0_sel:WORD_1 src1_sel:DWORD
	s_mov_b32 s72, 0
	s_mov_b32 s16, exec_lo
	v_cmpx_lt_i16_e32 0x7f, v37
	s_xor_b32 s16, exec_lo, s16
	s_cbranch_execz .LBB6_5590
; %bb.4413:                             ;   in Loop: Header=BB6_3222 Depth=4
	s_mov_b32 s72, -1
	s_mov_b32 s73, exec_lo
	v_cmpx_eq_u16_e32 0x80, v37
; %bb.4414:                             ;   in Loop: Header=BB6_3222 Depth=4
	s_xor_b32 s72, exec_lo, -1
; %bb.4415:                             ;   in Loop: Header=BB6_3222 Depth=4
	s_or_b32 exec_lo, exec_lo, s73
	s_and_b32 s72, s72, exec_lo
                                        ; implicit-def: $vgpr37
	s_or_saveexec_b32 s16, s16
	v_mov_b32_e32 v36, 0x7f800001
	s_xor_b32 exec_lo, exec_lo, s16
	s_cbranch_execnz .LBB6_5591
.LBB6_4416:                             ;   in Loop: Header=BB6_3222 Depth=4
	s_or_b32 exec_lo, exec_lo, s16
	s_and_saveexec_b32 s16, s72
	s_cbranch_execz .LBB6_4418
.LBB6_4417:                             ;   in Loop: Header=BB6_3222 Depth=4
	v_bfe_u32 v36, v23, 16, 2
	v_bfe_u32 v37, v23, 18, 5
	v_ffbh_u32_e32 v101, v36
	v_cmp_eq_u32_e32 vcc_lo, 0, v37
	v_min_u32_e32 v101, 32, v101
	v_subrev_nc_u32_e32 v115, 29, v101
	v_sub_nc_u32_e32 v101, 30, v101
	v_lshlrev_b32_sdwa v115, v115, v23 dst_sel:DWORD dst_unused:UNUSED_PAD src0_sel:DWORD src1_sel:WORD_1
	v_cndmask_b32_e32 v37, v37, v101, vcc_lo
	v_lshlrev_b32_e32 v101, 8, v23
	v_and_b32_e32 v115, 3, v115
	v_lshl_add_u32 v37, v37, 23, 0x37800000
	v_and_b32_e32 v101, 0x80000000, v101
	v_cndmask_b32_e32 v36, v36, v115, vcc_lo
	v_lshlrev_b32_e32 v36, 21, v36
	v_or3_b32 v36, v101, v37, v36
.LBB6_4418:                             ;   in Loop: Header=BB6_3222 Depth=4
	s_or_b32 exec_lo, exec_lo, s16
	v_add_f32_e32 v7, v7, v36
	v_mov_b32_e32 v58, 0x80
	s_mov_b32 s72, exec_lo
	v_and_b32_e32 v36, 0x7f800000, v7
	v_cmpx_ne_u32_e32 0x7f800000, v36
	s_cbranch_execz .LBB6_4426
; %bb.4419:                             ;   in Loop: Header=BB6_3222 Depth=4
	v_mov_b32_e32 v58, 0
	s_mov_b32 s73, exec_lo
	v_cmpx_ne_u32_e32 0, v7
	s_cbranch_execz .LBB6_4425
; %bb.4420:                             ;   in Loop: Header=BB6_3222 Depth=4
	v_bfe_u32 v37, v7, 23, 8
	v_and_b32_e32 v36, 0x7fffff, v7
	v_cmp_gt_u32_e64 s16, 0x71, v37
	v_sub_nc_u32_e32 v101, 0x70, v37
	v_cmp_eq_u32_e32 vcc_lo, 0, v37
	v_or_b32_e32 v115, 0x800000, v36
	v_cndmask_b32_e64 v101, 0, v101, s16
	v_cndmask_b32_e32 v36, v115, v36, vcc_lo
	v_cndmask_b32_e64 v101, v101, 0x6f, vcc_lo
	v_lshl_add_u32 v115, 0x200000, v101, -1
	v_lshlrev_b32_e64 v42, v101, 0x100000
	v_and_b32_e32 v115, v115, v36
	v_cmp_eq_u32_e64 s16, v115, v42
	v_lshrrev_b32_e32 v115, v101, v36
	v_add_nc_u32_e32 v36, 0xffffff91, v37
	v_lshrrev_b32_e32 v37, 23, v115
	v_cndmask_b32_e64 v36, v36, 0xffffff92, vcc_lo
	v_xor_b32_e32 v37, 1, v37
	v_add_nc_u32_e32 v36, v101, v36
	v_bfe_u32 v101, v115, 21, 1
	v_add_nc_u32_e32 v101, -1, v101
	v_cndmask_b32_e64 v101, 0, v101, s16
	s_mov_b32 s16, exec_lo
	v_add_nc_u32_e32 v101, v101, v115
	v_and_b32_e32 v101, 0x1fffff, v101
	v_add_nc_u32_e32 v101, v101, v115
                                        ; implicit-def: $vgpr115
	v_cmpx_ne_u32_e64 v36, v37
	s_xor_b32 s16, exec_lo, s16
; %bb.4421:                             ;   in Loop: Header=BB6_3222 Depth=4
	v_cmp_lt_u32_e32 vcc_lo, 0xffffff, v101
	v_sub_nc_u32_e32 v36, v36, v37
	v_cndmask_b32_e64 v37, 0, 1, vcc_lo
	v_add_co_ci_u32_e64 v115, null, 0, v36, vcc_lo
	v_lshrrev_b32_e32 v101, v37, v101
; %bb.4422:                             ;   in Loop: Header=BB6_3222 Depth=4
	s_andn2_saveexec_b32 s16, s16
; %bb.4423:                             ;   in Loop: Header=BB6_3222 Depth=4
	v_bfe_u32 v115, v101, 23, 1
; %bb.4424:                             ;   in Loop: Header=BB6_3222 Depth=4
	s_or_b32 exec_lo, exec_lo, s16
	v_lshrrev_b32_e32 v36, 21, v101
	v_min_i32_e32 v37, 31, v115
	v_cmp_gt_i32_e32 vcc_lo, 32, v115
	v_and_b32_sdwa v7, v7, v117 dst_sel:DWORD dst_unused:UNUSED_PAD src0_sel:BYTE_3 src1_sel:DWORD
	v_lshlrev_b32_e32 v37, 2, v37
	v_cndmask_b32_e32 v36, 3, v36, vcc_lo
	v_and_b32_e32 v37, 0xfc, v37
	v_or_b32_e32 v101, v115, v36
	v_and_b32_e32 v36, 3, v36
	v_cmp_ne_u32_e32 vcc_lo, 0, v101
	v_or3_b32 v7, v37, v7, v36
	v_cndmask_b32_e32 v58, 0, v7, vcc_lo
.LBB6_4425:                             ;   in Loop: Header=BB6_3222 Depth=4
	s_or_b32 exec_lo, exec_lo, s73
.LBB6_4426:                             ;   in Loop: Header=BB6_3222 Depth=4
	s_or_b32 exec_lo, exec_lo, s72
	v_cmp_gt_i16_sdwa s16, v6, v116 src0_sel:BYTE_3 src1_sel:DWORD
	s_mov_b32 s72, 0
	s_and_saveexec_b32 s73, s16
	s_xor_b32 s16, exec_lo, s73
	s_cbranch_execz .LBB6_5592
; %bb.4427:                             ;   in Loop: Header=BB6_3222 Depth=4
	v_cmp_eq_u16_sdwa s74, v6, v117 src0_sel:BYTE_3 src1_sel:DWORD
	s_mov_b32 s72, -1
	s_and_saveexec_b32 s73, s74
; %bb.4428:                             ;   in Loop: Header=BB6_3222 Depth=4
	s_xor_b32 s72, exec_lo, -1
; %bb.4429:                             ;   in Loop: Header=BB6_3222 Depth=4
	s_or_b32 exec_lo, exec_lo, s73
	s_and_b32 s72, s72, exec_lo
	s_or_saveexec_b32 s16, s16
	v_mov_b32_e32 v7, 0x7f800001
	s_xor_b32 exec_lo, exec_lo, s16
	s_cbranch_execnz .LBB6_5593
.LBB6_4430:                             ;   in Loop: Header=BB6_3222 Depth=4
	s_or_b32 exec_lo, exec_lo, s16
	s_and_saveexec_b32 s16, s72
	s_cbranch_execz .LBB6_4432
.LBB6_4431:                             ;   in Loop: Header=BB6_3222 Depth=4
	v_bfe_u32 v7, v6, 24, 2
	v_bfe_u32 v101, v6, 26, 5
	v_ffbh_u32_e32 v36, v7
	v_cmp_eq_u32_e32 vcc_lo, 0, v101
	v_min_u32_e32 v36, 32, v36
	v_subrev_nc_u32_e32 v37, 29, v36
	v_sub_nc_u32_e32 v36, 30, v36
	v_lshlrev_b32_sdwa v37, v37, v6 dst_sel:DWORD dst_unused:UNUSED_PAD src0_sel:DWORD src1_sel:BYTE_3
	v_cndmask_b32_e32 v36, v101, v36, vcc_lo
	v_and_b32_e32 v6, 0x80000000, v6
	v_and_b32_e32 v37, 3, v37
	v_lshl_add_u32 v36, v36, 23, 0x37800000
	v_cndmask_b32_e32 v7, v7, v37, vcc_lo
	v_lshlrev_b32_e32 v7, 21, v7
	v_or3_b32 v7, v6, v36, v7
.LBB6_4432:                             ;   in Loop: Header=BB6_3222 Depth=4
	s_or_b32 exec_lo, exec_lo, s16
	v_cmp_gt_i16_sdwa s16, v23, v116 src0_sel:BYTE_3 src1_sel:DWORD
	s_mov_b32 s72, 0
	s_and_saveexec_b32 s73, s16
	s_xor_b32 s16, exec_lo, s73
	s_cbranch_execz .LBB6_5594
; %bb.4433:                             ;   in Loop: Header=BB6_3222 Depth=4
	v_cmp_eq_u16_sdwa s74, v23, v117 src0_sel:BYTE_3 src1_sel:DWORD
	s_mov_b32 s72, -1
	s_and_saveexec_b32 s73, s74
; %bb.4434:                             ;   in Loop: Header=BB6_3222 Depth=4
	s_xor_b32 s72, exec_lo, -1
; %bb.4435:                             ;   in Loop: Header=BB6_3222 Depth=4
	s_or_b32 exec_lo, exec_lo, s73
	s_and_b32 s72, s72, exec_lo
	s_or_saveexec_b32 s16, s16
	v_mov_b32_e32 v6, 0x7f800001
	s_xor_b32 exec_lo, exec_lo, s16
	s_cbranch_execnz .LBB6_5595
.LBB6_4436:                             ;   in Loop: Header=BB6_3222 Depth=4
	s_or_b32 exec_lo, exec_lo, s16
	s_and_saveexec_b32 s16, s72
	s_cbranch_execz .LBB6_4438
.LBB6_4437:                             ;   in Loop: Header=BB6_3222 Depth=4
	v_bfe_u32 v6, v23, 24, 2
	v_bfe_u32 v101, v23, 26, 5
	v_ffbh_u32_e32 v36, v6
	v_cmp_eq_u32_e32 vcc_lo, 0, v101
	v_min_u32_e32 v36, 32, v36
	v_subrev_nc_u32_e32 v37, 29, v36
	v_sub_nc_u32_e32 v36, 30, v36
	v_lshlrev_b32_sdwa v37, v37, v23 dst_sel:DWORD dst_unused:UNUSED_PAD src0_sel:DWORD src1_sel:BYTE_3
	v_cndmask_b32_e32 v36, v101, v36, vcc_lo
	v_and_b32_e32 v23, 0x80000000, v23
	v_and_b32_e32 v37, 3, v37
	v_lshl_add_u32 v36, v36, 23, 0x37800000
	v_cndmask_b32_e32 v6, v6, v37, vcc_lo
	v_lshlrev_b32_e32 v6, 21, v6
	v_or3_b32 v6, v23, v36, v6
.LBB6_4438:                             ;   in Loop: Header=BB6_3222 Depth=4
	s_or_b32 exec_lo, exec_lo, s16
	v_add_f32_e32 v6, v7, v6
	v_mov_b32_e32 v23, 0x8000
	s_mov_b32 s72, exec_lo
	v_and_b32_e32 v7, 0x7f800000, v6
	v_cmpx_ne_u32_e32 0x7f800000, v7
	s_cbranch_execz .LBB6_4446
; %bb.4439:                             ;   in Loop: Header=BB6_3222 Depth=4
	v_mov_b32_e32 v23, 0
	s_mov_b32 s73, exec_lo
	v_cmpx_ne_u32_e32 0, v6
	s_cbranch_execz .LBB6_4445
; %bb.4440:                             ;   in Loop: Header=BB6_3222 Depth=4
	v_bfe_u32 v23, v6, 23, 8
	v_and_b32_e32 v7, 0x7fffff, v6
	v_cmp_gt_u32_e64 s16, 0x71, v23
	v_sub_nc_u32_e32 v36, 0x70, v23
	v_cmp_eq_u32_e32 vcc_lo, 0, v23
	v_or_b32_e32 v37, 0x800000, v7
	v_cndmask_b32_e64 v36, 0, v36, s16
	v_cndmask_b32_e32 v7, v37, v7, vcc_lo
	v_cndmask_b32_e64 v36, v36, 0x6f, vcc_lo
	v_lshl_add_u32 v37, 0x200000, v36, -1
	v_lshlrev_b32_e64 v101, v36, 0x100000
	v_and_b32_e32 v37, v37, v7
	v_cmp_eq_u32_e64 s16, v37, v101
	v_lshrrev_b32_e32 v37, v36, v7
	v_add_nc_u32_e32 v7, 0xffffff91, v23
	v_lshrrev_b32_e32 v23, 23, v37
	v_cndmask_b32_e64 v7, v7, 0xffffff92, vcc_lo
	v_xor_b32_e32 v23, 1, v23
	v_add_nc_u32_e32 v7, v36, v7
	v_bfe_u32 v36, v37, 21, 1
	v_add_nc_u32_e32 v36, -1, v36
	v_cndmask_b32_e64 v36, 0, v36, s16
	s_mov_b32 s16, exec_lo
	v_add_nc_u32_e32 v36, v36, v37
	v_and_b32_e32 v36, 0x1fffff, v36
	v_add_nc_u32_e32 v36, v36, v37
                                        ; implicit-def: $vgpr37
	v_cmpx_ne_u32_e64 v7, v23
	s_xor_b32 s16, exec_lo, s16
; %bb.4441:                             ;   in Loop: Header=BB6_3222 Depth=4
	v_cmp_lt_u32_e32 vcc_lo, 0xffffff, v36
	v_sub_nc_u32_e32 v7, v7, v23
	v_cndmask_b32_e64 v23, 0, 1, vcc_lo
	v_add_co_ci_u32_e64 v37, null, 0, v7, vcc_lo
	v_lshrrev_b32_e32 v36, v23, v36
; %bb.4442:                             ;   in Loop: Header=BB6_3222 Depth=4
	s_andn2_saveexec_b32 s16, s16
; %bb.4443:                             ;   in Loop: Header=BB6_3222 Depth=4
	v_bfe_u32 v37, v36, 23, 1
; %bb.4444:                             ;   in Loop: Header=BB6_3222 Depth=4
	s_or_b32 exec_lo, exec_lo, s16
	v_lshrrev_b32_e32 v7, 21, v36
	v_min_i32_e32 v23, 31, v37
	v_cmp_gt_i32_e32 vcc_lo, 32, v37
	v_and_b32_sdwa v6, v6, v117 dst_sel:DWORD dst_unused:UNUSED_PAD src0_sel:BYTE_3 src1_sel:DWORD
	v_lshlrev_b32_e32 v23, 2, v23
	v_cndmask_b32_e32 v7, 3, v7, vcc_lo
	v_and_b32_e32 v23, 0xfc, v23
	v_or_b32_e32 v36, v37, v7
	v_and_b32_e32 v7, 3, v7
	v_cmp_ne_u32_e32 vcc_lo, 0, v36
	v_or3_b32 v6, v6, v23, v7
	v_lshlrev_b32_e32 v6, 8, v6
	v_cndmask_b32_e32 v23, 0, v6, vcc_lo
.LBB6_4445:                             ;   in Loop: Header=BB6_3222 Depth=4
	s_or_b32 exec_lo, exec_lo, s73
.LBB6_4446:                             ;   in Loop: Header=BB6_3222 Depth=4
	s_or_b32 exec_lo, exec_lo, s72
	v_or_b32_e32 v6, v56, v0
	s_mov_b32 s72, 0
	v_cmp_gt_i16_sdwa s16, v6, v116 src0_sel:BYTE_0 src1_sel:DWORD
	s_and_saveexec_b32 s73, s16
	s_xor_b32 s16, exec_lo, s73
	s_cbranch_execz .LBB6_5596
; %bb.4447:                             ;   in Loop: Header=BB6_3222 Depth=4
	v_cmp_eq_u16_sdwa s74, v6, v117 src0_sel:BYTE_0 src1_sel:DWORD
	s_mov_b32 s72, -1
	s_and_saveexec_b32 s73, s74
; %bb.4448:                             ;   in Loop: Header=BB6_3222 Depth=4
	s_xor_b32 s72, exec_lo, -1
; %bb.4449:                             ;   in Loop: Header=BB6_3222 Depth=4
	s_or_b32 exec_lo, exec_lo, s73
	s_and_b32 s72, s72, exec_lo
	s_or_saveexec_b32 s16, s16
	v_mov_b32_e32 v0, 0x7f800001
	s_xor_b32 exec_lo, exec_lo, s16
	s_cbranch_execnz .LBB6_5597
.LBB6_4450:                             ;   in Loop: Header=BB6_3222 Depth=4
	s_or_b32 exec_lo, exec_lo, s16
	s_and_saveexec_b32 s16, s72
	s_cbranch_execz .LBB6_4452
.LBB6_4451:                             ;   in Loop: Header=BB6_3222 Depth=4
	v_and_b32_e32 v0, 3, v6
	v_bfe_u32 v7, v6, 2, 5
	v_ffbh_u32_e32 v36, v0
	v_cmp_eq_u32_e32 vcc_lo, 0, v7
	v_min_u32_e32 v36, 32, v36
	v_subrev_nc_u32_e32 v37, 29, v36
	v_sub_nc_u32_e32 v36, 30, v36
	v_lshlrev_b32_e32 v37, v37, v6
	v_cndmask_b32_e32 v7, v7, v36, vcc_lo
	v_lshlrev_b32_e32 v36, 24, v6
	v_and_b32_e32 v37, 3, v37
	v_lshl_add_u32 v7, v7, 23, 0x37800000
	v_and_b32_e32 v36, 0x80000000, v36
	v_cndmask_b32_e32 v0, v0, v37, vcc_lo
	v_lshlrev_b32_e32 v0, 21, v0
	v_or3_b32 v0, v36, v7, v0
.LBB6_4452:                             ;   in Loop: Header=BB6_3222 Depth=4
	s_or_b32 exec_lo, exec_lo, s16
	s_waitcnt vmcnt(2)
	v_cmp_gt_i16_sdwa s16, v16, v116 src0_sel:BYTE_0 src1_sel:DWORD
	s_mov_b32 s72, 0
	s_and_saveexec_b32 s73, s16
	s_xor_b32 s16, exec_lo, s73
	s_cbranch_execz .LBB6_5598
; %bb.4453:                             ;   in Loop: Header=BB6_3222 Depth=4
	v_cmp_eq_u16_sdwa s74, v16, v117 src0_sel:BYTE_0 src1_sel:DWORD
	s_mov_b32 s72, -1
	s_and_saveexec_b32 s73, s74
; %bb.4454:                             ;   in Loop: Header=BB6_3222 Depth=4
	s_xor_b32 s72, exec_lo, -1
; %bb.4455:                             ;   in Loop: Header=BB6_3222 Depth=4
	s_or_b32 exec_lo, exec_lo, s73
	s_and_b32 s72, s72, exec_lo
	s_or_saveexec_b32 s16, s16
	v_mov_b32_e32 v7, 0x7f800001
	s_xor_b32 exec_lo, exec_lo, s16
	s_cbranch_execnz .LBB6_5599
.LBB6_4456:                             ;   in Loop: Header=BB6_3222 Depth=4
	s_or_b32 exec_lo, exec_lo, s16
	s_and_saveexec_b32 s16, s72
	s_cbranch_execz .LBB6_4458
.LBB6_4457:                             ;   in Loop: Header=BB6_3222 Depth=4
	v_and_b32_e32 v7, 3, v16
	v_bfe_u32 v36, v16, 2, 5
	v_ffbh_u32_e32 v37, v7
	v_cmp_eq_u32_e32 vcc_lo, 0, v36
	v_min_u32_e32 v37, 32, v37
	v_subrev_nc_u32_e32 v101, 29, v37
	v_sub_nc_u32_e32 v37, 30, v37
	v_lshlrev_b32_e32 v101, v101, v16
	v_cndmask_b32_e32 v36, v36, v37, vcc_lo
	v_lshlrev_b32_e32 v37, 24, v16
	v_and_b32_e32 v101, 3, v101
	v_lshl_add_u32 v36, v36, 23, 0x37800000
	v_and_b32_e32 v37, 0x80000000, v37
	v_cndmask_b32_e32 v7, v7, v101, vcc_lo
	v_lshlrev_b32_e32 v7, 21, v7
	v_or3_b32 v7, v37, v36, v7
.LBB6_4458:                             ;   in Loop: Header=BB6_3222 Depth=4
	s_or_b32 exec_lo, exec_lo, s16
	v_add_f32_e32 v7, v0, v7
	v_and_b32_e32 v0, 0x7f800000, v7
	v_cmp_ne_u32_e32 vcc_lo, 0x7f800000, v0
	v_mov_b32_e32 v0, 0x80
	s_and_saveexec_b32 s72, vcc_lo
	s_cbranch_execz .LBB6_4466
; %bb.4459:                             ;   in Loop: Header=BB6_3222 Depth=4
	v_mov_b32_e32 v0, 0
	s_mov_b32 s73, exec_lo
	v_cmpx_ne_u32_e32 0, v7
	s_cbranch_execz .LBB6_4465
; %bb.4460:                             ;   in Loop: Header=BB6_3222 Depth=4
	v_bfe_u32 v36, v7, 23, 8
	v_and_b32_e32 v0, 0x7fffff, v7
	v_cmp_gt_u32_e64 s16, 0x71, v36
	v_sub_nc_u32_e32 v37, 0x70, v36
	v_cmp_eq_u32_e32 vcc_lo, 0, v36
	v_or_b32_e32 v101, 0x800000, v0
	v_cndmask_b32_e64 v37, 0, v37, s16
	v_cndmask_b32_e32 v0, v101, v0, vcc_lo
	v_cndmask_b32_e64 v37, v37, 0x6f, vcc_lo
	v_lshl_add_u32 v101, 0x200000, v37, -1
	v_lshlrev_b32_e64 v115, v37, 0x100000
	v_and_b32_e32 v101, v101, v0
	v_cmp_eq_u32_e64 s16, v101, v115
	v_lshrrev_b32_e32 v101, v37, v0
	v_add_nc_u32_e32 v0, 0xffffff91, v36
	v_lshrrev_b32_e32 v36, 23, v101
	v_cndmask_b32_e64 v0, v0, 0xffffff92, vcc_lo
	v_xor_b32_e32 v36, 1, v36
	v_add_nc_u32_e32 v0, v37, v0
	v_bfe_u32 v37, v101, 21, 1
	v_add_nc_u32_e32 v37, -1, v37
	v_cndmask_b32_e64 v37, 0, v37, s16
	s_mov_b32 s16, exec_lo
	v_add_nc_u32_e32 v37, v37, v101
	v_and_b32_e32 v37, 0x1fffff, v37
	v_add_nc_u32_e32 v37, v37, v101
                                        ; implicit-def: $vgpr101
	v_cmpx_ne_u32_e64 v0, v36
	s_xor_b32 s16, exec_lo, s16
; %bb.4461:                             ;   in Loop: Header=BB6_3222 Depth=4
	v_cmp_lt_u32_e32 vcc_lo, 0xffffff, v37
	v_sub_nc_u32_e32 v0, v0, v36
	v_cndmask_b32_e64 v36, 0, 1, vcc_lo
	v_add_co_ci_u32_e64 v101, null, 0, v0, vcc_lo
	v_lshrrev_b32_e32 v37, v36, v37
; %bb.4462:                             ;   in Loop: Header=BB6_3222 Depth=4
	s_andn2_saveexec_b32 s16, s16
; %bb.4463:                             ;   in Loop: Header=BB6_3222 Depth=4
	v_bfe_u32 v101, v37, 23, 1
; %bb.4464:                             ;   in Loop: Header=BB6_3222 Depth=4
	s_or_b32 exec_lo, exec_lo, s16
	v_and_b32_sdwa v0, v7, v117 dst_sel:DWORD dst_unused:UNUSED_PAD src0_sel:BYTE_3 src1_sel:DWORD
	v_lshrrev_b32_e32 v7, 21, v37
	v_min_i32_e32 v36, 31, v101
	v_cmp_gt_i32_e32 vcc_lo, 32, v101
	v_lshlrev_b32_e32 v36, 2, v36
	v_cndmask_b32_e32 v7, 3, v7, vcc_lo
	v_and_b32_e32 v36, 0xfc, v36
	v_or_b32_e32 v37, v101, v7
	v_and_b32_e32 v7, 3, v7
	v_cmp_ne_u32_e32 vcc_lo, 0, v37
	v_or3_b32 v0, v36, v0, v7
	v_cndmask_b32_e32 v0, 0, v0, vcc_lo
.LBB6_4465:                             ;   in Loop: Header=BB6_3222 Depth=4
	s_or_b32 exec_lo, exec_lo, s73
.LBB6_4466:                             ;   in Loop: Header=BB6_3222 Depth=4
	s_or_b32 exec_lo, exec_lo, s72
	v_cmp_gt_i16_sdwa s72, v6, v116 src0_sel:BYTE_1 src1_sel:DWORD
	s_mov_b32 s16, 0
	s_and_saveexec_b32 s73, s72
	s_xor_b32 s72, exec_lo, s73
	s_cbranch_execz .LBB6_5600
; %bb.4467:                             ;   in Loop: Header=BB6_3222 Depth=4
	v_cmp_eq_u16_sdwa s74, v6, v117 src0_sel:BYTE_1 src1_sel:DWORD
	s_mov_b32 s16, -1
	s_and_saveexec_b32 s73, s74
; %bb.4468:                             ;   in Loop: Header=BB6_3222 Depth=4
	s_xor_b32 s16, exec_lo, -1
; %bb.4469:                             ;   in Loop: Header=BB6_3222 Depth=4
	s_or_b32 exec_lo, exec_lo, s73
	s_and_b32 s16, s16, exec_lo
	s_or_saveexec_b32 s72, s72
	v_mov_b32_e32 v7, 0x7f800001
	s_xor_b32 exec_lo, exec_lo, s72
	s_cbranch_execnz .LBB6_5601
.LBB6_4470:                             ;   in Loop: Header=BB6_3222 Depth=4
	s_or_b32 exec_lo, exec_lo, s72
	s_and_saveexec_b32 s72, s16
	s_cbranch_execz .LBB6_4472
.LBB6_4471:                             ;   in Loop: Header=BB6_3222 Depth=4
	v_and_b32_sdwa v7, v118, v6 dst_sel:DWORD dst_unused:UNUSED_PAD src0_sel:DWORD src1_sel:BYTE_1
	v_and_b32_e32 v36, 3, v7
	v_bfe_u32 v115, v7, 2, 5
	v_ffbh_u32_e32 v37, v36
	v_cmp_eq_u32_e32 vcc_lo, 0, v115
	v_min_u32_e32 v37, 32, v37
	v_subrev_nc_u32_e32 v101, 29, v37
	v_sub_nc_u32_e32 v37, 30, v37
	v_lshlrev_b32_e32 v7, v101, v7
	v_lshlrev_b32_sdwa v101, v119, v6 dst_sel:DWORD dst_unused:UNUSED_PAD src0_sel:DWORD src1_sel:BYTE_1
	v_cndmask_b32_e32 v37, v115, v37, vcc_lo
	v_and_b32_e32 v7, 3, v7
	v_lshl_add_u32 v37, v37, 23, 0x37800000
	v_cndmask_b32_e32 v7, v36, v7, vcc_lo
	v_and_b32_e32 v36, 0x80000000, v101
	v_lshlrev_b32_e32 v7, 21, v7
	v_or3_b32 v7, v36, v37, v7
.LBB6_4472:                             ;   in Loop: Header=BB6_3222 Depth=4
	s_or_b32 exec_lo, exec_lo, s72
	v_cmp_gt_i16_sdwa s72, v16, v116 src0_sel:BYTE_1 src1_sel:DWORD
	s_mov_b32 s16, 0
	s_and_saveexec_b32 s73, s72
	s_xor_b32 s72, exec_lo, s73
	s_cbranch_execz .LBB6_5602
; %bb.4473:                             ;   in Loop: Header=BB6_3222 Depth=4
	v_cmp_eq_u16_sdwa s74, v16, v117 src0_sel:BYTE_1 src1_sel:DWORD
	s_mov_b32 s16, -1
	s_and_saveexec_b32 s73, s74
; %bb.4474:                             ;   in Loop: Header=BB6_3222 Depth=4
	s_xor_b32 s16, exec_lo, -1
; %bb.4475:                             ;   in Loop: Header=BB6_3222 Depth=4
	s_or_b32 exec_lo, exec_lo, s73
	s_and_b32 s16, s16, exec_lo
	s_or_saveexec_b32 s72, s72
	v_mov_b32_e32 v36, 0x7f800001
	s_xor_b32 exec_lo, exec_lo, s72
	s_cbranch_execnz .LBB6_5603
.LBB6_4476:                             ;   in Loop: Header=BB6_3222 Depth=4
	s_or_b32 exec_lo, exec_lo, s72
	s_and_saveexec_b32 s72, s16
	s_cbranch_execz .LBB6_4478
.LBB6_4477:                             ;   in Loop: Header=BB6_3222 Depth=4
	v_and_b32_sdwa v36, v118, v16 dst_sel:DWORD dst_unused:UNUSED_PAD src0_sel:DWORD src1_sel:BYTE_1
	v_and_b32_e32 v37, 3, v36
	v_bfe_u32 v42, v36, 2, 5
	v_ffbh_u32_e32 v101, v37
	v_cmp_eq_u32_e32 vcc_lo, 0, v42
	v_min_u32_e32 v101, 32, v101
	v_subrev_nc_u32_e32 v115, 29, v101
	v_sub_nc_u32_e32 v101, 30, v101
	v_lshlrev_b32_e32 v36, v115, v36
	v_lshlrev_b32_sdwa v115, v119, v16 dst_sel:DWORD dst_unused:UNUSED_PAD src0_sel:DWORD src1_sel:BYTE_1
	v_cndmask_b32_e32 v101, v42, v101, vcc_lo
	v_and_b32_e32 v36, 3, v36
	v_lshl_add_u32 v101, v101, 23, 0x37800000
	v_cndmask_b32_e32 v36, v37, v36, vcc_lo
	v_and_b32_e32 v37, 0x80000000, v115
	v_lshlrev_b32_e32 v36, 21, v36
	v_or3_b32 v36, v37, v101, v36
.LBB6_4478:                             ;   in Loop: Header=BB6_3222 Depth=4
	s_or_b32 exec_lo, exec_lo, s72
	v_add_f32_e32 v7, v7, v36
	v_mov_b32_e32 v56, 0x8000
	s_mov_b32 s72, exec_lo
	v_and_b32_e32 v36, 0x7f800000, v7
	v_cmpx_ne_u32_e32 0x7f800000, v36
	s_cbranch_execz .LBB6_4486
; %bb.4479:                             ;   in Loop: Header=BB6_3222 Depth=4
	v_mov_b32_e32 v56, 0
	s_mov_b32 s73, exec_lo
	v_cmpx_ne_u32_e32 0, v7
	s_cbranch_execz .LBB6_4485
; %bb.4480:                             ;   in Loop: Header=BB6_3222 Depth=4
	v_bfe_u32 v37, v7, 23, 8
	v_and_b32_e32 v36, 0x7fffff, v7
	v_cmp_gt_u32_e64 s16, 0x71, v37
	v_sub_nc_u32_e32 v101, 0x70, v37
	v_cmp_eq_u32_e32 vcc_lo, 0, v37
	v_or_b32_e32 v115, 0x800000, v36
	v_cndmask_b32_e64 v101, 0, v101, s16
	v_cndmask_b32_e32 v36, v115, v36, vcc_lo
	v_cndmask_b32_e64 v101, v101, 0x6f, vcc_lo
	v_lshl_add_u32 v115, 0x200000, v101, -1
	v_lshlrev_b32_e64 v42, v101, 0x100000
	v_and_b32_e32 v115, v115, v36
	v_cmp_eq_u32_e64 s16, v115, v42
	v_lshrrev_b32_e32 v115, v101, v36
	v_add_nc_u32_e32 v36, 0xffffff91, v37
	v_lshrrev_b32_e32 v37, 23, v115
	v_cndmask_b32_e64 v36, v36, 0xffffff92, vcc_lo
	v_xor_b32_e32 v37, 1, v37
	v_add_nc_u32_e32 v36, v101, v36
	v_bfe_u32 v101, v115, 21, 1
	v_add_nc_u32_e32 v101, -1, v101
	v_cndmask_b32_e64 v101, 0, v101, s16
	s_mov_b32 s16, exec_lo
	v_add_nc_u32_e32 v101, v101, v115
	v_and_b32_e32 v101, 0x1fffff, v101
	v_add_nc_u32_e32 v101, v101, v115
                                        ; implicit-def: $vgpr115
	v_cmpx_ne_u32_e64 v36, v37
	s_xor_b32 s16, exec_lo, s16
; %bb.4481:                             ;   in Loop: Header=BB6_3222 Depth=4
	v_cmp_lt_u32_e32 vcc_lo, 0xffffff, v101
	v_sub_nc_u32_e32 v36, v36, v37
	v_cndmask_b32_e64 v37, 0, 1, vcc_lo
	v_add_co_ci_u32_e64 v115, null, 0, v36, vcc_lo
	v_lshrrev_b32_e32 v101, v37, v101
; %bb.4482:                             ;   in Loop: Header=BB6_3222 Depth=4
	s_andn2_saveexec_b32 s16, s16
; %bb.4483:                             ;   in Loop: Header=BB6_3222 Depth=4
	v_bfe_u32 v115, v101, 23, 1
; %bb.4484:                             ;   in Loop: Header=BB6_3222 Depth=4
	s_or_b32 exec_lo, exec_lo, s16
	v_lshrrev_b32_e32 v36, 21, v101
	v_min_i32_e32 v37, 31, v115
	v_cmp_gt_i32_e32 vcc_lo, 32, v115
	v_and_b32_sdwa v7, v7, v117 dst_sel:DWORD dst_unused:UNUSED_PAD src0_sel:BYTE_3 src1_sel:DWORD
	v_lshlrev_b32_e32 v37, 2, v37
	v_cndmask_b32_e32 v36, 3, v36, vcc_lo
	v_and_b32_e32 v37, 0xfc, v37
	v_or_b32_e32 v101, v115, v36
	v_and_b32_e32 v36, 3, v36
	v_cmp_ne_u32_e32 vcc_lo, 0, v101
	v_or3_b32 v7, v7, v37, v36
	v_lshlrev_b32_e32 v7, 8, v7
	v_cndmask_b32_e32 v56, 0, v7, vcc_lo
.LBB6_4485:                             ;   in Loop: Header=BB6_3222 Depth=4
	s_or_b32 exec_lo, exec_lo, s73
.LBB6_4486:                             ;   in Loop: Header=BB6_3222 Depth=4
	s_or_b32 exec_lo, exec_lo, s72
	v_or_b32_e32 v36, v59, v73
	s_mov_b32 s72, 0
	v_cmp_gt_i16_sdwa s16, v36, v116 src0_sel:BYTE_0 src1_sel:DWORD
	s_and_saveexec_b32 s73, s16
	s_xor_b32 s16, exec_lo, s73
	s_cbranch_execz .LBB6_5604
; %bb.4487:                             ;   in Loop: Header=BB6_3222 Depth=4
	v_cmp_eq_u16_sdwa s74, v36, v117 src0_sel:BYTE_0 src1_sel:DWORD
	s_mov_b32 s72, -1
	s_and_saveexec_b32 s73, s74
; %bb.4488:                             ;   in Loop: Header=BB6_3222 Depth=4
	s_xor_b32 s72, exec_lo, -1
; %bb.4489:                             ;   in Loop: Header=BB6_3222 Depth=4
	s_or_b32 exec_lo, exec_lo, s73
	s_and_b32 s72, s72, exec_lo
	s_or_saveexec_b32 s16, s16
	v_mov_b32_e32 v7, 0x7f800001
	s_xor_b32 exec_lo, exec_lo, s16
	s_cbranch_execnz .LBB6_5605
.LBB6_4490:                             ;   in Loop: Header=BB6_3222 Depth=4
	s_or_b32 exec_lo, exec_lo, s16
	v_lshl_or_b32 v6, v36, 16, v6
	s_and_saveexec_b32 s16, s72
	s_cbranch_execz .LBB6_4492
.LBB6_4491:                             ;   in Loop: Header=BB6_3222 Depth=4
	v_bfe_u32 v7, v6, 16, 2
	v_bfe_u32 v36, v6, 18, 5
	v_ffbh_u32_e32 v37, v7
	v_cmp_eq_u32_e32 vcc_lo, 0, v36
	v_min_u32_e32 v37, 32, v37
	v_subrev_nc_u32_e32 v101, 29, v37
	v_sub_nc_u32_e32 v37, 30, v37
	v_lshlrev_b32_sdwa v101, v101, v6 dst_sel:DWORD dst_unused:UNUSED_PAD src0_sel:DWORD src1_sel:WORD_1
	v_cndmask_b32_e32 v36, v36, v37, vcc_lo
	v_lshlrev_b32_e32 v37, 8, v6
	v_and_b32_e32 v101, 3, v101
	v_lshl_add_u32 v36, v36, 23, 0x37800000
	v_and_b32_e32 v37, 0x80000000, v37
	v_cndmask_b32_e32 v7, v7, v101, vcc_lo
	v_lshlrev_b32_e32 v7, 21, v7
	v_or3_b32 v7, v37, v36, v7
.LBB6_4492:                             ;   in Loop: Header=BB6_3222 Depth=4
	s_or_b32 exec_lo, exec_lo, s16
	v_and_b32_sdwa v37, v16, v40 dst_sel:DWORD dst_unused:UNUSED_PAD src0_sel:WORD_1 src1_sel:DWORD
	s_mov_b32 s72, 0
	s_mov_b32 s16, exec_lo
	v_cmpx_lt_i16_e32 0x7f, v37
	s_xor_b32 s16, exec_lo, s16
	s_cbranch_execz .LBB6_5606
; %bb.4493:                             ;   in Loop: Header=BB6_3222 Depth=4
	s_mov_b32 s72, -1
	s_mov_b32 s73, exec_lo
	v_cmpx_eq_u16_e32 0x80, v37
; %bb.4494:                             ;   in Loop: Header=BB6_3222 Depth=4
	s_xor_b32 s72, exec_lo, -1
; %bb.4495:                             ;   in Loop: Header=BB6_3222 Depth=4
	s_or_b32 exec_lo, exec_lo, s73
	s_and_b32 s72, s72, exec_lo
                                        ; implicit-def: $vgpr37
	s_or_saveexec_b32 s16, s16
	v_mov_b32_e32 v36, 0x7f800001
	s_xor_b32 exec_lo, exec_lo, s16
	s_cbranch_execnz .LBB6_5607
.LBB6_4496:                             ;   in Loop: Header=BB6_3222 Depth=4
	s_or_b32 exec_lo, exec_lo, s16
	s_and_saveexec_b32 s16, s72
	s_cbranch_execz .LBB6_4498
.LBB6_4497:                             ;   in Loop: Header=BB6_3222 Depth=4
	v_bfe_u32 v36, v16, 16, 2
	v_bfe_u32 v37, v16, 18, 5
	v_ffbh_u32_e32 v101, v36
	v_cmp_eq_u32_e32 vcc_lo, 0, v37
	v_min_u32_e32 v101, 32, v101
	v_subrev_nc_u32_e32 v115, 29, v101
	v_sub_nc_u32_e32 v101, 30, v101
	v_lshlrev_b32_sdwa v115, v115, v16 dst_sel:DWORD dst_unused:UNUSED_PAD src0_sel:DWORD src1_sel:WORD_1
	v_cndmask_b32_e32 v37, v37, v101, vcc_lo
	v_lshlrev_b32_e32 v101, 8, v16
	v_and_b32_e32 v115, 3, v115
	v_lshl_add_u32 v37, v37, 23, 0x37800000
	v_and_b32_e32 v101, 0x80000000, v101
	v_cndmask_b32_e32 v36, v36, v115, vcc_lo
	v_lshlrev_b32_e32 v36, 21, v36
	v_or3_b32 v36, v101, v37, v36
.LBB6_4498:                             ;   in Loop: Header=BB6_3222 Depth=4
	s_or_b32 exec_lo, exec_lo, s16
	v_add_f32_e32 v7, v7, v36
	v_mov_b32_e32 v59, 0x80
	s_mov_b32 s72, exec_lo
	v_and_b32_e32 v36, 0x7f800000, v7
	v_cmpx_ne_u32_e32 0x7f800000, v36
	s_cbranch_execz .LBB6_4506
; %bb.4499:                             ;   in Loop: Header=BB6_3222 Depth=4
	v_mov_b32_e32 v59, 0
	s_mov_b32 s73, exec_lo
	v_cmpx_ne_u32_e32 0, v7
	s_cbranch_execz .LBB6_4505
; %bb.4500:                             ;   in Loop: Header=BB6_3222 Depth=4
	v_bfe_u32 v37, v7, 23, 8
	v_and_b32_e32 v36, 0x7fffff, v7
	v_cmp_gt_u32_e64 s16, 0x71, v37
	v_sub_nc_u32_e32 v101, 0x70, v37
	v_cmp_eq_u32_e32 vcc_lo, 0, v37
	v_or_b32_e32 v115, 0x800000, v36
	v_cndmask_b32_e64 v101, 0, v101, s16
	v_cndmask_b32_e32 v36, v115, v36, vcc_lo
	v_cndmask_b32_e64 v101, v101, 0x6f, vcc_lo
	v_lshl_add_u32 v115, 0x200000, v101, -1
	v_lshlrev_b32_e64 v42, v101, 0x100000
	v_and_b32_e32 v115, v115, v36
	v_cmp_eq_u32_e64 s16, v115, v42
	v_lshrrev_b32_e32 v115, v101, v36
	v_add_nc_u32_e32 v36, 0xffffff91, v37
	v_lshrrev_b32_e32 v37, 23, v115
	v_cndmask_b32_e64 v36, v36, 0xffffff92, vcc_lo
	v_xor_b32_e32 v37, 1, v37
	v_add_nc_u32_e32 v36, v101, v36
	v_bfe_u32 v101, v115, 21, 1
	v_add_nc_u32_e32 v101, -1, v101
	v_cndmask_b32_e64 v101, 0, v101, s16
	s_mov_b32 s16, exec_lo
	v_add_nc_u32_e32 v101, v101, v115
	v_and_b32_e32 v101, 0x1fffff, v101
	v_add_nc_u32_e32 v101, v101, v115
                                        ; implicit-def: $vgpr115
	v_cmpx_ne_u32_e64 v36, v37
	s_xor_b32 s16, exec_lo, s16
; %bb.4501:                             ;   in Loop: Header=BB6_3222 Depth=4
	v_cmp_lt_u32_e32 vcc_lo, 0xffffff, v101
	v_sub_nc_u32_e32 v36, v36, v37
	v_cndmask_b32_e64 v37, 0, 1, vcc_lo
	v_add_co_ci_u32_e64 v115, null, 0, v36, vcc_lo
	v_lshrrev_b32_e32 v101, v37, v101
; %bb.4502:                             ;   in Loop: Header=BB6_3222 Depth=4
	s_andn2_saveexec_b32 s16, s16
; %bb.4503:                             ;   in Loop: Header=BB6_3222 Depth=4
	v_bfe_u32 v115, v101, 23, 1
; %bb.4504:                             ;   in Loop: Header=BB6_3222 Depth=4
	s_or_b32 exec_lo, exec_lo, s16
	v_lshrrev_b32_e32 v36, 21, v101
	v_min_i32_e32 v37, 31, v115
	v_cmp_gt_i32_e32 vcc_lo, 32, v115
	v_and_b32_sdwa v7, v7, v117 dst_sel:DWORD dst_unused:UNUSED_PAD src0_sel:BYTE_3 src1_sel:DWORD
	v_lshlrev_b32_e32 v37, 2, v37
	v_cndmask_b32_e32 v36, 3, v36, vcc_lo
	v_and_b32_e32 v37, 0xfc, v37
	v_or_b32_e32 v101, v115, v36
	v_and_b32_e32 v36, 3, v36
	v_cmp_ne_u32_e32 vcc_lo, 0, v101
	v_or3_b32 v7, v37, v7, v36
	v_cndmask_b32_e32 v59, 0, v7, vcc_lo
.LBB6_4505:                             ;   in Loop: Header=BB6_3222 Depth=4
	s_or_b32 exec_lo, exec_lo, s73
.LBB6_4506:                             ;   in Loop: Header=BB6_3222 Depth=4
	s_or_b32 exec_lo, exec_lo, s72
	v_cmp_gt_i16_sdwa s72, v6, v116 src0_sel:BYTE_3 src1_sel:DWORD
	s_mov_b32 s16, 0
	s_and_saveexec_b32 s73, s72
	s_xor_b32 s72, exec_lo, s73
	s_cbranch_execz .LBB6_5608
; %bb.4507:                             ;   in Loop: Header=BB6_3222 Depth=4
	v_cmp_eq_u16_sdwa s74, v6, v117 src0_sel:BYTE_3 src1_sel:DWORD
	s_mov_b32 s16, -1
	s_and_saveexec_b32 s73, s74
; %bb.4508:                             ;   in Loop: Header=BB6_3222 Depth=4
	s_xor_b32 s16, exec_lo, -1
; %bb.4509:                             ;   in Loop: Header=BB6_3222 Depth=4
	s_or_b32 exec_lo, exec_lo, s73
	s_and_b32 s16, s16, exec_lo
	s_or_saveexec_b32 s72, s72
	v_mov_b32_e32 v7, 0x7f800001
	s_xor_b32 exec_lo, exec_lo, s72
	s_cbranch_execnz .LBB6_5609
.LBB6_4510:                             ;   in Loop: Header=BB6_3222 Depth=4
	s_or_b32 exec_lo, exec_lo, s72
	s_and_saveexec_b32 s72, s16
	s_cbranch_execz .LBB6_4512
.LBB6_4511:                             ;   in Loop: Header=BB6_3222 Depth=4
	v_bfe_u32 v7, v6, 24, 2
	v_bfe_u32 v101, v6, 26, 5
	v_ffbh_u32_e32 v36, v7
	v_cmp_eq_u32_e32 vcc_lo, 0, v101
	v_min_u32_e32 v36, 32, v36
	v_subrev_nc_u32_e32 v37, 29, v36
	v_sub_nc_u32_e32 v36, 30, v36
	v_lshlrev_b32_sdwa v37, v37, v6 dst_sel:DWORD dst_unused:UNUSED_PAD src0_sel:DWORD src1_sel:BYTE_3
	v_cndmask_b32_e32 v36, v101, v36, vcc_lo
	v_and_b32_e32 v6, 0x80000000, v6
	v_and_b32_e32 v37, 3, v37
	v_lshl_add_u32 v36, v36, 23, 0x37800000
	v_cndmask_b32_e32 v7, v7, v37, vcc_lo
	v_lshlrev_b32_e32 v7, 21, v7
	v_or3_b32 v7, v6, v36, v7
.LBB6_4512:                             ;   in Loop: Header=BB6_3222 Depth=4
	s_or_b32 exec_lo, exec_lo, s72
	v_cmp_gt_i16_sdwa s72, v16, v116 src0_sel:BYTE_3 src1_sel:DWORD
	s_mov_b32 s16, 0
	s_and_saveexec_b32 s73, s72
	s_xor_b32 s72, exec_lo, s73
	s_cbranch_execz .LBB6_5610
; %bb.4513:                             ;   in Loop: Header=BB6_3222 Depth=4
	v_cmp_eq_u16_sdwa s74, v16, v117 src0_sel:BYTE_3 src1_sel:DWORD
	s_mov_b32 s16, -1
	s_and_saveexec_b32 s73, s74
; %bb.4514:                             ;   in Loop: Header=BB6_3222 Depth=4
	s_xor_b32 s16, exec_lo, -1
; %bb.4515:                             ;   in Loop: Header=BB6_3222 Depth=4
	s_or_b32 exec_lo, exec_lo, s73
	s_and_b32 s16, s16, exec_lo
	s_or_saveexec_b32 s72, s72
	v_mov_b32_e32 v6, 0x7f800001
	s_xor_b32 exec_lo, exec_lo, s72
	s_cbranch_execnz .LBB6_5611
.LBB6_4516:                             ;   in Loop: Header=BB6_3222 Depth=4
	s_or_b32 exec_lo, exec_lo, s72
	s_and_saveexec_b32 s72, s16
	s_cbranch_execz .LBB6_4518
.LBB6_4517:                             ;   in Loop: Header=BB6_3222 Depth=4
	v_bfe_u32 v6, v16, 24, 2
	v_bfe_u32 v101, v16, 26, 5
	v_ffbh_u32_e32 v36, v6
	v_cmp_eq_u32_e32 vcc_lo, 0, v101
	v_min_u32_e32 v36, 32, v36
	v_subrev_nc_u32_e32 v37, 29, v36
	v_sub_nc_u32_e32 v36, 30, v36
	v_lshlrev_b32_sdwa v37, v37, v16 dst_sel:DWORD dst_unused:UNUSED_PAD src0_sel:DWORD src1_sel:BYTE_3
	v_cndmask_b32_e32 v36, v101, v36, vcc_lo
	v_and_b32_e32 v16, 0x80000000, v16
	v_and_b32_e32 v37, 3, v37
	v_lshl_add_u32 v36, v36, 23, 0x37800000
	v_cndmask_b32_e32 v6, v6, v37, vcc_lo
	v_lshlrev_b32_e32 v6, 21, v6
	v_or3_b32 v6, v16, v36, v6
.LBB6_4518:                             ;   in Loop: Header=BB6_3222 Depth=4
	s_or_b32 exec_lo, exec_lo, s72
	v_add_f32_e32 v6, v7, v6
	v_mov_b32_e32 v16, 0x8000
	s_mov_b32 s72, exec_lo
	v_and_b32_e32 v7, 0x7f800000, v6
	v_cmpx_ne_u32_e32 0x7f800000, v7
	s_cbranch_execz .LBB6_4526
; %bb.4519:                             ;   in Loop: Header=BB6_3222 Depth=4
	v_mov_b32_e32 v16, 0
	s_mov_b32 s73, exec_lo
	v_cmpx_ne_u32_e32 0, v6
	s_cbranch_execz .LBB6_4525
; %bb.4520:                             ;   in Loop: Header=BB6_3222 Depth=4
	v_bfe_u32 v16, v6, 23, 8
	v_and_b32_e32 v7, 0x7fffff, v6
	v_cmp_gt_u32_e64 s16, 0x71, v16
	v_sub_nc_u32_e32 v36, 0x70, v16
	v_cmp_eq_u32_e32 vcc_lo, 0, v16
	v_or_b32_e32 v37, 0x800000, v7
	v_cndmask_b32_e64 v36, 0, v36, s16
	v_cndmask_b32_e32 v7, v37, v7, vcc_lo
	v_cndmask_b32_e64 v36, v36, 0x6f, vcc_lo
	v_lshl_add_u32 v37, 0x200000, v36, -1
	v_lshlrev_b32_e64 v101, v36, 0x100000
	v_and_b32_e32 v37, v37, v7
	v_cmp_eq_u32_e64 s16, v37, v101
	v_lshrrev_b32_e32 v37, v36, v7
	v_add_nc_u32_e32 v7, 0xffffff91, v16
	v_lshrrev_b32_e32 v16, 23, v37
	v_cndmask_b32_e64 v7, v7, 0xffffff92, vcc_lo
	v_xor_b32_e32 v16, 1, v16
	v_add_nc_u32_e32 v7, v36, v7
	v_bfe_u32 v36, v37, 21, 1
	v_add_nc_u32_e32 v36, -1, v36
	v_cndmask_b32_e64 v36, 0, v36, s16
	s_mov_b32 s16, exec_lo
	v_add_nc_u32_e32 v36, v36, v37
	v_and_b32_e32 v36, 0x1fffff, v36
	v_add_nc_u32_e32 v36, v36, v37
                                        ; implicit-def: $vgpr37
	v_cmpx_ne_u32_e64 v7, v16
	s_xor_b32 s16, exec_lo, s16
; %bb.4521:                             ;   in Loop: Header=BB6_3222 Depth=4
	v_cmp_lt_u32_e32 vcc_lo, 0xffffff, v36
	v_sub_nc_u32_e32 v7, v7, v16
	v_cndmask_b32_e64 v16, 0, 1, vcc_lo
	v_add_co_ci_u32_e64 v37, null, 0, v7, vcc_lo
	v_lshrrev_b32_e32 v36, v16, v36
; %bb.4522:                             ;   in Loop: Header=BB6_3222 Depth=4
	s_andn2_saveexec_b32 s16, s16
; %bb.4523:                             ;   in Loop: Header=BB6_3222 Depth=4
	v_bfe_u32 v37, v36, 23, 1
; %bb.4524:                             ;   in Loop: Header=BB6_3222 Depth=4
	s_or_b32 exec_lo, exec_lo, s16
	v_lshrrev_b32_e32 v7, 21, v36
	v_min_i32_e32 v16, 31, v37
	v_cmp_gt_i32_e32 vcc_lo, 32, v37
	v_and_b32_sdwa v6, v6, v117 dst_sel:DWORD dst_unused:UNUSED_PAD src0_sel:BYTE_3 src1_sel:DWORD
	v_lshlrev_b32_e32 v16, 2, v16
	v_cndmask_b32_e32 v7, 3, v7, vcc_lo
	v_and_b32_e32 v16, 0xfc, v16
	v_or_b32_e32 v36, v37, v7
	v_and_b32_e32 v7, 3, v7
	v_cmp_ne_u32_e32 vcc_lo, 0, v36
	v_or3_b32 v6, v6, v16, v7
	v_lshlrev_b32_e32 v6, 8, v6
	v_cndmask_b32_e32 v16, 0, v6, vcc_lo
.LBB6_4525:                             ;   in Loop: Header=BB6_3222 Depth=4
	s_or_b32 exec_lo, exec_lo, s73
.LBB6_4526:                             ;   in Loop: Header=BB6_3222 Depth=4
	s_or_b32 exec_lo, exec_lo, s72
	v_or_b32_e32 v6, v72, v61
	s_mov_b32 s72, 0
	v_cmp_gt_i16_sdwa s16, v6, v116 src0_sel:BYTE_0 src1_sel:DWORD
	s_and_saveexec_b32 s73, s16
	s_xor_b32 s16, exec_lo, s73
	s_cbranch_execz .LBB6_5612
; %bb.4527:                             ;   in Loop: Header=BB6_3222 Depth=4
	v_cmp_eq_u16_sdwa s74, v6, v117 src0_sel:BYTE_0 src1_sel:DWORD
	s_mov_b32 s72, -1
	s_and_saveexec_b32 s73, s74
; %bb.4528:                             ;   in Loop: Header=BB6_3222 Depth=4
	s_xor_b32 s72, exec_lo, -1
; %bb.4529:                             ;   in Loop: Header=BB6_3222 Depth=4
	s_or_b32 exec_lo, exec_lo, s73
	s_and_b32 s72, s72, exec_lo
	s_or_saveexec_b32 s16, s16
	v_mov_b32_e32 v7, 0x7f800001
	s_xor_b32 exec_lo, exec_lo, s16
	s_cbranch_execnz .LBB6_5613
.LBB6_4530:                             ;   in Loop: Header=BB6_3222 Depth=4
	s_or_b32 exec_lo, exec_lo, s16
	s_and_saveexec_b32 s16, s72
	s_cbranch_execz .LBB6_4532
.LBB6_4531:                             ;   in Loop: Header=BB6_3222 Depth=4
	v_and_b32_e32 v7, 3, v6
	v_bfe_u32 v36, v6, 2, 5
	v_ffbh_u32_e32 v37, v7
	v_cmp_eq_u32_e32 vcc_lo, 0, v36
	v_min_u32_e32 v37, 32, v37
	v_subrev_nc_u32_e32 v101, 29, v37
	v_sub_nc_u32_e32 v37, 30, v37
	v_lshlrev_b32_e32 v101, v101, v6
	v_cndmask_b32_e32 v36, v36, v37, vcc_lo
	v_lshlrev_b32_e32 v37, 24, v6
	v_and_b32_e32 v101, 3, v101
	v_lshl_add_u32 v36, v36, 23, 0x37800000
	v_and_b32_e32 v37, 0x80000000, v37
	v_cndmask_b32_e32 v7, v7, v101, vcc_lo
	v_lshlrev_b32_e32 v7, 21, v7
	v_or3_b32 v7, v37, v36, v7
.LBB6_4532:                             ;   in Loop: Header=BB6_3222 Depth=4
	s_or_b32 exec_lo, exec_lo, s16
	v_cmp_gt_i16_sdwa s16, v17, v116 src0_sel:BYTE_0 src1_sel:DWORD
	s_mov_b32 s72, 0
	s_and_saveexec_b32 s73, s16
	s_xor_b32 s16, exec_lo, s73
	s_cbranch_execz .LBB6_5614
; %bb.4533:                             ;   in Loop: Header=BB6_3222 Depth=4
	v_cmp_eq_u16_sdwa s74, v17, v117 src0_sel:BYTE_0 src1_sel:DWORD
	s_mov_b32 s72, -1
	s_and_saveexec_b32 s73, s74
; %bb.4534:                             ;   in Loop: Header=BB6_3222 Depth=4
	s_xor_b32 s72, exec_lo, -1
; %bb.4535:                             ;   in Loop: Header=BB6_3222 Depth=4
	s_or_b32 exec_lo, exec_lo, s73
	s_and_b32 s72, s72, exec_lo
	s_or_saveexec_b32 s16, s16
	v_mov_b32_e32 v36, 0x7f800001
	s_xor_b32 exec_lo, exec_lo, s16
	s_cbranch_execnz .LBB6_5615
.LBB6_4536:                             ;   in Loop: Header=BB6_3222 Depth=4
	s_or_b32 exec_lo, exec_lo, s16
	s_and_saveexec_b32 s16, s72
	s_cbranch_execz .LBB6_4538
.LBB6_4537:                             ;   in Loop: Header=BB6_3222 Depth=4
	v_and_b32_e32 v36, 3, v17
	v_bfe_u32 v37, v17, 2, 5
	v_ffbh_u32_e32 v101, v36
	v_cmp_eq_u32_e32 vcc_lo, 0, v37
	v_min_u32_e32 v101, 32, v101
	v_subrev_nc_u32_e32 v115, 29, v101
	v_sub_nc_u32_e32 v101, 30, v101
	v_lshlrev_b32_e32 v115, v115, v17
	v_cndmask_b32_e32 v37, v37, v101, vcc_lo
	v_lshlrev_b32_e32 v101, 24, v17
	v_and_b32_e32 v115, 3, v115
	v_lshl_add_u32 v37, v37, 23, 0x37800000
	v_and_b32_e32 v101, 0x80000000, v101
	v_cndmask_b32_e32 v36, v36, v115, vcc_lo
	v_lshlrev_b32_e32 v36, 21, v36
	v_or3_b32 v36, v101, v37, v36
.LBB6_4538:                             ;   in Loop: Header=BB6_3222 Depth=4
	s_or_b32 exec_lo, exec_lo, s16
	v_add_f32_e32 v7, v7, v36
	v_mov_b32_e32 v61, 0x80
	s_mov_b32 s72, exec_lo
	v_and_b32_e32 v36, 0x7f800000, v7
	v_cmpx_ne_u32_e32 0x7f800000, v36
	s_cbranch_execz .LBB6_4546
; %bb.4539:                             ;   in Loop: Header=BB6_3222 Depth=4
	v_mov_b32_e32 v61, 0
	s_mov_b32 s73, exec_lo
	v_cmpx_ne_u32_e32 0, v7
	s_cbranch_execz .LBB6_4545
; %bb.4540:                             ;   in Loop: Header=BB6_3222 Depth=4
	v_bfe_u32 v37, v7, 23, 8
	v_and_b32_e32 v36, 0x7fffff, v7
	v_cmp_gt_u32_e64 s16, 0x71, v37
	v_sub_nc_u32_e32 v101, 0x70, v37
	v_cmp_eq_u32_e32 vcc_lo, 0, v37
	v_or_b32_e32 v115, 0x800000, v36
	v_cndmask_b32_e64 v101, 0, v101, s16
	v_cndmask_b32_e32 v36, v115, v36, vcc_lo
	v_cndmask_b32_e64 v101, v101, 0x6f, vcc_lo
	v_lshl_add_u32 v115, 0x200000, v101, -1
	v_lshlrev_b32_e64 v42, v101, 0x100000
	v_and_b32_e32 v115, v115, v36
	v_cmp_eq_u32_e64 s16, v115, v42
	v_lshrrev_b32_e32 v115, v101, v36
	v_add_nc_u32_e32 v36, 0xffffff91, v37
	v_lshrrev_b32_e32 v37, 23, v115
	v_cndmask_b32_e64 v36, v36, 0xffffff92, vcc_lo
	v_xor_b32_e32 v37, 1, v37
	v_add_nc_u32_e32 v36, v101, v36
	v_bfe_u32 v101, v115, 21, 1
	v_add_nc_u32_e32 v101, -1, v101
	v_cndmask_b32_e64 v101, 0, v101, s16
	s_mov_b32 s16, exec_lo
	v_add_nc_u32_e32 v101, v101, v115
	v_and_b32_e32 v101, 0x1fffff, v101
	v_add_nc_u32_e32 v101, v101, v115
                                        ; implicit-def: $vgpr115
	v_cmpx_ne_u32_e64 v36, v37
	s_xor_b32 s16, exec_lo, s16
; %bb.4541:                             ;   in Loop: Header=BB6_3222 Depth=4
	v_cmp_lt_u32_e32 vcc_lo, 0xffffff, v101
	v_sub_nc_u32_e32 v36, v36, v37
	v_cndmask_b32_e64 v37, 0, 1, vcc_lo
	v_add_co_ci_u32_e64 v115, null, 0, v36, vcc_lo
	v_lshrrev_b32_e32 v101, v37, v101
; %bb.4542:                             ;   in Loop: Header=BB6_3222 Depth=4
	s_andn2_saveexec_b32 s16, s16
; %bb.4543:                             ;   in Loop: Header=BB6_3222 Depth=4
	v_bfe_u32 v115, v101, 23, 1
; %bb.4544:                             ;   in Loop: Header=BB6_3222 Depth=4
	s_or_b32 exec_lo, exec_lo, s16
	v_lshrrev_b32_e32 v36, 21, v101
	v_min_i32_e32 v37, 31, v115
	v_cmp_gt_i32_e32 vcc_lo, 32, v115
	v_and_b32_sdwa v7, v7, v117 dst_sel:DWORD dst_unused:UNUSED_PAD src0_sel:BYTE_3 src1_sel:DWORD
	v_lshlrev_b32_e32 v37, 2, v37
	v_cndmask_b32_e32 v36, 3, v36, vcc_lo
	v_and_b32_e32 v37, 0xfc, v37
	v_or_b32_e32 v101, v115, v36
	v_and_b32_e32 v36, 3, v36
	v_cmp_ne_u32_e32 vcc_lo, 0, v101
	v_or3_b32 v7, v37, v7, v36
	v_cndmask_b32_e32 v61, 0, v7, vcc_lo
.LBB6_4545:                             ;   in Loop: Header=BB6_3222 Depth=4
	s_or_b32 exec_lo, exec_lo, s73
.LBB6_4546:                             ;   in Loop: Header=BB6_3222 Depth=4
	s_or_b32 exec_lo, exec_lo, s72
	v_cmp_gt_i16_sdwa s72, v6, v116 src0_sel:BYTE_1 src1_sel:DWORD
	s_mov_b32 s16, 0
	s_and_saveexec_b32 s73, s72
	s_xor_b32 s72, exec_lo, s73
	s_cbranch_execz .LBB6_5616
; %bb.4547:                             ;   in Loop: Header=BB6_3222 Depth=4
	v_cmp_eq_u16_sdwa s74, v6, v117 src0_sel:BYTE_1 src1_sel:DWORD
	s_mov_b32 s16, -1
	s_and_saveexec_b32 s73, s74
; %bb.4548:                             ;   in Loop: Header=BB6_3222 Depth=4
	s_xor_b32 s16, exec_lo, -1
; %bb.4549:                             ;   in Loop: Header=BB6_3222 Depth=4
	s_or_b32 exec_lo, exec_lo, s73
	s_and_b32 s16, s16, exec_lo
	s_or_saveexec_b32 s72, s72
	v_mov_b32_e32 v7, 0x7f800001
	s_xor_b32 exec_lo, exec_lo, s72
	s_cbranch_execnz .LBB6_5617
.LBB6_4550:                             ;   in Loop: Header=BB6_3222 Depth=4
	s_or_b32 exec_lo, exec_lo, s72
	s_and_saveexec_b32 s72, s16
	s_cbranch_execz .LBB6_4552
.LBB6_4551:                             ;   in Loop: Header=BB6_3222 Depth=4
	v_and_b32_sdwa v7, v118, v6 dst_sel:DWORD dst_unused:UNUSED_PAD src0_sel:DWORD src1_sel:BYTE_1
	v_and_b32_e32 v36, 3, v7
	v_bfe_u32 v115, v7, 2, 5
	v_ffbh_u32_e32 v37, v36
	v_cmp_eq_u32_e32 vcc_lo, 0, v115
	v_min_u32_e32 v37, 32, v37
	v_subrev_nc_u32_e32 v101, 29, v37
	v_sub_nc_u32_e32 v37, 30, v37
	v_lshlrev_b32_e32 v7, v101, v7
	v_lshlrev_b32_sdwa v101, v119, v6 dst_sel:DWORD dst_unused:UNUSED_PAD src0_sel:DWORD src1_sel:BYTE_1
	v_cndmask_b32_e32 v37, v115, v37, vcc_lo
	v_and_b32_e32 v7, 3, v7
	v_lshl_add_u32 v37, v37, 23, 0x37800000
	v_cndmask_b32_e32 v7, v36, v7, vcc_lo
	v_and_b32_e32 v36, 0x80000000, v101
	v_lshlrev_b32_e32 v7, 21, v7
	v_or3_b32 v7, v36, v37, v7
.LBB6_4552:                             ;   in Loop: Header=BB6_3222 Depth=4
	s_or_b32 exec_lo, exec_lo, s72
	v_cmp_gt_i16_sdwa s72, v17, v116 src0_sel:BYTE_1 src1_sel:DWORD
	s_mov_b32 s16, 0
	s_and_saveexec_b32 s73, s72
	s_xor_b32 s72, exec_lo, s73
	s_cbranch_execz .LBB6_5618
; %bb.4553:                             ;   in Loop: Header=BB6_3222 Depth=4
	v_cmp_eq_u16_sdwa s74, v17, v117 src0_sel:BYTE_1 src1_sel:DWORD
	s_mov_b32 s16, -1
	s_and_saveexec_b32 s73, s74
; %bb.4554:                             ;   in Loop: Header=BB6_3222 Depth=4
	s_xor_b32 s16, exec_lo, -1
; %bb.4555:                             ;   in Loop: Header=BB6_3222 Depth=4
	s_or_b32 exec_lo, exec_lo, s73
	s_and_b32 s16, s16, exec_lo
	s_or_saveexec_b32 s72, s72
	v_mov_b32_e32 v36, 0x7f800001
	s_xor_b32 exec_lo, exec_lo, s72
	s_cbranch_execnz .LBB6_5619
.LBB6_4556:                             ;   in Loop: Header=BB6_3222 Depth=4
	s_or_b32 exec_lo, exec_lo, s72
	s_and_saveexec_b32 s72, s16
	s_cbranch_execz .LBB6_4558
.LBB6_4557:                             ;   in Loop: Header=BB6_3222 Depth=4
	v_and_b32_sdwa v36, v118, v17 dst_sel:DWORD dst_unused:UNUSED_PAD src0_sel:DWORD src1_sel:BYTE_1
	v_and_b32_e32 v37, 3, v36
	v_bfe_u32 v42, v36, 2, 5
	v_ffbh_u32_e32 v101, v37
	v_cmp_eq_u32_e32 vcc_lo, 0, v42
	v_min_u32_e32 v101, 32, v101
	v_subrev_nc_u32_e32 v115, 29, v101
	v_sub_nc_u32_e32 v101, 30, v101
	v_lshlrev_b32_e32 v36, v115, v36
	v_lshlrev_b32_sdwa v115, v119, v17 dst_sel:DWORD dst_unused:UNUSED_PAD src0_sel:DWORD src1_sel:BYTE_1
	v_cndmask_b32_e32 v101, v42, v101, vcc_lo
	v_and_b32_e32 v36, 3, v36
	v_lshl_add_u32 v101, v101, 23, 0x37800000
	v_cndmask_b32_e32 v36, v37, v36, vcc_lo
	v_and_b32_e32 v37, 0x80000000, v115
	v_lshlrev_b32_e32 v36, 21, v36
	v_or3_b32 v36, v37, v101, v36
.LBB6_4558:                             ;   in Loop: Header=BB6_3222 Depth=4
	s_or_b32 exec_lo, exec_lo, s72
	v_add_f32_e32 v7, v7, v36
	v_mov_b32_e32 v115, 0x8000
	s_mov_b32 s72, exec_lo
	v_and_b32_e32 v36, 0x7f800000, v7
	v_cmpx_ne_u32_e32 0x7f800000, v36
	s_cbranch_execz .LBB6_4566
; %bb.4559:                             ;   in Loop: Header=BB6_3222 Depth=4
	v_mov_b32_e32 v115, 0
	s_mov_b32 s73, exec_lo
	v_cmpx_ne_u32_e32 0, v7
	s_cbranch_execz .LBB6_4565
; %bb.4560:                             ;   in Loop: Header=BB6_3222 Depth=4
	v_bfe_u32 v37, v7, 23, 8
	v_and_b32_e32 v36, 0x7fffff, v7
	v_cmp_gt_u32_e64 s16, 0x71, v37
	v_sub_nc_u32_e32 v101, 0x70, v37
	v_cmp_eq_u32_e32 vcc_lo, 0, v37
	v_or_b32_e32 v115, 0x800000, v36
	v_cndmask_b32_e64 v101, 0, v101, s16
	v_cndmask_b32_e32 v36, v115, v36, vcc_lo
	v_cndmask_b32_e64 v101, v101, 0x6f, vcc_lo
	v_lshl_add_u32 v115, 0x200000, v101, -1
	v_lshlrev_b32_e64 v42, v101, 0x100000
	v_and_b32_e32 v115, v115, v36
	v_cmp_eq_u32_e64 s16, v115, v42
	v_lshrrev_b32_e32 v115, v101, v36
	v_add_nc_u32_e32 v36, 0xffffff91, v37
	v_lshrrev_b32_e32 v37, 23, v115
	v_cndmask_b32_e64 v36, v36, 0xffffff92, vcc_lo
	v_xor_b32_e32 v37, 1, v37
	v_add_nc_u32_e32 v36, v101, v36
	v_bfe_u32 v101, v115, 21, 1
	v_add_nc_u32_e32 v101, -1, v101
	v_cndmask_b32_e64 v101, 0, v101, s16
	s_mov_b32 s16, exec_lo
	v_add_nc_u32_e32 v101, v101, v115
	v_and_b32_e32 v101, 0x1fffff, v101
	v_add_nc_u32_e32 v101, v101, v115
                                        ; implicit-def: $vgpr115
	v_cmpx_ne_u32_e64 v36, v37
	s_xor_b32 s16, exec_lo, s16
; %bb.4561:                             ;   in Loop: Header=BB6_3222 Depth=4
	v_cmp_lt_u32_e32 vcc_lo, 0xffffff, v101
	v_sub_nc_u32_e32 v36, v36, v37
	v_cndmask_b32_e64 v37, 0, 1, vcc_lo
	v_add_co_ci_u32_e64 v115, null, 0, v36, vcc_lo
	v_lshrrev_b32_e32 v101, v37, v101
; %bb.4562:                             ;   in Loop: Header=BB6_3222 Depth=4
	s_andn2_saveexec_b32 s16, s16
; %bb.4563:                             ;   in Loop: Header=BB6_3222 Depth=4
	v_bfe_u32 v115, v101, 23, 1
; %bb.4564:                             ;   in Loop: Header=BB6_3222 Depth=4
	s_or_b32 exec_lo, exec_lo, s16
	v_lshrrev_b32_e32 v36, 21, v101
	v_min_i32_e32 v37, 31, v115
	v_cmp_gt_i32_e32 vcc_lo, 32, v115
	v_and_b32_sdwa v7, v7, v117 dst_sel:DWORD dst_unused:UNUSED_PAD src0_sel:BYTE_3 src1_sel:DWORD
	v_lshlrev_b32_e32 v37, 2, v37
	v_cndmask_b32_e32 v36, 3, v36, vcc_lo
	v_and_b32_e32 v37, 0xfc, v37
	v_or_b32_e32 v101, v115, v36
	v_and_b32_e32 v36, 3, v36
	v_cmp_ne_u32_e32 vcc_lo, 0, v101
	v_or3_b32 v7, v7, v37, v36
	v_lshlrev_b32_e32 v7, 8, v7
	v_cndmask_b32_e32 v115, 0, v7, vcc_lo
.LBB6_4565:                             ;   in Loop: Header=BB6_3222 Depth=4
	s_or_b32 exec_lo, exec_lo, s73
.LBB6_4566:                             ;   in Loop: Header=BB6_3222 Depth=4
	s_or_b32 exec_lo, exec_lo, s72
	v_or_b32_e32 v36, v55, v75
	s_mov_b32 s72, 0
	v_cmp_gt_i16_sdwa s16, v36, v116 src0_sel:BYTE_0 src1_sel:DWORD
	s_and_saveexec_b32 s73, s16
	s_xor_b32 s16, exec_lo, s73
	s_cbranch_execz .LBB6_5620
; %bb.4567:                             ;   in Loop: Header=BB6_3222 Depth=4
	v_cmp_eq_u16_sdwa s74, v36, v117 src0_sel:BYTE_0 src1_sel:DWORD
	s_mov_b32 s72, -1
	s_and_saveexec_b32 s73, s74
; %bb.4568:                             ;   in Loop: Header=BB6_3222 Depth=4
	s_xor_b32 s72, exec_lo, -1
; %bb.4569:                             ;   in Loop: Header=BB6_3222 Depth=4
	s_or_b32 exec_lo, exec_lo, s73
	s_and_b32 s72, s72, exec_lo
	s_or_saveexec_b32 s16, s16
	v_mov_b32_e32 v7, 0x7f800001
	s_xor_b32 exec_lo, exec_lo, s16
	s_cbranch_execnz .LBB6_5621
.LBB6_4570:                             ;   in Loop: Header=BB6_3222 Depth=4
	s_or_b32 exec_lo, exec_lo, s16
	v_lshl_or_b32 v6, v36, 16, v6
	s_and_saveexec_b32 s16, s72
	s_cbranch_execz .LBB6_4572
.LBB6_4571:                             ;   in Loop: Header=BB6_3222 Depth=4
	v_bfe_u32 v7, v6, 16, 2
	v_bfe_u32 v36, v6, 18, 5
	v_ffbh_u32_e32 v37, v7
	v_cmp_eq_u32_e32 vcc_lo, 0, v36
	v_min_u32_e32 v37, 32, v37
	v_subrev_nc_u32_e32 v55, 29, v37
	v_sub_nc_u32_e32 v37, 30, v37
	v_lshlrev_b32_sdwa v55, v55, v6 dst_sel:DWORD dst_unused:UNUSED_PAD src0_sel:DWORD src1_sel:WORD_1
	v_cndmask_b32_e32 v36, v36, v37, vcc_lo
	v_lshlrev_b32_e32 v37, 8, v6
	v_and_b32_e32 v55, 3, v55
	v_lshl_add_u32 v36, v36, 23, 0x37800000
	v_and_b32_e32 v37, 0x80000000, v37
	v_cndmask_b32_e32 v7, v7, v55, vcc_lo
	v_lshlrev_b32_e32 v7, 21, v7
	v_or3_b32 v7, v37, v36, v7
.LBB6_4572:                             ;   in Loop: Header=BB6_3222 Depth=4
	s_or_b32 exec_lo, exec_lo, s16
	v_and_b32_sdwa v37, v17, v40 dst_sel:DWORD dst_unused:UNUSED_PAD src0_sel:WORD_1 src1_sel:DWORD
	s_mov_b32 s72, 0
	s_mov_b32 s16, exec_lo
	v_cmpx_lt_i16_e32 0x7f, v37
	s_xor_b32 s16, exec_lo, s16
	s_cbranch_execz .LBB6_5622
; %bb.4573:                             ;   in Loop: Header=BB6_3222 Depth=4
	s_mov_b32 s72, -1
	s_mov_b32 s73, exec_lo
	v_cmpx_eq_u16_e32 0x80, v37
; %bb.4574:                             ;   in Loop: Header=BB6_3222 Depth=4
	s_xor_b32 s72, exec_lo, -1
; %bb.4575:                             ;   in Loop: Header=BB6_3222 Depth=4
	s_or_b32 exec_lo, exec_lo, s73
	s_and_b32 s72, s72, exec_lo
                                        ; implicit-def: $vgpr37
	s_or_saveexec_b32 s16, s16
	v_mov_b32_e32 v36, 0x7f800001
	s_xor_b32 exec_lo, exec_lo, s16
	s_cbranch_execnz .LBB6_5623
.LBB6_4576:                             ;   in Loop: Header=BB6_3222 Depth=4
	s_or_b32 exec_lo, exec_lo, s16
	s_and_saveexec_b32 s16, s72
	s_cbranch_execz .LBB6_4578
.LBB6_4577:                             ;   in Loop: Header=BB6_3222 Depth=4
	v_bfe_u32 v36, v17, 16, 2
	v_bfe_u32 v37, v17, 18, 5
	v_ffbh_u32_e32 v55, v36
	v_cmp_eq_u32_e32 vcc_lo, 0, v37
	v_min_u32_e32 v55, 32, v55
	v_subrev_nc_u32_e32 v101, 29, v55
	v_sub_nc_u32_e32 v55, 30, v55
	v_lshlrev_b32_sdwa v101, v101, v17 dst_sel:DWORD dst_unused:UNUSED_PAD src0_sel:DWORD src1_sel:WORD_1
	v_cndmask_b32_e32 v37, v37, v55, vcc_lo
	v_lshlrev_b32_e32 v55, 8, v17
	v_and_b32_e32 v101, 3, v101
	v_lshl_add_u32 v37, v37, 23, 0x37800000
	v_and_b32_e32 v55, 0x80000000, v55
	v_cndmask_b32_e32 v36, v36, v101, vcc_lo
	v_lshlrev_b32_e32 v36, 21, v36
	v_or3_b32 v36, v55, v37, v36
.LBB6_4578:                             ;   in Loop: Header=BB6_3222 Depth=4
	s_or_b32 exec_lo, exec_lo, s16
	v_add_f32_e32 v7, v7, v36
	v_mov_b32_e32 v55, 0x80
	s_mov_b32 s72, exec_lo
	v_and_b32_e32 v36, 0x7f800000, v7
	v_cmpx_ne_u32_e32 0x7f800000, v36
	s_cbranch_execz .LBB6_4586
; %bb.4579:                             ;   in Loop: Header=BB6_3222 Depth=4
	v_mov_b32_e32 v55, 0
	s_mov_b32 s73, exec_lo
	v_cmpx_ne_u32_e32 0, v7
	s_cbranch_execz .LBB6_4585
; %bb.4580:                             ;   in Loop: Header=BB6_3222 Depth=4
	v_bfe_u32 v37, v7, 23, 8
	v_and_b32_e32 v36, 0x7fffff, v7
	v_cmp_gt_u32_e64 s16, 0x71, v37
	v_sub_nc_u32_e32 v55, 0x70, v37
	v_cmp_eq_u32_e32 vcc_lo, 0, v37
	v_or_b32_e32 v101, 0x800000, v36
	v_cndmask_b32_e64 v55, 0, v55, s16
	v_cndmask_b32_e32 v36, v101, v36, vcc_lo
	v_cndmask_b32_e64 v55, v55, 0x6f, vcc_lo
	v_lshl_add_u32 v101, 0x200000, v55, -1
	v_lshlrev_b32_e64 v42, v55, 0x100000
	v_and_b32_e32 v101, v101, v36
	v_cmp_eq_u32_e64 s16, v101, v42
	v_lshrrev_b32_e32 v101, v55, v36
	v_add_nc_u32_e32 v36, 0xffffff91, v37
	v_lshrrev_b32_e32 v37, 23, v101
	v_cndmask_b32_e64 v36, v36, 0xffffff92, vcc_lo
	v_xor_b32_e32 v37, 1, v37
	v_add_nc_u32_e32 v36, v55, v36
	v_bfe_u32 v55, v101, 21, 1
	v_add_nc_u32_e32 v55, -1, v55
	v_cndmask_b32_e64 v55, 0, v55, s16
	s_mov_b32 s16, exec_lo
	v_add_nc_u32_e32 v55, v55, v101
	v_and_b32_e32 v55, 0x1fffff, v55
	v_add_nc_u32_e32 v55, v55, v101
                                        ; implicit-def: $vgpr101
	v_cmpx_ne_u32_e64 v36, v37
	s_xor_b32 s16, exec_lo, s16
; %bb.4581:                             ;   in Loop: Header=BB6_3222 Depth=4
	v_cmp_lt_u32_e32 vcc_lo, 0xffffff, v55
	v_sub_nc_u32_e32 v36, v36, v37
	v_cndmask_b32_e64 v37, 0, 1, vcc_lo
	v_add_co_ci_u32_e64 v101, null, 0, v36, vcc_lo
	v_lshrrev_b32_e32 v55, v37, v55
; %bb.4582:                             ;   in Loop: Header=BB6_3222 Depth=4
	s_andn2_saveexec_b32 s16, s16
; %bb.4583:                             ;   in Loop: Header=BB6_3222 Depth=4
	v_bfe_u32 v101, v55, 23, 1
; %bb.4584:                             ;   in Loop: Header=BB6_3222 Depth=4
	s_or_b32 exec_lo, exec_lo, s16
	v_lshrrev_b32_e32 v36, 21, v55
	v_min_i32_e32 v37, 31, v101
	v_cmp_gt_i32_e32 vcc_lo, 32, v101
	v_and_b32_sdwa v7, v7, v117 dst_sel:DWORD dst_unused:UNUSED_PAD src0_sel:BYTE_3 src1_sel:DWORD
	v_lshlrev_b32_e32 v37, 2, v37
	v_cndmask_b32_e32 v36, 3, v36, vcc_lo
	v_and_b32_e32 v37, 0xfc, v37
	v_or_b32_e32 v55, v101, v36
	v_and_b32_e32 v36, 3, v36
	v_cmp_ne_u32_e32 vcc_lo, 0, v55
	v_or3_b32 v7, v37, v7, v36
	v_cndmask_b32_e32 v55, 0, v7, vcc_lo
.LBB6_4585:                             ;   in Loop: Header=BB6_3222 Depth=4
	s_or_b32 exec_lo, exec_lo, s73
.LBB6_4586:                             ;   in Loop: Header=BB6_3222 Depth=4
	s_or_b32 exec_lo, exec_lo, s72
	v_cmp_gt_i16_sdwa s72, v6, v116 src0_sel:BYTE_3 src1_sel:DWORD
	s_mov_b32 s16, 0
	s_and_saveexec_b32 s73, s72
	s_xor_b32 s72, exec_lo, s73
	s_cbranch_execz .LBB6_5624
; %bb.4587:                             ;   in Loop: Header=BB6_3222 Depth=4
	v_cmp_eq_u16_sdwa s74, v6, v117 src0_sel:BYTE_3 src1_sel:DWORD
	s_mov_b32 s16, -1
	s_and_saveexec_b32 s73, s74
; %bb.4588:                             ;   in Loop: Header=BB6_3222 Depth=4
	s_xor_b32 s16, exec_lo, -1
; %bb.4589:                             ;   in Loop: Header=BB6_3222 Depth=4
	s_or_b32 exec_lo, exec_lo, s73
	s_and_b32 s16, s16, exec_lo
	s_or_saveexec_b32 s72, s72
	v_mov_b32_e32 v7, 0x7f800001
	s_xor_b32 exec_lo, exec_lo, s72
	s_cbranch_execnz .LBB6_5625
.LBB6_4590:                             ;   in Loop: Header=BB6_3222 Depth=4
	s_or_b32 exec_lo, exec_lo, s72
	s_and_saveexec_b32 s72, s16
	s_cbranch_execz .LBB6_4592
.LBB6_4591:                             ;   in Loop: Header=BB6_3222 Depth=4
	v_bfe_u32 v7, v6, 24, 2
	v_bfe_u32 v101, v6, 26, 5
	v_ffbh_u32_e32 v36, v7
	v_cmp_eq_u32_e32 vcc_lo, 0, v101
	v_min_u32_e32 v36, 32, v36
	v_subrev_nc_u32_e32 v37, 29, v36
	v_sub_nc_u32_e32 v36, 30, v36
	v_lshlrev_b32_sdwa v37, v37, v6 dst_sel:DWORD dst_unused:UNUSED_PAD src0_sel:DWORD src1_sel:BYTE_3
	v_cndmask_b32_e32 v36, v101, v36, vcc_lo
	v_and_b32_e32 v6, 0x80000000, v6
	v_and_b32_e32 v37, 3, v37
	v_lshl_add_u32 v36, v36, 23, 0x37800000
	v_cndmask_b32_e32 v7, v7, v37, vcc_lo
	v_lshlrev_b32_e32 v7, 21, v7
	v_or3_b32 v7, v6, v36, v7
.LBB6_4592:                             ;   in Loop: Header=BB6_3222 Depth=4
	s_or_b32 exec_lo, exec_lo, s72
	v_cmp_gt_i16_sdwa s72, v17, v116 src0_sel:BYTE_3 src1_sel:DWORD
	s_mov_b32 s16, 0
	s_and_saveexec_b32 s73, s72
	s_xor_b32 s72, exec_lo, s73
	s_cbranch_execz .LBB6_5626
; %bb.4593:                             ;   in Loop: Header=BB6_3222 Depth=4
	v_cmp_eq_u16_sdwa s74, v17, v117 src0_sel:BYTE_3 src1_sel:DWORD
	s_mov_b32 s16, -1
	s_and_saveexec_b32 s73, s74
; %bb.4594:                             ;   in Loop: Header=BB6_3222 Depth=4
	s_xor_b32 s16, exec_lo, -1
; %bb.4595:                             ;   in Loop: Header=BB6_3222 Depth=4
	s_or_b32 exec_lo, exec_lo, s73
	s_and_b32 s16, s16, exec_lo
	s_or_saveexec_b32 s72, s72
	v_mov_b32_e32 v6, 0x7f800001
	s_xor_b32 exec_lo, exec_lo, s72
	s_cbranch_execnz .LBB6_5627
.LBB6_4596:                             ;   in Loop: Header=BB6_3222 Depth=4
	s_or_b32 exec_lo, exec_lo, s72
	s_and_saveexec_b32 s72, s16
	s_cbranch_execz .LBB6_4598
.LBB6_4597:                             ;   in Loop: Header=BB6_3222 Depth=4
	v_bfe_u32 v6, v17, 24, 2
	v_bfe_u32 v101, v17, 26, 5
	v_ffbh_u32_e32 v36, v6
	v_cmp_eq_u32_e32 vcc_lo, 0, v101
	v_min_u32_e32 v36, 32, v36
	v_subrev_nc_u32_e32 v37, 29, v36
	v_sub_nc_u32_e32 v36, 30, v36
	v_lshlrev_b32_sdwa v37, v37, v17 dst_sel:DWORD dst_unused:UNUSED_PAD src0_sel:DWORD src1_sel:BYTE_3
	v_cndmask_b32_e32 v36, v101, v36, vcc_lo
	v_and_b32_e32 v17, 0x80000000, v17
	v_and_b32_e32 v37, 3, v37
	v_lshl_add_u32 v36, v36, 23, 0x37800000
	v_cndmask_b32_e32 v6, v6, v37, vcc_lo
	v_lshlrev_b32_e32 v6, 21, v6
	v_or3_b32 v6, v17, v36, v6
.LBB6_4598:                             ;   in Loop: Header=BB6_3222 Depth=4
	s_or_b32 exec_lo, exec_lo, s72
	v_add_f32_e32 v6, v7, v6
	v_mov_b32_e32 v17, 0x8000
	s_mov_b32 s72, exec_lo
	v_and_b32_e32 v7, 0x7f800000, v6
	v_cmpx_ne_u32_e32 0x7f800000, v7
	s_cbranch_execz .LBB6_4606
; %bb.4599:                             ;   in Loop: Header=BB6_3222 Depth=4
	v_mov_b32_e32 v17, 0
	s_mov_b32 s73, exec_lo
	v_cmpx_ne_u32_e32 0, v6
	s_cbranch_execz .LBB6_4605
; %bb.4600:                             ;   in Loop: Header=BB6_3222 Depth=4
	v_bfe_u32 v17, v6, 23, 8
	v_and_b32_e32 v7, 0x7fffff, v6
	v_cmp_gt_u32_e64 s16, 0x71, v17
	v_sub_nc_u32_e32 v36, 0x70, v17
	v_cmp_eq_u32_e32 vcc_lo, 0, v17
	v_or_b32_e32 v37, 0x800000, v7
	v_cndmask_b32_e64 v36, 0, v36, s16
	v_cndmask_b32_e32 v7, v37, v7, vcc_lo
	v_cndmask_b32_e64 v36, v36, 0x6f, vcc_lo
	v_lshl_add_u32 v37, 0x200000, v36, -1
	v_lshlrev_b32_e64 v101, v36, 0x100000
	v_and_b32_e32 v37, v37, v7
	v_cmp_eq_u32_e64 s16, v37, v101
	v_lshrrev_b32_e32 v37, v36, v7
	v_add_nc_u32_e32 v7, 0xffffff91, v17
	v_lshrrev_b32_e32 v17, 23, v37
	v_cndmask_b32_e64 v7, v7, 0xffffff92, vcc_lo
	v_xor_b32_e32 v17, 1, v17
	v_add_nc_u32_e32 v7, v36, v7
	v_bfe_u32 v36, v37, 21, 1
	v_add_nc_u32_e32 v36, -1, v36
	v_cndmask_b32_e64 v36, 0, v36, s16
	s_mov_b32 s16, exec_lo
	v_add_nc_u32_e32 v36, v36, v37
	v_and_b32_e32 v36, 0x1fffff, v36
	v_add_nc_u32_e32 v36, v36, v37
                                        ; implicit-def: $vgpr37
	v_cmpx_ne_u32_e64 v7, v17
	s_xor_b32 s16, exec_lo, s16
; %bb.4601:                             ;   in Loop: Header=BB6_3222 Depth=4
	v_cmp_lt_u32_e32 vcc_lo, 0xffffff, v36
	v_sub_nc_u32_e32 v7, v7, v17
	v_cndmask_b32_e64 v17, 0, 1, vcc_lo
	v_add_co_ci_u32_e64 v37, null, 0, v7, vcc_lo
	v_lshrrev_b32_e32 v36, v17, v36
; %bb.4602:                             ;   in Loop: Header=BB6_3222 Depth=4
	s_andn2_saveexec_b32 s16, s16
; %bb.4603:                             ;   in Loop: Header=BB6_3222 Depth=4
	v_bfe_u32 v37, v36, 23, 1
; %bb.4604:                             ;   in Loop: Header=BB6_3222 Depth=4
	s_or_b32 exec_lo, exec_lo, s16
	v_lshrrev_b32_e32 v7, 21, v36
	v_min_i32_e32 v17, 31, v37
	v_cmp_gt_i32_e32 vcc_lo, 32, v37
	v_and_b32_sdwa v6, v6, v117 dst_sel:DWORD dst_unused:UNUSED_PAD src0_sel:BYTE_3 src1_sel:DWORD
	v_lshlrev_b32_e32 v17, 2, v17
	v_cndmask_b32_e32 v7, 3, v7, vcc_lo
	v_and_b32_e32 v17, 0xfc, v17
	v_or_b32_e32 v36, v37, v7
	v_and_b32_e32 v7, 3, v7
	v_cmp_ne_u32_e32 vcc_lo, 0, v36
	v_or3_b32 v6, v6, v17, v7
	v_lshlrev_b32_e32 v6, 8, v6
	v_cndmask_b32_e32 v17, 0, v6, vcc_lo
.LBB6_4605:                             ;   in Loop: Header=BB6_3222 Depth=4
	s_or_b32 exec_lo, exec_lo, s73
.LBB6_4606:                             ;   in Loop: Header=BB6_3222 Depth=4
	s_or_b32 exec_lo, exec_lo, s72
	v_or_b32_e32 v6, v74, v102
	s_mov_b32 s72, 0
	v_cmp_gt_i16_sdwa s16, v6, v116 src0_sel:BYTE_0 src1_sel:DWORD
	s_and_saveexec_b32 s73, s16
	s_xor_b32 s16, exec_lo, s73
	s_cbranch_execz .LBB6_5628
; %bb.4607:                             ;   in Loop: Header=BB6_3222 Depth=4
	v_cmp_eq_u16_sdwa s74, v6, v117 src0_sel:BYTE_0 src1_sel:DWORD
	s_mov_b32 s72, -1
	s_and_saveexec_b32 s73, s74
; %bb.4608:                             ;   in Loop: Header=BB6_3222 Depth=4
	s_xor_b32 s72, exec_lo, -1
; %bb.4609:                             ;   in Loop: Header=BB6_3222 Depth=4
	s_or_b32 exec_lo, exec_lo, s73
	s_and_b32 s72, s72, exec_lo
	s_or_saveexec_b32 s16, s16
	v_mov_b32_e32 v7, 0x7f800001
	s_xor_b32 exec_lo, exec_lo, s16
	s_cbranch_execnz .LBB6_5629
.LBB6_4610:                             ;   in Loop: Header=BB6_3222 Depth=4
	s_or_b32 exec_lo, exec_lo, s16
	s_and_saveexec_b32 s16, s72
	s_cbranch_execz .LBB6_4612
.LBB6_4611:                             ;   in Loop: Header=BB6_3222 Depth=4
	v_and_b32_e32 v7, 3, v6
	v_bfe_u32 v36, v6, 2, 5
	v_ffbh_u32_e32 v37, v7
	v_cmp_eq_u32_e32 vcc_lo, 0, v36
	v_min_u32_e32 v37, 32, v37
	v_subrev_nc_u32_e32 v101, 29, v37
	v_sub_nc_u32_e32 v37, 30, v37
	v_lshlrev_b32_e32 v101, v101, v6
	v_cndmask_b32_e32 v36, v36, v37, vcc_lo
	v_lshlrev_b32_e32 v37, 24, v6
	v_and_b32_e32 v101, 3, v101
	v_lshl_add_u32 v36, v36, 23, 0x37800000
	v_and_b32_e32 v37, 0x80000000, v37
	v_cndmask_b32_e32 v7, v7, v101, vcc_lo
	v_lshlrev_b32_e32 v7, 21, v7
	v_or3_b32 v7, v37, v36, v7
.LBB6_4612:                             ;   in Loop: Header=BB6_3222 Depth=4
	s_or_b32 exec_lo, exec_lo, s16
	v_cmp_gt_i16_sdwa s16, v18, v116 src0_sel:BYTE_0 src1_sel:DWORD
	s_mov_b32 s72, 0
	s_and_saveexec_b32 s73, s16
	s_xor_b32 s16, exec_lo, s73
	s_cbranch_execz .LBB6_5630
; %bb.4613:                             ;   in Loop: Header=BB6_3222 Depth=4
	v_cmp_eq_u16_sdwa s74, v18, v117 src0_sel:BYTE_0 src1_sel:DWORD
	s_mov_b32 s72, -1
	s_and_saveexec_b32 s73, s74
; %bb.4614:                             ;   in Loop: Header=BB6_3222 Depth=4
	s_xor_b32 s72, exec_lo, -1
; %bb.4615:                             ;   in Loop: Header=BB6_3222 Depth=4
	s_or_b32 exec_lo, exec_lo, s73
	s_and_b32 s72, s72, exec_lo
	s_or_saveexec_b32 s16, s16
	v_mov_b32_e32 v36, 0x7f800001
	s_xor_b32 exec_lo, exec_lo, s16
	s_cbranch_execnz .LBB6_5631
.LBB6_4616:                             ;   in Loop: Header=BB6_3222 Depth=4
	s_or_b32 exec_lo, exec_lo, s16
	s_and_saveexec_b32 s16, s72
	s_cbranch_execz .LBB6_4618
.LBB6_4617:                             ;   in Loop: Header=BB6_3222 Depth=4
	v_and_b32_e32 v36, 3, v18
	v_bfe_u32 v37, v18, 2, 5
	v_ffbh_u32_e32 v101, v36
	v_cmp_eq_u32_e32 vcc_lo, 0, v37
	v_min_u32_e32 v101, 32, v101
	v_subrev_nc_u32_e32 v102, 29, v101
	v_sub_nc_u32_e32 v101, 30, v101
	v_lshlrev_b32_e32 v102, v102, v18
	v_cndmask_b32_e32 v37, v37, v101, vcc_lo
	v_lshlrev_b32_e32 v101, 24, v18
	v_and_b32_e32 v102, 3, v102
	v_lshl_add_u32 v37, v37, 23, 0x37800000
	v_and_b32_e32 v101, 0x80000000, v101
	v_cndmask_b32_e32 v36, v36, v102, vcc_lo
	v_lshlrev_b32_e32 v36, 21, v36
	v_or3_b32 v36, v101, v37, v36
.LBB6_4618:                             ;   in Loop: Header=BB6_3222 Depth=4
	s_or_b32 exec_lo, exec_lo, s16
	v_add_f32_e32 v7, v7, v36
	v_mov_b32_e32 v102, 0x80
	s_mov_b32 s72, exec_lo
	v_and_b32_e32 v36, 0x7f800000, v7
	v_cmpx_ne_u32_e32 0x7f800000, v36
	s_cbranch_execz .LBB6_4626
; %bb.4619:                             ;   in Loop: Header=BB6_3222 Depth=4
	v_mov_b32_e32 v102, 0
	s_mov_b32 s73, exec_lo
	v_cmpx_ne_u32_e32 0, v7
	s_cbranch_execz .LBB6_4625
; %bb.4620:                             ;   in Loop: Header=BB6_3222 Depth=4
	v_bfe_u32 v37, v7, 23, 8
	v_and_b32_e32 v36, 0x7fffff, v7
	v_cmp_gt_u32_e64 s16, 0x71, v37
	v_sub_nc_u32_e32 v101, 0x70, v37
	v_cmp_eq_u32_e32 vcc_lo, 0, v37
	v_or_b32_e32 v102, 0x800000, v36
	v_cndmask_b32_e64 v101, 0, v101, s16
	v_cndmask_b32_e32 v36, v102, v36, vcc_lo
	v_cndmask_b32_e64 v101, v101, 0x6f, vcc_lo
	v_lshl_add_u32 v102, 0x200000, v101, -1
	v_lshlrev_b32_e64 v42, v101, 0x100000
	v_and_b32_e32 v102, v102, v36
	v_cmp_eq_u32_e64 s16, v102, v42
	v_lshrrev_b32_e32 v102, v101, v36
	v_add_nc_u32_e32 v36, 0xffffff91, v37
	v_lshrrev_b32_e32 v37, 23, v102
	v_cndmask_b32_e64 v36, v36, 0xffffff92, vcc_lo
	v_xor_b32_e32 v37, 1, v37
	v_add_nc_u32_e32 v36, v101, v36
	v_bfe_u32 v101, v102, 21, 1
	v_add_nc_u32_e32 v101, -1, v101
	v_cndmask_b32_e64 v101, 0, v101, s16
	s_mov_b32 s16, exec_lo
	v_add_nc_u32_e32 v101, v101, v102
	v_and_b32_e32 v101, 0x1fffff, v101
	v_add_nc_u32_e32 v101, v101, v102
                                        ; implicit-def: $vgpr102
	v_cmpx_ne_u32_e64 v36, v37
	s_xor_b32 s16, exec_lo, s16
; %bb.4621:                             ;   in Loop: Header=BB6_3222 Depth=4
	v_cmp_lt_u32_e32 vcc_lo, 0xffffff, v101
	v_sub_nc_u32_e32 v36, v36, v37
	v_cndmask_b32_e64 v37, 0, 1, vcc_lo
	v_add_co_ci_u32_e64 v102, null, 0, v36, vcc_lo
	v_lshrrev_b32_e32 v101, v37, v101
; %bb.4622:                             ;   in Loop: Header=BB6_3222 Depth=4
	s_andn2_saveexec_b32 s16, s16
; %bb.4623:                             ;   in Loop: Header=BB6_3222 Depth=4
	v_bfe_u32 v102, v101, 23, 1
; %bb.4624:                             ;   in Loop: Header=BB6_3222 Depth=4
	s_or_b32 exec_lo, exec_lo, s16
	v_lshrrev_b32_e32 v36, 21, v101
	v_min_i32_e32 v37, 31, v102
	v_cmp_gt_i32_e32 vcc_lo, 32, v102
	v_and_b32_sdwa v7, v7, v117 dst_sel:DWORD dst_unused:UNUSED_PAD src0_sel:BYTE_3 src1_sel:DWORD
	v_lshlrev_b32_e32 v37, 2, v37
	v_cndmask_b32_e32 v36, 3, v36, vcc_lo
	v_and_b32_e32 v37, 0xfc, v37
	v_or_b32_e32 v101, v102, v36
	v_and_b32_e32 v36, 3, v36
	v_cmp_ne_u32_e32 vcc_lo, 0, v101
	v_or3_b32 v7, v37, v7, v36
	v_cndmask_b32_e32 v102, 0, v7, vcc_lo
.LBB6_4625:                             ;   in Loop: Header=BB6_3222 Depth=4
	s_or_b32 exec_lo, exec_lo, s73
.LBB6_4626:                             ;   in Loop: Header=BB6_3222 Depth=4
	s_or_b32 exec_lo, exec_lo, s72
	v_cmp_gt_i16_sdwa s72, v6, v116 src0_sel:BYTE_1 src1_sel:DWORD
	s_mov_b32 s16, 0
	s_and_saveexec_b32 s73, s72
	s_xor_b32 s72, exec_lo, s73
	s_cbranch_execz .LBB6_5632
; %bb.4627:                             ;   in Loop: Header=BB6_3222 Depth=4
	v_cmp_eq_u16_sdwa s74, v6, v117 src0_sel:BYTE_1 src1_sel:DWORD
	s_mov_b32 s16, -1
	s_and_saveexec_b32 s73, s74
; %bb.4628:                             ;   in Loop: Header=BB6_3222 Depth=4
	s_xor_b32 s16, exec_lo, -1
; %bb.4629:                             ;   in Loop: Header=BB6_3222 Depth=4
	s_or_b32 exec_lo, exec_lo, s73
	s_and_b32 s16, s16, exec_lo
	s_or_saveexec_b32 s72, s72
	v_mov_b32_e32 v7, 0x7f800001
	s_xor_b32 exec_lo, exec_lo, s72
	s_cbranch_execnz .LBB6_5633
.LBB6_4630:                             ;   in Loop: Header=BB6_3222 Depth=4
	s_or_b32 exec_lo, exec_lo, s72
	s_and_saveexec_b32 s72, s16
	s_cbranch_execz .LBB6_4632
.LBB6_4631:                             ;   in Loop: Header=BB6_3222 Depth=4
	v_and_b32_sdwa v7, v118, v6 dst_sel:DWORD dst_unused:UNUSED_PAD src0_sel:DWORD src1_sel:BYTE_1
	v_and_b32_e32 v36, 3, v7
	v_bfe_u32 v42, v7, 2, 5
	v_ffbh_u32_e32 v37, v36
	v_cmp_eq_u32_e32 vcc_lo, 0, v42
	v_min_u32_e32 v37, 32, v37
	v_subrev_nc_u32_e32 v101, 29, v37
	v_sub_nc_u32_e32 v37, 30, v37
	v_lshlrev_b32_e32 v7, v101, v7
	v_lshlrev_b32_sdwa v101, v119, v6 dst_sel:DWORD dst_unused:UNUSED_PAD src0_sel:DWORD src1_sel:BYTE_1
	v_cndmask_b32_e32 v37, v42, v37, vcc_lo
	v_and_b32_e32 v7, 3, v7
	v_lshl_add_u32 v37, v37, 23, 0x37800000
	v_cndmask_b32_e32 v7, v36, v7, vcc_lo
	v_and_b32_e32 v36, 0x80000000, v101
	v_lshlrev_b32_e32 v7, 21, v7
	v_or3_b32 v7, v36, v37, v7
.LBB6_4632:                             ;   in Loop: Header=BB6_3222 Depth=4
	s_or_b32 exec_lo, exec_lo, s72
	v_cmp_gt_i16_sdwa s72, v18, v116 src0_sel:BYTE_1 src1_sel:DWORD
	s_mov_b32 s16, 0
	s_and_saveexec_b32 s73, s72
	s_xor_b32 s72, exec_lo, s73
	s_cbranch_execz .LBB6_5634
; %bb.4633:                             ;   in Loop: Header=BB6_3222 Depth=4
	v_cmp_eq_u16_sdwa s74, v18, v117 src0_sel:BYTE_1 src1_sel:DWORD
	s_mov_b32 s16, -1
	s_and_saveexec_b32 s73, s74
; %bb.4634:                             ;   in Loop: Header=BB6_3222 Depth=4
	s_xor_b32 s16, exec_lo, -1
; %bb.4635:                             ;   in Loop: Header=BB6_3222 Depth=4
	s_or_b32 exec_lo, exec_lo, s73
	s_and_b32 s16, s16, exec_lo
	s_or_saveexec_b32 s72, s72
	v_mov_b32_e32 v36, 0x7f800001
	s_xor_b32 exec_lo, exec_lo, s72
	s_cbranch_execnz .LBB6_5635
.LBB6_4636:                             ;   in Loop: Header=BB6_3222 Depth=4
	s_or_b32 exec_lo, exec_lo, s72
	s_and_saveexec_b32 s72, s16
	s_cbranch_execz .LBB6_4638
.LBB6_4637:                             ;   in Loop: Header=BB6_3222 Depth=4
	v_and_b32_sdwa v36, v118, v18 dst_sel:DWORD dst_unused:UNUSED_PAD src0_sel:DWORD src1_sel:BYTE_1
	v_and_b32_e32 v37, 3, v36
	v_bfe_u32 v44, v36, 2, 5
	v_ffbh_u32_e32 v101, v37
	v_cmp_eq_u32_e32 vcc_lo, 0, v44
	v_min_u32_e32 v101, 32, v101
	v_subrev_nc_u32_e32 v42, 29, v101
	v_sub_nc_u32_e32 v101, 30, v101
	v_lshlrev_b32_e32 v36, v42, v36
	v_lshlrev_b32_sdwa v42, v119, v18 dst_sel:DWORD dst_unused:UNUSED_PAD src0_sel:DWORD src1_sel:BYTE_1
	v_cndmask_b32_e32 v101, v44, v101, vcc_lo
	v_and_b32_e32 v36, 3, v36
	v_lshl_add_u32 v101, v101, 23, 0x37800000
	v_cndmask_b32_e32 v36, v37, v36, vcc_lo
	v_and_b32_e32 v37, 0x80000000, v42
	v_lshlrev_b32_e32 v36, 21, v36
	v_or3_b32 v36, v37, v101, v36
.LBB6_4638:                             ;   in Loop: Header=BB6_3222 Depth=4
	s_or_b32 exec_lo, exec_lo, s72
	v_add_f32_e32 v7, v7, v36
	v_mov_b32_e32 v44, 0x8000
	s_mov_b32 s72, exec_lo
	v_and_b32_e32 v36, 0x7f800000, v7
	v_cmpx_ne_u32_e32 0x7f800000, v36
	s_cbranch_execz .LBB6_4646
; %bb.4639:                             ;   in Loop: Header=BB6_3222 Depth=4
	v_mov_b32_e32 v44, 0
	s_mov_b32 s73, exec_lo
	v_cmpx_ne_u32_e32 0, v7
	s_cbranch_execz .LBB6_4645
; %bb.4640:                             ;   in Loop: Header=BB6_3222 Depth=4
	v_bfe_u32 v37, v7, 23, 8
	v_and_b32_e32 v36, 0x7fffff, v7
	v_cmp_gt_u32_e64 s16, 0x71, v37
	v_sub_nc_u32_e32 v101, 0x70, v37
	v_cmp_eq_u32_e32 vcc_lo, 0, v37
	v_or_b32_e32 v42, 0x800000, v36
	v_cndmask_b32_e64 v101, 0, v101, s16
	v_cndmask_b32_e32 v36, v42, v36, vcc_lo
	v_cndmask_b32_e64 v101, v101, 0x6f, vcc_lo
	v_lshl_add_u32 v42, 0x200000, v101, -1
	v_lshlrev_b32_e64 v44, v101, 0x100000
	v_and_b32_e32 v42, v42, v36
	v_cmp_eq_u32_e64 s16, v42, v44
	v_lshrrev_b32_e32 v42, v101, v36
	v_add_nc_u32_e32 v36, 0xffffff91, v37
	v_lshrrev_b32_e32 v37, 23, v42
	v_cndmask_b32_e64 v36, v36, 0xffffff92, vcc_lo
	v_xor_b32_e32 v37, 1, v37
	v_add_nc_u32_e32 v36, v101, v36
	v_bfe_u32 v101, v42, 21, 1
	v_add_nc_u32_e32 v101, -1, v101
	v_cndmask_b32_e64 v101, 0, v101, s16
	s_mov_b32 s16, exec_lo
	v_add_nc_u32_e32 v101, v101, v42
	v_and_b32_e32 v101, 0x1fffff, v101
	v_add_nc_u32_e32 v101, v101, v42
                                        ; implicit-def: $vgpr42
	v_cmpx_ne_u32_e64 v36, v37
	s_xor_b32 s16, exec_lo, s16
; %bb.4641:                             ;   in Loop: Header=BB6_3222 Depth=4
	v_cmp_lt_u32_e32 vcc_lo, 0xffffff, v101
	v_sub_nc_u32_e32 v36, v36, v37
	v_cndmask_b32_e64 v37, 0, 1, vcc_lo
	v_add_co_ci_u32_e64 v42, null, 0, v36, vcc_lo
	v_lshrrev_b32_e32 v101, v37, v101
; %bb.4642:                             ;   in Loop: Header=BB6_3222 Depth=4
	s_andn2_saveexec_b32 s16, s16
; %bb.4643:                             ;   in Loop: Header=BB6_3222 Depth=4
	v_bfe_u32 v42, v101, 23, 1
; %bb.4644:                             ;   in Loop: Header=BB6_3222 Depth=4
	s_or_b32 exec_lo, exec_lo, s16
	v_lshrrev_b32_e32 v36, 21, v101
	v_min_i32_e32 v37, 31, v42
	v_cmp_gt_i32_e32 vcc_lo, 32, v42
	v_and_b32_sdwa v7, v7, v117 dst_sel:DWORD dst_unused:UNUSED_PAD src0_sel:BYTE_3 src1_sel:DWORD
	v_lshlrev_b32_e32 v37, 2, v37
	v_cndmask_b32_e32 v36, 3, v36, vcc_lo
	v_and_b32_e32 v37, 0xfc, v37
	v_or_b32_e32 v101, v42, v36
	v_and_b32_e32 v36, 3, v36
	v_cmp_ne_u32_e32 vcc_lo, 0, v101
	v_or3_b32 v7, v7, v37, v36
	v_lshlrev_b32_e32 v7, 8, v7
	v_cndmask_b32_e32 v44, 0, v7, vcc_lo
.LBB6_4645:                             ;   in Loop: Header=BB6_3222 Depth=4
	s_or_b32 exec_lo, exec_lo, s73
.LBB6_4646:                             ;   in Loop: Header=BB6_3222 Depth=4
	s_or_b32 exec_lo, exec_lo, s72
	v_or_b32_e32 v36, v43, v57
	s_mov_b32 s72, 0
	v_cmp_gt_i16_sdwa s16, v36, v116 src0_sel:BYTE_0 src1_sel:DWORD
	s_and_saveexec_b32 s73, s16
	s_xor_b32 s16, exec_lo, s73
	s_cbranch_execz .LBB6_5636
; %bb.4647:                             ;   in Loop: Header=BB6_3222 Depth=4
	v_cmp_eq_u16_sdwa s74, v36, v117 src0_sel:BYTE_0 src1_sel:DWORD
	s_mov_b32 s72, -1
	s_and_saveexec_b32 s73, s74
; %bb.4648:                             ;   in Loop: Header=BB6_3222 Depth=4
	s_xor_b32 s72, exec_lo, -1
; %bb.4649:                             ;   in Loop: Header=BB6_3222 Depth=4
	s_or_b32 exec_lo, exec_lo, s73
	s_and_b32 s72, s72, exec_lo
	s_or_saveexec_b32 s16, s16
	v_mov_b32_e32 v7, 0x7f800001
	s_xor_b32 exec_lo, exec_lo, s16
	s_cbranch_execnz .LBB6_5637
.LBB6_4650:                             ;   in Loop: Header=BB6_3222 Depth=4
	s_or_b32 exec_lo, exec_lo, s16
	v_lshl_or_b32 v6, v36, 16, v6
	s_and_saveexec_b32 s16, s72
	s_cbranch_execz .LBB6_4652
.LBB6_4651:                             ;   in Loop: Header=BB6_3222 Depth=4
	v_bfe_u32 v7, v6, 16, 2
	v_bfe_u32 v36, v6, 18, 5
	v_ffbh_u32_e32 v37, v7
	v_cmp_eq_u32_e32 vcc_lo, 0, v36
	v_min_u32_e32 v37, 32, v37
	v_subrev_nc_u32_e32 v101, 29, v37
	v_sub_nc_u32_e32 v37, 30, v37
	v_lshlrev_b32_sdwa v101, v101, v6 dst_sel:DWORD dst_unused:UNUSED_PAD src0_sel:DWORD src1_sel:WORD_1
	v_cndmask_b32_e32 v36, v36, v37, vcc_lo
	v_lshlrev_b32_e32 v37, 8, v6
	v_and_b32_e32 v101, 3, v101
	v_lshl_add_u32 v36, v36, 23, 0x37800000
	v_and_b32_e32 v37, 0x80000000, v37
	v_cndmask_b32_e32 v7, v7, v101, vcc_lo
	v_lshlrev_b32_e32 v7, 21, v7
	v_or3_b32 v7, v37, v36, v7
.LBB6_4652:                             ;   in Loop: Header=BB6_3222 Depth=4
	s_or_b32 exec_lo, exec_lo, s16
	v_and_b32_sdwa v37, v18, v40 dst_sel:DWORD dst_unused:UNUSED_PAD src0_sel:WORD_1 src1_sel:DWORD
	s_mov_b32 s72, 0
	s_mov_b32 s16, exec_lo
	v_cmpx_lt_i16_e32 0x7f, v37
	s_xor_b32 s16, exec_lo, s16
	s_cbranch_execz .LBB6_5638
; %bb.4653:                             ;   in Loop: Header=BB6_3222 Depth=4
	s_mov_b32 s72, -1
	s_mov_b32 s73, exec_lo
	v_cmpx_eq_u16_e32 0x80, v37
; %bb.4654:                             ;   in Loop: Header=BB6_3222 Depth=4
	s_xor_b32 s72, exec_lo, -1
; %bb.4655:                             ;   in Loop: Header=BB6_3222 Depth=4
	s_or_b32 exec_lo, exec_lo, s73
	s_and_b32 s72, s72, exec_lo
                                        ; implicit-def: $vgpr37
	s_or_saveexec_b32 s16, s16
	v_mov_b32_e32 v36, 0x7f800001
	s_xor_b32 exec_lo, exec_lo, s16
	s_cbranch_execnz .LBB6_5639
.LBB6_4656:                             ;   in Loop: Header=BB6_3222 Depth=4
	s_or_b32 exec_lo, exec_lo, s16
	s_and_saveexec_b32 s16, s72
	s_cbranch_execz .LBB6_4658
.LBB6_4657:                             ;   in Loop: Header=BB6_3222 Depth=4
	v_bfe_u32 v36, v18, 16, 2
	v_bfe_u32 v37, v18, 18, 5
	v_ffbh_u32_e32 v101, v36
	v_cmp_eq_u32_e32 vcc_lo, 0, v37
	v_min_u32_e32 v101, 32, v101
	v_subrev_nc_u32_e32 v42, 29, v101
	v_sub_nc_u32_e32 v101, 30, v101
	v_lshlrev_b32_sdwa v42, v42, v18 dst_sel:DWORD dst_unused:UNUSED_PAD src0_sel:DWORD src1_sel:WORD_1
	v_cndmask_b32_e32 v37, v37, v101, vcc_lo
	v_lshlrev_b32_e32 v101, 8, v18
	v_and_b32_e32 v42, 3, v42
	v_lshl_add_u32 v37, v37, 23, 0x37800000
	v_and_b32_e32 v101, 0x80000000, v101
	v_cndmask_b32_e32 v36, v36, v42, vcc_lo
	v_lshlrev_b32_e32 v36, 21, v36
	v_or3_b32 v36, v101, v37, v36
.LBB6_4658:                             ;   in Loop: Header=BB6_3222 Depth=4
	s_or_b32 exec_lo, exec_lo, s16
	v_add_f32_e32 v7, v7, v36
	v_mov_b32_e32 v43, 0x80
	s_mov_b32 s72, exec_lo
	v_and_b32_e32 v36, 0x7f800000, v7
	v_cmpx_ne_u32_e32 0x7f800000, v36
	s_cbranch_execz .LBB6_4666
; %bb.4659:                             ;   in Loop: Header=BB6_3222 Depth=4
	v_mov_b32_e32 v43, 0
	s_mov_b32 s73, exec_lo
	v_cmpx_ne_u32_e32 0, v7
	s_cbranch_execz .LBB6_4665
; %bb.4660:                             ;   in Loop: Header=BB6_3222 Depth=4
	v_bfe_u32 v37, v7, 23, 8
	v_and_b32_e32 v36, 0x7fffff, v7
	v_cmp_gt_u32_e64 s16, 0x71, v37
	v_sub_nc_u32_e32 v101, 0x70, v37
	v_cmp_eq_u32_e32 vcc_lo, 0, v37
	v_or_b32_e32 v42, 0x800000, v36
	v_cndmask_b32_e64 v101, 0, v101, s16
	v_cndmask_b32_e32 v36, v42, v36, vcc_lo
	v_cndmask_b32_e64 v101, v101, 0x6f, vcc_lo
	v_lshl_add_u32 v42, 0x200000, v101, -1
	v_lshlrev_b32_e64 v43, v101, 0x100000
	v_and_b32_e32 v42, v42, v36
	v_cmp_eq_u32_e64 s16, v42, v43
	v_lshrrev_b32_e32 v42, v101, v36
	v_add_nc_u32_e32 v36, 0xffffff91, v37
	v_lshrrev_b32_e32 v37, 23, v42
	v_cndmask_b32_e64 v36, v36, 0xffffff92, vcc_lo
	v_xor_b32_e32 v37, 1, v37
	v_add_nc_u32_e32 v36, v101, v36
	v_bfe_u32 v101, v42, 21, 1
	v_add_nc_u32_e32 v101, -1, v101
	v_cndmask_b32_e64 v101, 0, v101, s16
	s_mov_b32 s16, exec_lo
	v_add_nc_u32_e32 v101, v101, v42
	v_and_b32_e32 v101, 0x1fffff, v101
	v_add_nc_u32_e32 v101, v101, v42
                                        ; implicit-def: $vgpr42
	v_cmpx_ne_u32_e64 v36, v37
	s_xor_b32 s16, exec_lo, s16
; %bb.4661:                             ;   in Loop: Header=BB6_3222 Depth=4
	v_cmp_lt_u32_e32 vcc_lo, 0xffffff, v101
	v_sub_nc_u32_e32 v36, v36, v37
	v_cndmask_b32_e64 v37, 0, 1, vcc_lo
	v_add_co_ci_u32_e64 v42, null, 0, v36, vcc_lo
	v_lshrrev_b32_e32 v101, v37, v101
; %bb.4662:                             ;   in Loop: Header=BB6_3222 Depth=4
	s_andn2_saveexec_b32 s16, s16
; %bb.4663:                             ;   in Loop: Header=BB6_3222 Depth=4
	v_bfe_u32 v42, v101, 23, 1
; %bb.4664:                             ;   in Loop: Header=BB6_3222 Depth=4
	s_or_b32 exec_lo, exec_lo, s16
	v_lshrrev_b32_e32 v36, 21, v101
	v_min_i32_e32 v37, 31, v42
	v_cmp_gt_i32_e32 vcc_lo, 32, v42
	v_and_b32_sdwa v7, v7, v117 dst_sel:DWORD dst_unused:UNUSED_PAD src0_sel:BYTE_3 src1_sel:DWORD
	v_lshlrev_b32_e32 v37, 2, v37
	v_cndmask_b32_e32 v36, 3, v36, vcc_lo
	v_and_b32_e32 v37, 0xfc, v37
	v_or_b32_e32 v101, v42, v36
	v_and_b32_e32 v36, 3, v36
	v_cmp_ne_u32_e32 vcc_lo, 0, v101
	v_or3_b32 v7, v37, v7, v36
	v_cndmask_b32_e32 v43, 0, v7, vcc_lo
.LBB6_4665:                             ;   in Loop: Header=BB6_3222 Depth=4
	s_or_b32 exec_lo, exec_lo, s73
.LBB6_4666:                             ;   in Loop: Header=BB6_3222 Depth=4
	s_or_b32 exec_lo, exec_lo, s72
	v_cmp_gt_i16_sdwa s72, v6, v116 src0_sel:BYTE_3 src1_sel:DWORD
	s_mov_b32 s16, 0
	s_and_saveexec_b32 s73, s72
	s_xor_b32 s72, exec_lo, s73
	s_cbranch_execz .LBB6_5640
; %bb.4667:                             ;   in Loop: Header=BB6_3222 Depth=4
	v_cmp_eq_u16_sdwa s74, v6, v117 src0_sel:BYTE_3 src1_sel:DWORD
	s_mov_b32 s16, -1
	s_and_saveexec_b32 s73, s74
; %bb.4668:                             ;   in Loop: Header=BB6_3222 Depth=4
	s_xor_b32 s16, exec_lo, -1
; %bb.4669:                             ;   in Loop: Header=BB6_3222 Depth=4
	s_or_b32 exec_lo, exec_lo, s73
	s_and_b32 s16, s16, exec_lo
	s_or_saveexec_b32 s72, s72
	v_mov_b32_e32 v7, 0x7f800001
	s_xor_b32 exec_lo, exec_lo, s72
	s_cbranch_execnz .LBB6_5641
.LBB6_4670:                             ;   in Loop: Header=BB6_3222 Depth=4
	s_or_b32 exec_lo, exec_lo, s72
	s_and_saveexec_b32 s72, s16
	s_cbranch_execz .LBB6_4672
.LBB6_4671:                             ;   in Loop: Header=BB6_3222 Depth=4
	v_bfe_u32 v7, v6, 24, 2
	v_bfe_u32 v101, v6, 26, 5
	v_ffbh_u32_e32 v36, v7
	v_cmp_eq_u32_e32 vcc_lo, 0, v101
	v_min_u32_e32 v36, 32, v36
	v_subrev_nc_u32_e32 v37, 29, v36
	v_sub_nc_u32_e32 v36, 30, v36
	v_lshlrev_b32_sdwa v37, v37, v6 dst_sel:DWORD dst_unused:UNUSED_PAD src0_sel:DWORD src1_sel:BYTE_3
	v_cndmask_b32_e32 v36, v101, v36, vcc_lo
	v_and_b32_e32 v6, 0x80000000, v6
	v_and_b32_e32 v37, 3, v37
	v_lshl_add_u32 v36, v36, 23, 0x37800000
	v_cndmask_b32_e32 v7, v7, v37, vcc_lo
	v_lshlrev_b32_e32 v7, 21, v7
	v_or3_b32 v7, v6, v36, v7
.LBB6_4672:                             ;   in Loop: Header=BB6_3222 Depth=4
	s_or_b32 exec_lo, exec_lo, s72
	v_cmp_gt_i16_sdwa s72, v18, v116 src0_sel:BYTE_3 src1_sel:DWORD
	s_mov_b32 s16, 0
	s_and_saveexec_b32 s73, s72
	s_xor_b32 s72, exec_lo, s73
	s_cbranch_execz .LBB6_5642
; %bb.4673:                             ;   in Loop: Header=BB6_3222 Depth=4
	v_cmp_eq_u16_sdwa s74, v18, v117 src0_sel:BYTE_3 src1_sel:DWORD
	s_mov_b32 s16, -1
	s_and_saveexec_b32 s73, s74
; %bb.4674:                             ;   in Loop: Header=BB6_3222 Depth=4
	s_xor_b32 s16, exec_lo, -1
; %bb.4675:                             ;   in Loop: Header=BB6_3222 Depth=4
	s_or_b32 exec_lo, exec_lo, s73
	s_and_b32 s16, s16, exec_lo
	s_or_saveexec_b32 s72, s72
	v_mov_b32_e32 v6, 0x7f800001
	s_xor_b32 exec_lo, exec_lo, s72
	s_cbranch_execnz .LBB6_5643
.LBB6_4676:                             ;   in Loop: Header=BB6_3222 Depth=4
	s_or_b32 exec_lo, exec_lo, s72
	s_and_saveexec_b32 s72, s16
	s_cbranch_execz .LBB6_4678
.LBB6_4677:                             ;   in Loop: Header=BB6_3222 Depth=4
	v_bfe_u32 v6, v18, 24, 2
	v_bfe_u32 v101, v18, 26, 5
	v_ffbh_u32_e32 v36, v6
	v_cmp_eq_u32_e32 vcc_lo, 0, v101
	v_min_u32_e32 v36, 32, v36
	v_subrev_nc_u32_e32 v37, 29, v36
	v_sub_nc_u32_e32 v36, 30, v36
	v_lshlrev_b32_sdwa v37, v37, v18 dst_sel:DWORD dst_unused:UNUSED_PAD src0_sel:DWORD src1_sel:BYTE_3
	v_cndmask_b32_e32 v36, v101, v36, vcc_lo
	v_and_b32_e32 v18, 0x80000000, v18
	v_and_b32_e32 v37, 3, v37
	v_lshl_add_u32 v36, v36, 23, 0x37800000
	v_cndmask_b32_e32 v6, v6, v37, vcc_lo
	v_lshlrev_b32_e32 v6, 21, v6
	v_or3_b32 v6, v18, v36, v6
.LBB6_4678:                             ;   in Loop: Header=BB6_3222 Depth=4
	s_or_b32 exec_lo, exec_lo, s72
	v_add_f32_e32 v6, v7, v6
	v_mov_b32_e32 v18, 0x8000
	s_mov_b32 s72, exec_lo
	v_and_b32_e32 v7, 0x7f800000, v6
	v_cmpx_ne_u32_e32 0x7f800000, v7
	s_cbranch_execz .LBB6_4686
; %bb.4679:                             ;   in Loop: Header=BB6_3222 Depth=4
	v_mov_b32_e32 v18, 0
	s_mov_b32 s73, exec_lo
	v_cmpx_ne_u32_e32 0, v6
	s_cbranch_execz .LBB6_4685
; %bb.4680:                             ;   in Loop: Header=BB6_3222 Depth=4
	v_bfe_u32 v18, v6, 23, 8
	v_and_b32_e32 v7, 0x7fffff, v6
	v_cmp_gt_u32_e64 s16, 0x71, v18
	v_sub_nc_u32_e32 v36, 0x70, v18
	v_cmp_eq_u32_e32 vcc_lo, 0, v18
	v_or_b32_e32 v37, 0x800000, v7
	v_cndmask_b32_e64 v36, 0, v36, s16
	v_cndmask_b32_e32 v7, v37, v7, vcc_lo
	v_cndmask_b32_e64 v36, v36, 0x6f, vcc_lo
	v_lshl_add_u32 v37, 0x200000, v36, -1
	v_lshlrev_b32_e64 v101, v36, 0x100000
	v_and_b32_e32 v37, v37, v7
	v_cmp_eq_u32_e64 s16, v37, v101
	v_lshrrev_b32_e32 v37, v36, v7
	v_add_nc_u32_e32 v7, 0xffffff91, v18
	v_lshrrev_b32_e32 v18, 23, v37
	v_cndmask_b32_e64 v7, v7, 0xffffff92, vcc_lo
	v_xor_b32_e32 v18, 1, v18
	v_add_nc_u32_e32 v7, v36, v7
	v_bfe_u32 v36, v37, 21, 1
	v_add_nc_u32_e32 v36, -1, v36
	v_cndmask_b32_e64 v36, 0, v36, s16
	s_mov_b32 s16, exec_lo
	v_add_nc_u32_e32 v36, v36, v37
	v_and_b32_e32 v36, 0x1fffff, v36
	v_add_nc_u32_e32 v36, v36, v37
                                        ; implicit-def: $vgpr37
	v_cmpx_ne_u32_e64 v7, v18
	s_xor_b32 s16, exec_lo, s16
; %bb.4681:                             ;   in Loop: Header=BB6_3222 Depth=4
	v_cmp_lt_u32_e32 vcc_lo, 0xffffff, v36
	v_sub_nc_u32_e32 v7, v7, v18
	v_cndmask_b32_e64 v18, 0, 1, vcc_lo
	v_add_co_ci_u32_e64 v37, null, 0, v7, vcc_lo
	v_lshrrev_b32_e32 v36, v18, v36
; %bb.4682:                             ;   in Loop: Header=BB6_3222 Depth=4
	s_andn2_saveexec_b32 s16, s16
; %bb.4683:                             ;   in Loop: Header=BB6_3222 Depth=4
	v_bfe_u32 v37, v36, 23, 1
; %bb.4684:                             ;   in Loop: Header=BB6_3222 Depth=4
	s_or_b32 exec_lo, exec_lo, s16
	v_lshrrev_b32_e32 v7, 21, v36
	v_min_i32_e32 v18, 31, v37
	v_cmp_gt_i32_e32 vcc_lo, 32, v37
	v_and_b32_sdwa v6, v6, v117 dst_sel:DWORD dst_unused:UNUSED_PAD src0_sel:BYTE_3 src1_sel:DWORD
	v_lshlrev_b32_e32 v18, 2, v18
	v_cndmask_b32_e32 v7, 3, v7, vcc_lo
	v_and_b32_e32 v18, 0xfc, v18
	v_or_b32_e32 v36, v37, v7
	v_and_b32_e32 v7, 3, v7
	v_cmp_ne_u32_e32 vcc_lo, 0, v36
	v_or3_b32 v6, v6, v18, v7
	v_lshlrev_b32_e32 v6, 8, v6
	v_cndmask_b32_e32 v18, 0, v6, vcc_lo
.LBB6_4685:                             ;   in Loop: Header=BB6_3222 Depth=4
	s_or_b32 exec_lo, exec_lo, s73
.LBB6_4686:                             ;   in Loop: Header=BB6_3222 Depth=4
	s_or_b32 exec_lo, exec_lo, s72
	v_or_b32_e32 v6, v67, v126
	s_mov_b32 s72, 0
	v_cmp_gt_i16_sdwa s16, v6, v116 src0_sel:BYTE_0 src1_sel:DWORD
	s_and_saveexec_b32 s73, s16
	s_xor_b32 s16, exec_lo, s73
	s_cbranch_execz .LBB6_5644
; %bb.4687:                             ;   in Loop: Header=BB6_3222 Depth=4
	v_cmp_eq_u16_sdwa s74, v6, v117 src0_sel:BYTE_0 src1_sel:DWORD
	s_mov_b32 s72, -1
	s_and_saveexec_b32 s73, s74
; %bb.4688:                             ;   in Loop: Header=BB6_3222 Depth=4
	s_xor_b32 s72, exec_lo, -1
; %bb.4689:                             ;   in Loop: Header=BB6_3222 Depth=4
	s_or_b32 exec_lo, exec_lo, s73
	s_and_b32 s72, s72, exec_lo
	s_or_saveexec_b32 s16, s16
	v_mov_b32_e32 v7, 0x7f800001
	s_xor_b32 exec_lo, exec_lo, s16
	s_cbranch_execnz .LBB6_5645
.LBB6_4690:                             ;   in Loop: Header=BB6_3222 Depth=4
	s_or_b32 exec_lo, exec_lo, s16
	s_and_saveexec_b32 s16, s72
	s_cbranch_execz .LBB6_4692
.LBB6_4691:                             ;   in Loop: Header=BB6_3222 Depth=4
	v_and_b32_e32 v7, 3, v6
	v_bfe_u32 v36, v6, 2, 5
	v_ffbh_u32_e32 v37, v7
	v_cmp_eq_u32_e32 vcc_lo, 0, v36
	v_min_u32_e32 v37, 32, v37
	v_subrev_nc_u32_e32 v67, 29, v37
	v_sub_nc_u32_e32 v37, 30, v37
	v_lshlrev_b32_e32 v67, v67, v6
	v_cndmask_b32_e32 v36, v36, v37, vcc_lo
	v_lshlrev_b32_e32 v37, 24, v6
	v_and_b32_e32 v67, 3, v67
	v_lshl_add_u32 v36, v36, 23, 0x37800000
	v_and_b32_e32 v37, 0x80000000, v37
	v_cndmask_b32_e32 v7, v7, v67, vcc_lo
	v_lshlrev_b32_e32 v7, 21, v7
	v_or3_b32 v7, v37, v36, v7
.LBB6_4692:                             ;   in Loop: Header=BB6_3222 Depth=4
	s_or_b32 exec_lo, exec_lo, s16
	v_cmp_gt_i16_sdwa s16, v19, v116 src0_sel:BYTE_0 src1_sel:DWORD
	s_mov_b32 s72, 0
	s_and_saveexec_b32 s73, s16
	s_xor_b32 s16, exec_lo, s73
	s_cbranch_execz .LBB6_5646
; %bb.4693:                             ;   in Loop: Header=BB6_3222 Depth=4
	v_cmp_eq_u16_sdwa s74, v19, v117 src0_sel:BYTE_0 src1_sel:DWORD
	s_mov_b32 s72, -1
	s_and_saveexec_b32 s73, s74
; %bb.4694:                             ;   in Loop: Header=BB6_3222 Depth=4
	s_xor_b32 s72, exec_lo, -1
; %bb.4695:                             ;   in Loop: Header=BB6_3222 Depth=4
	s_or_b32 exec_lo, exec_lo, s73
	s_and_b32 s72, s72, exec_lo
	s_or_saveexec_b32 s16, s16
	v_mov_b32_e32 v36, 0x7f800001
	s_xor_b32 exec_lo, exec_lo, s16
	s_cbranch_execnz .LBB6_5647
.LBB6_4696:                             ;   in Loop: Header=BB6_3222 Depth=4
	s_or_b32 exec_lo, exec_lo, s16
	s_and_saveexec_b32 s16, s72
	s_cbranch_execz .LBB6_4698
.LBB6_4697:                             ;   in Loop: Header=BB6_3222 Depth=4
	v_and_b32_e32 v36, 3, v19
	v_bfe_u32 v37, v19, 2, 5
	v_ffbh_u32_e32 v67, v36
	v_cmp_eq_u32_e32 vcc_lo, 0, v37
	v_min_u32_e32 v67, 32, v67
	v_subrev_nc_u32_e32 v101, 29, v67
	v_sub_nc_u32_e32 v67, 30, v67
	v_lshlrev_b32_e32 v101, v101, v19
	v_cndmask_b32_e32 v37, v37, v67, vcc_lo
	v_lshlrev_b32_e32 v67, 24, v19
	v_and_b32_e32 v101, 3, v101
	v_lshl_add_u32 v37, v37, 23, 0x37800000
	v_and_b32_e32 v67, 0x80000000, v67
	v_cndmask_b32_e32 v36, v36, v101, vcc_lo
	v_lshlrev_b32_e32 v36, 21, v36
	v_or3_b32 v36, v67, v37, v36
.LBB6_4698:                             ;   in Loop: Header=BB6_3222 Depth=4
	s_or_b32 exec_lo, exec_lo, s16
	v_add_f32_e32 v7, v7, v36
	v_mov_b32_e32 v67, 0x80
	s_mov_b32 s72, exec_lo
	v_and_b32_e32 v36, 0x7f800000, v7
	v_cmpx_ne_u32_e32 0x7f800000, v36
	s_cbranch_execz .LBB6_4706
; %bb.4699:                             ;   in Loop: Header=BB6_3222 Depth=4
	v_mov_b32_e32 v67, 0
	s_mov_b32 s73, exec_lo
	v_cmpx_ne_u32_e32 0, v7
	s_cbranch_execz .LBB6_4705
; %bb.4700:                             ;   in Loop: Header=BB6_3222 Depth=4
	v_bfe_u32 v37, v7, 23, 8
	v_and_b32_e32 v36, 0x7fffff, v7
	v_cmp_gt_u32_e64 s16, 0x71, v37
	v_sub_nc_u32_e32 v67, 0x70, v37
	v_cmp_eq_u32_e32 vcc_lo, 0, v37
	v_or_b32_e32 v101, 0x800000, v36
	v_cndmask_b32_e64 v67, 0, v67, s16
	v_cndmask_b32_e32 v36, v101, v36, vcc_lo
	v_cndmask_b32_e64 v67, v67, 0x6f, vcc_lo
	v_lshl_add_u32 v101, 0x200000, v67, -1
	v_lshlrev_b32_e64 v42, v67, 0x100000
	v_and_b32_e32 v101, v101, v36
	v_cmp_eq_u32_e64 s16, v101, v42
	v_lshrrev_b32_e32 v101, v67, v36
	v_add_nc_u32_e32 v36, 0xffffff91, v37
	v_lshrrev_b32_e32 v37, 23, v101
	v_cndmask_b32_e64 v36, v36, 0xffffff92, vcc_lo
	v_xor_b32_e32 v37, 1, v37
	v_add_nc_u32_e32 v36, v67, v36
	v_bfe_u32 v67, v101, 21, 1
	v_add_nc_u32_e32 v67, -1, v67
	v_cndmask_b32_e64 v67, 0, v67, s16
	s_mov_b32 s16, exec_lo
	v_add_nc_u32_e32 v67, v67, v101
	v_and_b32_e32 v67, 0x1fffff, v67
	v_add_nc_u32_e32 v67, v67, v101
                                        ; implicit-def: $vgpr101
	v_cmpx_ne_u32_e64 v36, v37
	s_xor_b32 s16, exec_lo, s16
; %bb.4701:                             ;   in Loop: Header=BB6_3222 Depth=4
	v_cmp_lt_u32_e32 vcc_lo, 0xffffff, v67
	v_sub_nc_u32_e32 v36, v36, v37
	v_cndmask_b32_e64 v37, 0, 1, vcc_lo
	v_add_co_ci_u32_e64 v101, null, 0, v36, vcc_lo
	v_lshrrev_b32_e32 v67, v37, v67
; %bb.4702:                             ;   in Loop: Header=BB6_3222 Depth=4
	s_andn2_saveexec_b32 s16, s16
; %bb.4703:                             ;   in Loop: Header=BB6_3222 Depth=4
	v_bfe_u32 v101, v67, 23, 1
; %bb.4704:                             ;   in Loop: Header=BB6_3222 Depth=4
	s_or_b32 exec_lo, exec_lo, s16
	v_lshrrev_b32_e32 v36, 21, v67
	v_min_i32_e32 v37, 31, v101
	v_cmp_gt_i32_e32 vcc_lo, 32, v101
	v_and_b32_sdwa v7, v7, v117 dst_sel:DWORD dst_unused:UNUSED_PAD src0_sel:BYTE_3 src1_sel:DWORD
	v_lshlrev_b32_e32 v37, 2, v37
	v_cndmask_b32_e32 v36, 3, v36, vcc_lo
	v_and_b32_e32 v37, 0xfc, v37
	v_or_b32_e32 v67, v101, v36
	v_and_b32_e32 v36, 3, v36
	v_cmp_ne_u32_e32 vcc_lo, 0, v67
	v_or3_b32 v7, v37, v7, v36
	v_cndmask_b32_e32 v67, 0, v7, vcc_lo
.LBB6_4705:                             ;   in Loop: Header=BB6_3222 Depth=4
	s_or_b32 exec_lo, exec_lo, s73
.LBB6_4706:                             ;   in Loop: Header=BB6_3222 Depth=4
	s_or_b32 exec_lo, exec_lo, s72
	v_cmp_gt_i16_sdwa s72, v6, v116 src0_sel:BYTE_1 src1_sel:DWORD
	s_mov_b32 s16, 0
	s_and_saveexec_b32 s73, s72
	s_xor_b32 s72, exec_lo, s73
	s_cbranch_execz .LBB6_5648
; %bb.4707:                             ;   in Loop: Header=BB6_3222 Depth=4
	v_cmp_eq_u16_sdwa s74, v6, v117 src0_sel:BYTE_1 src1_sel:DWORD
	s_mov_b32 s16, -1
	s_and_saveexec_b32 s73, s74
; %bb.4708:                             ;   in Loop: Header=BB6_3222 Depth=4
	s_xor_b32 s16, exec_lo, -1
; %bb.4709:                             ;   in Loop: Header=BB6_3222 Depth=4
	s_or_b32 exec_lo, exec_lo, s73
	s_and_b32 s16, s16, exec_lo
	s_or_saveexec_b32 s72, s72
	v_mov_b32_e32 v7, 0x7f800001
	s_xor_b32 exec_lo, exec_lo, s72
	s_cbranch_execnz .LBB6_5649
.LBB6_4710:                             ;   in Loop: Header=BB6_3222 Depth=4
	s_or_b32 exec_lo, exec_lo, s72
	s_and_saveexec_b32 s72, s16
	s_cbranch_execz .LBB6_4712
.LBB6_4711:                             ;   in Loop: Header=BB6_3222 Depth=4
	v_and_b32_sdwa v7, v118, v6 dst_sel:DWORD dst_unused:UNUSED_PAD src0_sel:DWORD src1_sel:BYTE_1
	v_and_b32_e32 v36, 3, v7
	v_bfe_u32 v42, v7, 2, 5
	v_ffbh_u32_e32 v37, v36
	v_cmp_eq_u32_e32 vcc_lo, 0, v42
	v_min_u32_e32 v37, 32, v37
	v_subrev_nc_u32_e32 v101, 29, v37
	v_sub_nc_u32_e32 v37, 30, v37
	v_lshlrev_b32_e32 v7, v101, v7
	v_lshlrev_b32_sdwa v101, v119, v6 dst_sel:DWORD dst_unused:UNUSED_PAD src0_sel:DWORD src1_sel:BYTE_1
	v_cndmask_b32_e32 v37, v42, v37, vcc_lo
	v_and_b32_e32 v7, 3, v7
	v_lshl_add_u32 v37, v37, 23, 0x37800000
	v_cndmask_b32_e32 v7, v36, v7, vcc_lo
	v_and_b32_e32 v36, 0x80000000, v101
	v_lshlrev_b32_e32 v7, 21, v7
	v_or3_b32 v7, v36, v37, v7
.LBB6_4712:                             ;   in Loop: Header=BB6_3222 Depth=4
	s_or_b32 exec_lo, exec_lo, s72
	v_cmp_gt_i16_sdwa s72, v19, v116 src0_sel:BYTE_1 src1_sel:DWORD
	s_mov_b32 s16, 0
	s_and_saveexec_b32 s73, s72
	s_xor_b32 s72, exec_lo, s73
	s_cbranch_execz .LBB6_5650
; %bb.4713:                             ;   in Loop: Header=BB6_3222 Depth=4
	v_cmp_eq_u16_sdwa s74, v19, v117 src0_sel:BYTE_1 src1_sel:DWORD
	s_mov_b32 s16, -1
	s_and_saveexec_b32 s73, s74
; %bb.4714:                             ;   in Loop: Header=BB6_3222 Depth=4
	s_xor_b32 s16, exec_lo, -1
; %bb.4715:                             ;   in Loop: Header=BB6_3222 Depth=4
	s_or_b32 exec_lo, exec_lo, s73
	s_and_b32 s16, s16, exec_lo
	s_or_saveexec_b32 s72, s72
	v_mov_b32_e32 v36, 0x7f800001
	s_xor_b32 exec_lo, exec_lo, s72
	s_cbranch_execnz .LBB6_5651
.LBB6_4716:                             ;   in Loop: Header=BB6_3222 Depth=4
	s_or_b32 exec_lo, exec_lo, s72
	s_and_saveexec_b32 s72, s16
	s_cbranch_execz .LBB6_4718
.LBB6_4717:                             ;   in Loop: Header=BB6_3222 Depth=4
	v_and_b32_sdwa v36, v118, v19 dst_sel:DWORD dst_unused:UNUSED_PAD src0_sel:DWORD src1_sel:BYTE_1
	v_and_b32_e32 v37, 3, v36
	v_bfe_u32 v45, v36, 2, 5
	v_ffbh_u32_e32 v101, v37
	v_cmp_eq_u32_e32 vcc_lo, 0, v45
	v_min_u32_e32 v101, 32, v101
	v_subrev_nc_u32_e32 v42, 29, v101
	v_sub_nc_u32_e32 v101, 30, v101
	v_lshlrev_b32_e32 v36, v42, v36
	v_lshlrev_b32_sdwa v42, v119, v19 dst_sel:DWORD dst_unused:UNUSED_PAD src0_sel:DWORD src1_sel:BYTE_1
	v_cndmask_b32_e32 v101, v45, v101, vcc_lo
	v_and_b32_e32 v36, 3, v36
	v_lshl_add_u32 v101, v101, 23, 0x37800000
	v_cndmask_b32_e32 v36, v37, v36, vcc_lo
	v_and_b32_e32 v37, 0x80000000, v42
	v_lshlrev_b32_e32 v36, 21, v36
	v_or3_b32 v36, v37, v101, v36
.LBB6_4718:                             ;   in Loop: Header=BB6_3222 Depth=4
	s_or_b32 exec_lo, exec_lo, s72
	v_add_f32_e32 v7, v7, v36
	v_and_b32_e32 v36, 0x7f800000, v7
	v_cmp_ne_u32_e32 vcc_lo, 0x7f800000, v36
	v_mov_b32_e32 v36, 0x8000
	s_and_saveexec_b32 s72, vcc_lo
	s_cbranch_execz .LBB6_4726
; %bb.4719:                             ;   in Loop: Header=BB6_3222 Depth=4
	v_mov_b32_e32 v36, 0
	s_mov_b32 s73, exec_lo
	v_cmpx_ne_u32_e32 0, v7
	s_cbranch_execz .LBB6_4725
; %bb.4720:                             ;   in Loop: Header=BB6_3222 Depth=4
	v_bfe_u32 v37, v7, 23, 8
	v_and_b32_e32 v36, 0x7fffff, v7
	v_cmp_gt_u32_e64 s16, 0x71, v37
	v_sub_nc_u32_e32 v101, 0x70, v37
	v_cmp_eq_u32_e32 vcc_lo, 0, v37
	v_or_b32_e32 v42, 0x800000, v36
	v_cndmask_b32_e64 v101, 0, v101, s16
	v_cndmask_b32_e32 v36, v42, v36, vcc_lo
	v_cndmask_b32_e64 v101, v101, 0x6f, vcc_lo
	v_lshl_add_u32 v42, 0x200000, v101, -1
	v_lshlrev_b32_e64 v45, v101, 0x100000
	v_and_b32_e32 v42, v42, v36
	v_cmp_eq_u32_e64 s16, v42, v45
	v_lshrrev_b32_e32 v42, v101, v36
	v_add_nc_u32_e32 v36, 0xffffff91, v37
	v_lshrrev_b32_e32 v37, 23, v42
	v_cndmask_b32_e64 v36, v36, 0xffffff92, vcc_lo
	v_xor_b32_e32 v37, 1, v37
	v_add_nc_u32_e32 v36, v101, v36
	v_bfe_u32 v101, v42, 21, 1
	v_add_nc_u32_e32 v101, -1, v101
	v_cndmask_b32_e64 v101, 0, v101, s16
	s_mov_b32 s16, exec_lo
	v_add_nc_u32_e32 v101, v101, v42
	v_and_b32_e32 v101, 0x1fffff, v101
	v_add_nc_u32_e32 v101, v101, v42
                                        ; implicit-def: $vgpr42
	v_cmpx_ne_u32_e64 v36, v37
	s_xor_b32 s16, exec_lo, s16
; %bb.4721:                             ;   in Loop: Header=BB6_3222 Depth=4
	v_cmp_lt_u32_e32 vcc_lo, 0xffffff, v101
	v_sub_nc_u32_e32 v36, v36, v37
	v_cndmask_b32_e64 v37, 0, 1, vcc_lo
	v_add_co_ci_u32_e64 v42, null, 0, v36, vcc_lo
	v_lshrrev_b32_e32 v101, v37, v101
; %bb.4722:                             ;   in Loop: Header=BB6_3222 Depth=4
	s_andn2_saveexec_b32 s16, s16
; %bb.4723:                             ;   in Loop: Header=BB6_3222 Depth=4
	v_bfe_u32 v42, v101, 23, 1
; %bb.4724:                             ;   in Loop: Header=BB6_3222 Depth=4
	s_or_b32 exec_lo, exec_lo, s16
	v_lshrrev_b32_e32 v36, 21, v101
	v_min_i32_e32 v37, 31, v42
	v_cmp_gt_i32_e32 vcc_lo, 32, v42
	v_and_b32_sdwa v7, v7, v117 dst_sel:DWORD dst_unused:UNUSED_PAD src0_sel:BYTE_3 src1_sel:DWORD
	v_lshlrev_b32_e32 v37, 2, v37
	v_cndmask_b32_e32 v36, 3, v36, vcc_lo
	v_and_b32_e32 v37, 0xfc, v37
	v_or_b32_e32 v101, v42, v36
	v_and_b32_e32 v36, 3, v36
	v_cmp_ne_u32_e32 vcc_lo, 0, v101
	v_or3_b32 v7, v7, v37, v36
	v_lshlrev_b32_e32 v7, 8, v7
	v_cndmask_b32_e32 v36, 0, v7, vcc_lo
.LBB6_4725:                             ;   in Loop: Header=BB6_3222 Depth=4
	s_or_b32 exec_lo, exec_lo, s73
.LBB6_4726:                             ;   in Loop: Header=BB6_3222 Depth=4
	s_or_b32 exec_lo, exec_lo, s72
	v_or_b32_e32 v37, v125, v123
	s_mov_b32 s72, 0
	v_cmp_gt_i16_sdwa s16, v37, v116 src0_sel:BYTE_0 src1_sel:DWORD
	s_and_saveexec_b32 s73, s16
	s_xor_b32 s16, exec_lo, s73
	s_cbranch_execz .LBB6_5652
; %bb.4727:                             ;   in Loop: Header=BB6_3222 Depth=4
	v_cmp_eq_u16_sdwa s74, v37, v117 src0_sel:BYTE_0 src1_sel:DWORD
	s_mov_b32 s72, -1
	s_and_saveexec_b32 s73, s74
; %bb.4728:                             ;   in Loop: Header=BB6_3222 Depth=4
	s_xor_b32 s72, exec_lo, -1
; %bb.4729:                             ;   in Loop: Header=BB6_3222 Depth=4
	s_or_b32 exec_lo, exec_lo, s73
	s_and_b32 s72, s72, exec_lo
	s_or_saveexec_b32 s16, s16
	v_mov_b32_e32 v7, 0x7f800001
	s_xor_b32 exec_lo, exec_lo, s16
	s_cbranch_execnz .LBB6_5653
.LBB6_4730:                             ;   in Loop: Header=BB6_3222 Depth=4
	s_or_b32 exec_lo, exec_lo, s16
	v_lshl_or_b32 v6, v37, 16, v6
	s_and_saveexec_b32 s16, s72
	s_cbranch_execz .LBB6_4732
.LBB6_4731:                             ;   in Loop: Header=BB6_3222 Depth=4
	v_bfe_u32 v7, v6, 16, 2
	v_bfe_u32 v37, v6, 18, 5
	v_ffbh_u32_e32 v101, v7
	v_cmp_eq_u32_e32 vcc_lo, 0, v37
	v_min_u32_e32 v101, 32, v101
	v_subrev_nc_u32_e32 v42, 29, v101
	v_sub_nc_u32_e32 v101, 30, v101
	v_lshlrev_b32_sdwa v42, v42, v6 dst_sel:DWORD dst_unused:UNUSED_PAD src0_sel:DWORD src1_sel:WORD_1
	v_cndmask_b32_e32 v37, v37, v101, vcc_lo
	v_lshlrev_b32_e32 v101, 8, v6
	v_and_b32_e32 v42, 3, v42
	v_lshl_add_u32 v37, v37, 23, 0x37800000
	v_and_b32_e32 v101, 0x80000000, v101
	v_cndmask_b32_e32 v7, v7, v42, vcc_lo
	v_lshlrev_b32_e32 v7, 21, v7
	v_or3_b32 v7, v101, v37, v7
.LBB6_4732:                             ;   in Loop: Header=BB6_3222 Depth=4
	s_or_b32 exec_lo, exec_lo, s16
	v_and_b32_sdwa v101, v19, v40 dst_sel:DWORD dst_unused:UNUSED_PAD src0_sel:WORD_1 src1_sel:DWORD
	s_mov_b32 s72, 0
	s_mov_b32 s16, exec_lo
	v_cmpx_lt_i16_e32 0x7f, v101
	s_xor_b32 s16, exec_lo, s16
	s_cbranch_execz .LBB6_5654
; %bb.4733:                             ;   in Loop: Header=BB6_3222 Depth=4
	s_mov_b32 s72, -1
	s_mov_b32 s73, exec_lo
	v_cmpx_eq_u16_e32 0x80, v101
; %bb.4734:                             ;   in Loop: Header=BB6_3222 Depth=4
	s_xor_b32 s72, exec_lo, -1
; %bb.4735:                             ;   in Loop: Header=BB6_3222 Depth=4
	s_or_b32 exec_lo, exec_lo, s73
	s_and_b32 s72, s72, exec_lo
                                        ; implicit-def: $vgpr101
	s_or_saveexec_b32 s16, s16
	v_mov_b32_e32 v37, 0x7f800001
	s_xor_b32 exec_lo, exec_lo, s16
	s_cbranch_execnz .LBB6_5655
.LBB6_4736:                             ;   in Loop: Header=BB6_3222 Depth=4
	s_or_b32 exec_lo, exec_lo, s16
	s_and_saveexec_b32 s16, s72
	s_cbranch_execz .LBB6_4738
.LBB6_4737:                             ;   in Loop: Header=BB6_3222 Depth=4
	v_bfe_u32 v37, v19, 16, 2
	v_bfe_u32 v101, v19, 18, 5
	v_ffbh_u32_e32 v42, v37
	v_cmp_eq_u32_e32 vcc_lo, 0, v101
	v_min_u32_e32 v42, 32, v42
	v_subrev_nc_u32_e32 v45, 29, v42
	v_sub_nc_u32_e32 v42, 30, v42
	v_lshlrev_b32_sdwa v45, v45, v19 dst_sel:DWORD dst_unused:UNUSED_PAD src0_sel:DWORD src1_sel:WORD_1
	v_cndmask_b32_e32 v101, v101, v42, vcc_lo
	v_lshlrev_b32_e32 v42, 8, v19
	v_and_b32_e32 v45, 3, v45
	v_lshl_add_u32 v101, v101, 23, 0x37800000
	v_and_b32_e32 v42, 0x80000000, v42
	v_cndmask_b32_e32 v37, v37, v45, vcc_lo
	v_lshlrev_b32_e32 v37, 21, v37
	v_or3_b32 v37, v42, v101, v37
.LBB6_4738:                             ;   in Loop: Header=BB6_3222 Depth=4
	s_or_b32 exec_lo, exec_lo, s16
	v_add_f32_e32 v7, v7, v37
	v_and_b32_e32 v37, 0x7f800000, v7
	v_cmp_ne_u32_e32 vcc_lo, 0x7f800000, v37
	v_mov_b32_e32 v37, 0x80
	s_and_saveexec_b32 s72, vcc_lo
	s_cbranch_execz .LBB6_4746
; %bb.4739:                             ;   in Loop: Header=BB6_3222 Depth=4
	v_mov_b32_e32 v37, 0
	s_mov_b32 s73, exec_lo
	v_cmpx_ne_u32_e32 0, v7
	s_cbranch_execz .LBB6_4745
; %bb.4740:                             ;   in Loop: Header=BB6_3222 Depth=4
	v_bfe_u32 v101, v7, 23, 8
	v_and_b32_e32 v37, 0x7fffff, v7
	v_cmp_gt_u32_e64 s16, 0x71, v101
	v_sub_nc_u32_e32 v42, 0x70, v101
	v_cmp_eq_u32_e32 vcc_lo, 0, v101
	v_or_b32_e32 v45, 0x800000, v37
	v_cndmask_b32_e64 v42, 0, v42, s16
	v_cndmask_b32_e32 v37, v45, v37, vcc_lo
	v_cndmask_b32_e64 v42, v42, 0x6f, vcc_lo
	v_lshl_add_u32 v45, 0x200000, v42, -1
	v_lshlrev_b32_e64 v57, v42, 0x100000
	v_and_b32_e32 v45, v45, v37
	v_cmp_eq_u32_e64 s16, v45, v57
	v_lshrrev_b32_e32 v45, v42, v37
	v_add_nc_u32_e32 v37, 0xffffff91, v101
	v_lshrrev_b32_e32 v101, 23, v45
	v_cndmask_b32_e64 v37, v37, 0xffffff92, vcc_lo
	v_xor_b32_e32 v101, 1, v101
	v_add_nc_u32_e32 v37, v42, v37
	v_bfe_u32 v42, v45, 21, 1
	v_add_nc_u32_e32 v42, -1, v42
	v_cndmask_b32_e64 v42, 0, v42, s16
	s_mov_b32 s16, exec_lo
	v_add_nc_u32_e32 v42, v42, v45
	v_and_b32_e32 v42, 0x1fffff, v42
	v_add_nc_u32_e32 v42, v42, v45
                                        ; implicit-def: $vgpr45
	v_cmpx_ne_u32_e64 v37, v101
	s_xor_b32 s16, exec_lo, s16
; %bb.4741:                             ;   in Loop: Header=BB6_3222 Depth=4
	v_cmp_lt_u32_e32 vcc_lo, 0xffffff, v42
	v_sub_nc_u32_e32 v37, v37, v101
	v_cndmask_b32_e64 v101, 0, 1, vcc_lo
	v_add_co_ci_u32_e64 v45, null, 0, v37, vcc_lo
	v_lshrrev_b32_e32 v42, v101, v42
; %bb.4742:                             ;   in Loop: Header=BB6_3222 Depth=4
	s_andn2_saveexec_b32 s16, s16
; %bb.4743:                             ;   in Loop: Header=BB6_3222 Depth=4
	v_bfe_u32 v45, v42, 23, 1
; %bb.4744:                             ;   in Loop: Header=BB6_3222 Depth=4
	s_or_b32 exec_lo, exec_lo, s16
	v_lshrrev_b32_e32 v37, 21, v42
	v_min_i32_e32 v101, 31, v45
	v_cmp_gt_i32_e32 vcc_lo, 32, v45
	v_and_b32_sdwa v7, v7, v117 dst_sel:DWORD dst_unused:UNUSED_PAD src0_sel:BYTE_3 src1_sel:DWORD
	v_lshlrev_b32_e32 v101, 2, v101
	v_cndmask_b32_e32 v37, 3, v37, vcc_lo
	v_and_b32_e32 v101, 0xfc, v101
	v_or_b32_e32 v42, v45, v37
	v_and_b32_e32 v37, 3, v37
	v_cmp_ne_u32_e32 vcc_lo, 0, v42
	v_or3_b32 v7, v101, v7, v37
	v_cndmask_b32_e32 v37, 0, v7, vcc_lo
.LBB6_4745:                             ;   in Loop: Header=BB6_3222 Depth=4
	s_or_b32 exec_lo, exec_lo, s73
.LBB6_4746:                             ;   in Loop: Header=BB6_3222 Depth=4
	s_or_b32 exec_lo, exec_lo, s72
	v_cmp_gt_i16_sdwa s72, v6, v116 src0_sel:BYTE_3 src1_sel:DWORD
	s_mov_b32 s16, 0
	s_and_saveexec_b32 s73, s72
	s_xor_b32 s72, exec_lo, s73
	s_cbranch_execz .LBB6_5656
; %bb.4747:                             ;   in Loop: Header=BB6_3222 Depth=4
	v_cmp_eq_u16_sdwa s74, v6, v117 src0_sel:BYTE_3 src1_sel:DWORD
	s_mov_b32 s16, -1
	s_and_saveexec_b32 s73, s74
; %bb.4748:                             ;   in Loop: Header=BB6_3222 Depth=4
	s_xor_b32 s16, exec_lo, -1
; %bb.4749:                             ;   in Loop: Header=BB6_3222 Depth=4
	s_or_b32 exec_lo, exec_lo, s73
	s_and_b32 s16, s16, exec_lo
	s_or_saveexec_b32 s72, s72
	v_mov_b32_e32 v7, 0x7f800001
	s_xor_b32 exec_lo, exec_lo, s72
	s_cbranch_execnz .LBB6_5657
.LBB6_4750:                             ;   in Loop: Header=BB6_3222 Depth=4
	s_or_b32 exec_lo, exec_lo, s72
	s_and_saveexec_b32 s72, s16
	s_cbranch_execz .LBB6_4752
.LBB6_4751:                             ;   in Loop: Header=BB6_3222 Depth=4
	v_bfe_u32 v7, v6, 24, 2
	v_bfe_u32 v45, v6, 26, 5
	v_ffbh_u32_e32 v101, v7
	v_cmp_eq_u32_e32 vcc_lo, 0, v45
	v_min_u32_e32 v101, 32, v101
	v_subrev_nc_u32_e32 v42, 29, v101
	v_sub_nc_u32_e32 v101, 30, v101
	v_lshlrev_b32_sdwa v42, v42, v6 dst_sel:DWORD dst_unused:UNUSED_PAD src0_sel:DWORD src1_sel:BYTE_3
	v_cndmask_b32_e32 v101, v45, v101, vcc_lo
	v_and_b32_e32 v6, 0x80000000, v6
	v_and_b32_e32 v42, 3, v42
	v_lshl_add_u32 v101, v101, 23, 0x37800000
	v_cndmask_b32_e32 v7, v7, v42, vcc_lo
	v_lshlrev_b32_e32 v7, 21, v7
	v_or3_b32 v7, v6, v101, v7
.LBB6_4752:                             ;   in Loop: Header=BB6_3222 Depth=4
	s_or_b32 exec_lo, exec_lo, s72
	v_cmp_gt_i16_sdwa s72, v19, v116 src0_sel:BYTE_3 src1_sel:DWORD
	s_mov_b32 s16, 0
	s_and_saveexec_b32 s73, s72
	s_xor_b32 s72, exec_lo, s73
	s_cbranch_execz .LBB6_5658
; %bb.4753:                             ;   in Loop: Header=BB6_3222 Depth=4
	v_cmp_eq_u16_sdwa s74, v19, v117 src0_sel:BYTE_3 src1_sel:DWORD
	s_mov_b32 s16, -1
	s_and_saveexec_b32 s73, s74
; %bb.4754:                             ;   in Loop: Header=BB6_3222 Depth=4
	s_xor_b32 s16, exec_lo, -1
; %bb.4755:                             ;   in Loop: Header=BB6_3222 Depth=4
	s_or_b32 exec_lo, exec_lo, s73
	s_and_b32 s16, s16, exec_lo
	s_or_saveexec_b32 s72, s72
	v_mov_b32_e32 v6, 0x7f800001
	s_xor_b32 exec_lo, exec_lo, s72
	s_cbranch_execnz .LBB6_5659
.LBB6_4756:                             ;   in Loop: Header=BB6_3222 Depth=4
	s_or_b32 exec_lo, exec_lo, s72
	s_and_saveexec_b32 s72, s16
	s_cbranch_execz .LBB6_4758
.LBB6_4757:                             ;   in Loop: Header=BB6_3222 Depth=4
	v_bfe_u32 v6, v19, 24, 2
	v_bfe_u32 v45, v19, 26, 5
	v_ffbh_u32_e32 v101, v6
	v_cmp_eq_u32_e32 vcc_lo, 0, v45
	v_min_u32_e32 v101, 32, v101
	v_subrev_nc_u32_e32 v42, 29, v101
	v_sub_nc_u32_e32 v101, 30, v101
	v_lshlrev_b32_sdwa v42, v42, v19 dst_sel:DWORD dst_unused:UNUSED_PAD src0_sel:DWORD src1_sel:BYTE_3
	v_cndmask_b32_e32 v101, v45, v101, vcc_lo
	v_and_b32_e32 v19, 0x80000000, v19
	v_and_b32_e32 v42, 3, v42
	v_lshl_add_u32 v101, v101, 23, 0x37800000
	v_cndmask_b32_e32 v6, v6, v42, vcc_lo
	v_lshlrev_b32_e32 v6, 21, v6
	v_or3_b32 v6, v19, v101, v6
.LBB6_4758:                             ;   in Loop: Header=BB6_3222 Depth=4
	s_or_b32 exec_lo, exec_lo, s72
	v_add_f32_e32 v7, v7, v6
	v_and_b32_e32 v6, 0x7f800000, v7
	v_cmp_ne_u32_e32 vcc_lo, 0x7f800000, v6
	v_mov_b32_e32 v6, 0x8000
	s_and_saveexec_b32 s72, vcc_lo
	s_cbranch_execz .LBB6_4766
; %bb.4759:                             ;   in Loop: Header=BB6_3222 Depth=4
	v_mov_b32_e32 v6, 0
	s_mov_b32 s73, exec_lo
	v_cmpx_ne_u32_e32 0, v7
	s_cbranch_execz .LBB6_4765
; %bb.4760:                             ;   in Loop: Header=BB6_3222 Depth=4
	v_bfe_u32 v19, v7, 23, 8
	v_and_b32_e32 v6, 0x7fffff, v7
	v_cmp_gt_u32_e64 s16, 0x71, v19
	v_sub_nc_u32_e32 v101, 0x70, v19
	v_cmp_eq_u32_e32 vcc_lo, 0, v19
	v_or_b32_e32 v42, 0x800000, v6
	v_cndmask_b32_e64 v101, 0, v101, s16
	v_cndmask_b32_e32 v6, v42, v6, vcc_lo
	v_cndmask_b32_e64 v101, v101, 0x6f, vcc_lo
	v_lshl_add_u32 v42, 0x200000, v101, -1
	v_lshlrev_b32_e64 v45, v101, 0x100000
	v_and_b32_e32 v42, v42, v6
	v_cmp_eq_u32_e64 s16, v42, v45
	v_lshrrev_b32_e32 v42, v101, v6
	v_add_nc_u32_e32 v6, 0xffffff91, v19
	v_lshrrev_b32_e32 v19, 23, v42
	v_cndmask_b32_e64 v6, v6, 0xffffff92, vcc_lo
	v_xor_b32_e32 v19, 1, v19
	v_add_nc_u32_e32 v6, v101, v6
	v_bfe_u32 v101, v42, 21, 1
	v_add_nc_u32_e32 v101, -1, v101
	v_cndmask_b32_e64 v101, 0, v101, s16
	s_mov_b32 s16, exec_lo
	v_add_nc_u32_e32 v101, v101, v42
	v_and_b32_e32 v101, 0x1fffff, v101
	v_add_nc_u32_e32 v101, v101, v42
                                        ; implicit-def: $vgpr42
	v_cmpx_ne_u32_e64 v6, v19
	s_xor_b32 s16, exec_lo, s16
; %bb.4761:                             ;   in Loop: Header=BB6_3222 Depth=4
	v_cmp_lt_u32_e32 vcc_lo, 0xffffff, v101
	v_sub_nc_u32_e32 v6, v6, v19
	v_cndmask_b32_e64 v19, 0, 1, vcc_lo
	v_add_co_ci_u32_e64 v42, null, 0, v6, vcc_lo
	v_lshrrev_b32_e32 v101, v19, v101
; %bb.4762:                             ;   in Loop: Header=BB6_3222 Depth=4
	s_andn2_saveexec_b32 s16, s16
; %bb.4763:                             ;   in Loop: Header=BB6_3222 Depth=4
	v_bfe_u32 v42, v101, 23, 1
; %bb.4764:                             ;   in Loop: Header=BB6_3222 Depth=4
	s_or_b32 exec_lo, exec_lo, s16
	v_and_b32_sdwa v6, v7, v117 dst_sel:DWORD dst_unused:UNUSED_PAD src0_sel:BYTE_3 src1_sel:DWORD
	v_lshrrev_b32_e32 v7, 21, v101
	v_min_i32_e32 v19, 31, v42
	v_cmp_gt_i32_e32 vcc_lo, 32, v42
	v_lshlrev_b32_e32 v19, 2, v19
	v_cndmask_b32_e32 v7, 3, v7, vcc_lo
	v_and_b32_e32 v19, 0xfc, v19
	v_or_b32_e32 v101, v42, v7
	v_and_b32_e32 v7, 3, v7
	v_cmp_ne_u32_e32 vcc_lo, 0, v101
	v_or3_b32 v6, v6, v19, v7
	v_lshlrev_b32_e32 v6, 8, v6
	v_cndmask_b32_e32 v6, 0, v6, vcc_lo
.LBB6_4765:                             ;   in Loop: Header=BB6_3222 Depth=4
	s_or_b32 exec_lo, exec_lo, s73
.LBB6_4766:                             ;   in Loop: Header=BB6_3222 Depth=4
	s_or_b32 exec_lo, exec_lo, s72
	v_or_b32_e32 v101, v113, v120
	s_mov_b32 s72, 0
	v_cmp_gt_i16_sdwa s16, v101, v116 src0_sel:BYTE_0 src1_sel:DWORD
	s_and_saveexec_b32 s73, s16
	s_xor_b32 s16, exec_lo, s73
	s_cbranch_execz .LBB6_5660
; %bb.4767:                             ;   in Loop: Header=BB6_3222 Depth=4
	v_cmp_eq_u16_sdwa s74, v101, v117 src0_sel:BYTE_0 src1_sel:DWORD
	s_mov_b32 s72, -1
	s_and_saveexec_b32 s73, s74
; %bb.4768:                             ;   in Loop: Header=BB6_3222 Depth=4
	s_xor_b32 s72, exec_lo, -1
; %bb.4769:                             ;   in Loop: Header=BB6_3222 Depth=4
	s_or_b32 exec_lo, exec_lo, s73
	s_and_b32 s72, s72, exec_lo
	s_or_saveexec_b32 s16, s16
	v_mov_b32_e32 v7, 0x7f800001
	s_xor_b32 exec_lo, exec_lo, s16
	s_cbranch_execnz .LBB6_5661
.LBB6_4770:                             ;   in Loop: Header=BB6_3222 Depth=4
	s_or_b32 exec_lo, exec_lo, s16
	s_and_saveexec_b32 s16, s72
	s_cbranch_execz .LBB6_4772
.LBB6_4771:                             ;   in Loop: Header=BB6_3222 Depth=4
	v_and_b32_e32 v7, 3, v101
	v_bfe_u32 v19, v101, 2, 5
	v_ffbh_u32_e32 v113, v7
	v_cmp_eq_u32_e32 vcc_lo, 0, v19
	v_min_u32_e32 v113, 32, v113
	v_subrev_nc_u32_e32 v42, 29, v113
	v_sub_nc_u32_e32 v113, 30, v113
	v_lshlrev_b32_e32 v42, v42, v101
	v_cndmask_b32_e32 v19, v19, v113, vcc_lo
	v_lshlrev_b32_e32 v113, 24, v101
	v_and_b32_e32 v42, 3, v42
	v_lshl_add_u32 v19, v19, 23, 0x37800000
	v_and_b32_e32 v113, 0x80000000, v113
	v_cndmask_b32_e32 v7, v7, v42, vcc_lo
	v_lshlrev_b32_e32 v7, 21, v7
	v_or3_b32 v7, v113, v19, v7
.LBB6_4772:                             ;   in Loop: Header=BB6_3222 Depth=4
	s_or_b32 exec_lo, exec_lo, s16
	s_waitcnt vmcnt(1)
	v_cmp_gt_i16_sdwa s16, v12, v116 src0_sel:BYTE_0 src1_sel:DWORD
	s_mov_b32 s72, 0
	s_and_saveexec_b32 s73, s16
	s_xor_b32 s16, exec_lo, s73
	s_cbranch_execz .LBB6_5662
; %bb.4773:                             ;   in Loop: Header=BB6_3222 Depth=4
	v_cmp_eq_u16_sdwa s74, v12, v117 src0_sel:BYTE_0 src1_sel:DWORD
	s_mov_b32 s72, -1
	s_and_saveexec_b32 s73, s74
; %bb.4774:                             ;   in Loop: Header=BB6_3222 Depth=4
	s_xor_b32 s72, exec_lo, -1
; %bb.4775:                             ;   in Loop: Header=BB6_3222 Depth=4
	s_or_b32 exec_lo, exec_lo, s73
	s_and_b32 s72, s72, exec_lo
	s_or_saveexec_b32 s16, s16
	v_mov_b32_e32 v19, 0x7f800001
	s_xor_b32 exec_lo, exec_lo, s16
	s_cbranch_execnz .LBB6_5663
.LBB6_4776:                             ;   in Loop: Header=BB6_3222 Depth=4
	s_or_b32 exec_lo, exec_lo, s16
	s_and_saveexec_b32 s16, s72
	s_cbranch_execz .LBB6_4778
.LBB6_4777:                             ;   in Loop: Header=BB6_3222 Depth=4
	v_and_b32_e32 v19, 3, v12
	v_bfe_u32 v113, v12, 2, 5
	v_ffbh_u32_e32 v42, v19
	v_cmp_eq_u32_e32 vcc_lo, 0, v113
	v_min_u32_e32 v42, 32, v42
	v_subrev_nc_u32_e32 v45, 29, v42
	v_sub_nc_u32_e32 v42, 30, v42
	v_lshlrev_b32_e32 v45, v45, v12
	v_cndmask_b32_e32 v113, v113, v42, vcc_lo
	v_lshlrev_b32_e32 v42, 24, v12
	v_and_b32_e32 v45, 3, v45
	v_lshl_add_u32 v113, v113, 23, 0x37800000
	v_and_b32_e32 v42, 0x80000000, v42
	v_cndmask_b32_e32 v19, v19, v45, vcc_lo
	v_lshlrev_b32_e32 v19, 21, v19
	v_or3_b32 v19, v42, v113, v19
.LBB6_4778:                             ;   in Loop: Header=BB6_3222 Depth=4
	s_or_b32 exec_lo, exec_lo, s16
	v_add_f32_e32 v19, v7, v19
	v_and_b32_e32 v7, 0x7f800000, v19
	v_cmp_ne_u32_e32 vcc_lo, 0x7f800000, v7
	v_mov_b32_e32 v7, 0x80
	s_and_saveexec_b32 s72, vcc_lo
	s_cbranch_execz .LBB6_4786
; %bb.4779:                             ;   in Loop: Header=BB6_3222 Depth=4
	v_mov_b32_e32 v7, 0
	s_mov_b32 s73, exec_lo
	v_cmpx_ne_u32_e32 0, v19
	s_cbranch_execz .LBB6_4785
; %bb.4780:                             ;   in Loop: Header=BB6_3222 Depth=4
	v_bfe_u32 v113, v19, 23, 8
	v_and_b32_e32 v7, 0x7fffff, v19
	v_cmp_gt_u32_e64 s16, 0x71, v113
	v_sub_nc_u32_e32 v42, 0x70, v113
	v_cmp_eq_u32_e32 vcc_lo, 0, v113
	v_or_b32_e32 v45, 0x800000, v7
	v_cndmask_b32_e64 v42, 0, v42, s16
	v_cndmask_b32_e32 v7, v45, v7, vcc_lo
	v_cndmask_b32_e64 v42, v42, 0x6f, vcc_lo
	v_lshl_add_u32 v45, 0x200000, v42, -1
	v_lshlrev_b32_e64 v57, v42, 0x100000
	v_and_b32_e32 v45, v45, v7
	v_cmp_eq_u32_e64 s16, v45, v57
	v_lshrrev_b32_e32 v45, v42, v7
	v_add_nc_u32_e32 v7, 0xffffff91, v113
	v_lshrrev_b32_e32 v113, 23, v45
	v_cndmask_b32_e64 v7, v7, 0xffffff92, vcc_lo
	v_xor_b32_e32 v113, 1, v113
	v_add_nc_u32_e32 v7, v42, v7
	v_bfe_u32 v42, v45, 21, 1
	v_add_nc_u32_e32 v42, -1, v42
	v_cndmask_b32_e64 v42, 0, v42, s16
	s_mov_b32 s16, exec_lo
	v_add_nc_u32_e32 v42, v42, v45
	v_and_b32_e32 v42, 0x1fffff, v42
	v_add_nc_u32_e32 v42, v42, v45
                                        ; implicit-def: $vgpr45
	v_cmpx_ne_u32_e64 v7, v113
	s_xor_b32 s16, exec_lo, s16
; %bb.4781:                             ;   in Loop: Header=BB6_3222 Depth=4
	v_cmp_lt_u32_e32 vcc_lo, 0xffffff, v42
	v_sub_nc_u32_e32 v7, v7, v113
	v_cndmask_b32_e64 v113, 0, 1, vcc_lo
	v_add_co_ci_u32_e64 v45, null, 0, v7, vcc_lo
	v_lshrrev_b32_e32 v42, v113, v42
; %bb.4782:                             ;   in Loop: Header=BB6_3222 Depth=4
	s_andn2_saveexec_b32 s16, s16
; %bb.4783:                             ;   in Loop: Header=BB6_3222 Depth=4
	v_bfe_u32 v45, v42, 23, 1
; %bb.4784:                             ;   in Loop: Header=BB6_3222 Depth=4
	s_or_b32 exec_lo, exec_lo, s16
	v_and_b32_sdwa v7, v19, v117 dst_sel:DWORD dst_unused:UNUSED_PAD src0_sel:BYTE_3 src1_sel:DWORD
	v_lshrrev_b32_e32 v19, 21, v42
	v_min_i32_e32 v113, 31, v45
	v_cmp_gt_i32_e32 vcc_lo, 32, v45
	v_lshlrev_b32_e32 v113, 2, v113
	v_cndmask_b32_e32 v19, 3, v19, vcc_lo
	v_and_b32_e32 v113, 0xfc, v113
	v_or_b32_e32 v42, v45, v19
	v_and_b32_e32 v19, 3, v19
	v_cmp_ne_u32_e32 vcc_lo, 0, v42
	v_or3_b32 v7, v113, v7, v19
	v_cndmask_b32_e32 v7, 0, v7, vcc_lo
.LBB6_4785:                             ;   in Loop: Header=BB6_3222 Depth=4
	s_or_b32 exec_lo, exec_lo, s73
.LBB6_4786:                             ;   in Loop: Header=BB6_3222 Depth=4
	s_or_b32 exec_lo, exec_lo, s72
	v_cmp_gt_i16_sdwa s72, v101, v116 src0_sel:BYTE_1 src1_sel:DWORD
	s_mov_b32 s16, 0
	s_and_saveexec_b32 s73, s72
	s_xor_b32 s72, exec_lo, s73
	s_cbranch_execz .LBB6_5664
; %bb.4787:                             ;   in Loop: Header=BB6_3222 Depth=4
	v_cmp_eq_u16_sdwa s74, v101, v117 src0_sel:BYTE_1 src1_sel:DWORD
	s_mov_b32 s16, -1
	s_and_saveexec_b32 s73, s74
; %bb.4788:                             ;   in Loop: Header=BB6_3222 Depth=4
	s_xor_b32 s16, exec_lo, -1
; %bb.4789:                             ;   in Loop: Header=BB6_3222 Depth=4
	s_or_b32 exec_lo, exec_lo, s73
	s_and_b32 s16, s16, exec_lo
	s_or_saveexec_b32 s72, s72
	v_mov_b32_e32 v19, 0x7f800001
	s_xor_b32 exec_lo, exec_lo, s72
	s_cbranch_execnz .LBB6_5665
.LBB6_4790:                             ;   in Loop: Header=BB6_3222 Depth=4
	s_or_b32 exec_lo, exec_lo, s72
	s_and_saveexec_b32 s72, s16
	s_cbranch_execz .LBB6_4792
.LBB6_4791:                             ;   in Loop: Header=BB6_3222 Depth=4
	v_and_b32_sdwa v19, v118, v101 dst_sel:DWORD dst_unused:UNUSED_PAD src0_sel:DWORD src1_sel:BYTE_1
	v_and_b32_e32 v113, 3, v19
	v_bfe_u32 v57, v19, 2, 5
	v_ffbh_u32_e32 v42, v113
	v_cmp_eq_u32_e32 vcc_lo, 0, v57
	v_min_u32_e32 v42, 32, v42
	v_subrev_nc_u32_e32 v45, 29, v42
	v_sub_nc_u32_e32 v42, 30, v42
	v_lshlrev_b32_e32 v19, v45, v19
	v_lshlrev_b32_sdwa v45, v119, v101 dst_sel:DWORD dst_unused:UNUSED_PAD src0_sel:DWORD src1_sel:BYTE_1
	v_cndmask_b32_e32 v42, v57, v42, vcc_lo
	v_and_b32_e32 v19, 3, v19
	v_lshl_add_u32 v42, v42, 23, 0x37800000
	v_cndmask_b32_e32 v19, v113, v19, vcc_lo
	v_and_b32_e32 v113, 0x80000000, v45
	v_lshlrev_b32_e32 v19, 21, v19
	v_or3_b32 v19, v113, v42, v19
.LBB6_4792:                             ;   in Loop: Header=BB6_3222 Depth=4
	s_or_b32 exec_lo, exec_lo, s72
	v_cmp_gt_i16_sdwa s72, v12, v116 src0_sel:BYTE_1 src1_sel:DWORD
	s_mov_b32 s16, 0
	s_and_saveexec_b32 s73, s72
	s_xor_b32 s72, exec_lo, s73
	s_cbranch_execz .LBB6_5666
; %bb.4793:                             ;   in Loop: Header=BB6_3222 Depth=4
	v_cmp_eq_u16_sdwa s74, v12, v117 src0_sel:BYTE_1 src1_sel:DWORD
	s_mov_b32 s16, -1
	s_and_saveexec_b32 s73, s74
; %bb.4794:                             ;   in Loop: Header=BB6_3222 Depth=4
	s_xor_b32 s16, exec_lo, -1
; %bb.4795:                             ;   in Loop: Header=BB6_3222 Depth=4
	s_or_b32 exec_lo, exec_lo, s73
	s_and_b32 s16, s16, exec_lo
	s_or_saveexec_b32 s72, s72
	v_mov_b32_e32 v113, 0x7f800001
	s_xor_b32 exec_lo, exec_lo, s72
	s_cbranch_execnz .LBB6_5667
.LBB6_4796:                             ;   in Loop: Header=BB6_3222 Depth=4
	s_or_b32 exec_lo, exec_lo, s72
	s_and_saveexec_b32 s72, s16
	s_cbranch_execz .LBB6_4798
.LBB6_4797:                             ;   in Loop: Header=BB6_3222 Depth=4
	v_and_b32_sdwa v113, v118, v12 dst_sel:DWORD dst_unused:UNUSED_PAD src0_sel:DWORD src1_sel:BYTE_1
	v_and_b32_e32 v42, 3, v113
	v_bfe_u32 v60, v113, 2, 5
	v_ffbh_u32_e32 v45, v42
	v_cmp_eq_u32_e32 vcc_lo, 0, v60
	v_min_u32_e32 v45, 32, v45
	v_subrev_nc_u32_e32 v57, 29, v45
	v_sub_nc_u32_e32 v45, 30, v45
	v_lshlrev_b32_e32 v113, v57, v113
	v_lshlrev_b32_sdwa v57, v119, v12 dst_sel:DWORD dst_unused:UNUSED_PAD src0_sel:DWORD src1_sel:BYTE_1
	v_cndmask_b32_e32 v45, v60, v45, vcc_lo
	v_and_b32_e32 v113, 3, v113
	v_lshl_add_u32 v45, v45, 23, 0x37800000
	v_cndmask_b32_e32 v113, v42, v113, vcc_lo
	v_and_b32_e32 v42, 0x80000000, v57
	v_lshlrev_b32_e32 v113, 21, v113
	v_or3_b32 v113, v42, v45, v113
.LBB6_4798:                             ;   in Loop: Header=BB6_3222 Depth=4
	s_or_b32 exec_lo, exec_lo, s72
	v_add_f32_e32 v113, v19, v113
	v_and_b32_e32 v19, 0x7f800000, v113
	v_cmp_ne_u32_e32 vcc_lo, 0x7f800000, v19
	v_mov_b32_e32 v19, 0x8000
	s_and_saveexec_b32 s72, vcc_lo
	s_cbranch_execz .LBB6_4806
; %bb.4799:                             ;   in Loop: Header=BB6_3222 Depth=4
	v_mov_b32_e32 v19, 0
	s_mov_b32 s73, exec_lo
	v_cmpx_ne_u32_e32 0, v113
	s_cbranch_execz .LBB6_4805
; %bb.4800:                             ;   in Loop: Header=BB6_3222 Depth=4
	v_bfe_u32 v42, v113, 23, 8
	v_and_b32_e32 v19, 0x7fffff, v113
	v_cmp_gt_u32_e64 s16, 0x71, v42
	v_sub_nc_u32_e32 v45, 0x70, v42
	v_cmp_eq_u32_e32 vcc_lo, 0, v42
	v_or_b32_e32 v57, 0x800000, v19
	v_cndmask_b32_e64 v45, 0, v45, s16
	v_cndmask_b32_e32 v19, v57, v19, vcc_lo
	v_cndmask_b32_e64 v45, v45, 0x6f, vcc_lo
	v_lshl_add_u32 v57, 0x200000, v45, -1
	v_lshlrev_b32_e64 v60, v45, 0x100000
	v_and_b32_e32 v57, v57, v19
	v_cmp_eq_u32_e64 s16, v57, v60
	v_lshrrev_b32_e32 v57, v45, v19
	v_add_nc_u32_e32 v19, 0xffffff91, v42
	v_lshrrev_b32_e32 v42, 23, v57
	v_cndmask_b32_e64 v19, v19, 0xffffff92, vcc_lo
	v_xor_b32_e32 v42, 1, v42
	v_add_nc_u32_e32 v19, v45, v19
	v_bfe_u32 v45, v57, 21, 1
	v_add_nc_u32_e32 v45, -1, v45
	v_cndmask_b32_e64 v45, 0, v45, s16
	s_mov_b32 s16, exec_lo
	v_add_nc_u32_e32 v45, v45, v57
	v_and_b32_e32 v45, 0x1fffff, v45
	v_add_nc_u32_e32 v45, v45, v57
                                        ; implicit-def: $vgpr57
	v_cmpx_ne_u32_e64 v19, v42
	s_xor_b32 s16, exec_lo, s16
; %bb.4801:                             ;   in Loop: Header=BB6_3222 Depth=4
	v_cmp_lt_u32_e32 vcc_lo, 0xffffff, v45
	v_sub_nc_u32_e32 v19, v19, v42
	v_cndmask_b32_e64 v42, 0, 1, vcc_lo
	v_add_co_ci_u32_e64 v57, null, 0, v19, vcc_lo
	v_lshrrev_b32_e32 v45, v42, v45
; %bb.4802:                             ;   in Loop: Header=BB6_3222 Depth=4
	s_andn2_saveexec_b32 s16, s16
; %bb.4803:                             ;   in Loop: Header=BB6_3222 Depth=4
	v_bfe_u32 v57, v45, 23, 1
; %bb.4804:                             ;   in Loop: Header=BB6_3222 Depth=4
	s_or_b32 exec_lo, exec_lo, s16
	v_and_b32_sdwa v19, v113, v117 dst_sel:DWORD dst_unused:UNUSED_PAD src0_sel:BYTE_3 src1_sel:DWORD
	v_lshrrev_b32_e32 v113, 21, v45
	v_min_i32_e32 v42, 31, v57
	v_cmp_gt_i32_e32 vcc_lo, 32, v57
	v_lshlrev_b32_e32 v42, 2, v42
	v_cndmask_b32_e32 v113, 3, v113, vcc_lo
	v_and_b32_e32 v42, 0xfc, v42
	v_or_b32_e32 v45, v57, v113
	v_and_b32_e32 v113, 3, v113
	v_cmp_ne_u32_e32 vcc_lo, 0, v45
	v_or3_b32 v19, v19, v42, v113
	v_lshlrev_b32_e32 v19, 8, v19
	v_cndmask_b32_e32 v19, 0, v19, vcc_lo
.LBB6_4805:                             ;   in Loop: Header=BB6_3222 Depth=4
	s_or_b32 exec_lo, exec_lo, s73
.LBB6_4806:                             ;   in Loop: Header=BB6_3222 Depth=4
	s_or_b32 exec_lo, exec_lo, s72
	v_or_b32_e32 v113, v122, v111
	s_mov_b32 s72, 0
	v_cmp_gt_i16_sdwa s16, v113, v116 src0_sel:BYTE_0 src1_sel:DWORD
	s_and_saveexec_b32 s73, s16
	s_xor_b32 s16, exec_lo, s73
	s_cbranch_execz .LBB6_5668
; %bb.4807:                             ;   in Loop: Header=BB6_3222 Depth=4
	v_cmp_eq_u16_sdwa s74, v113, v117 src0_sel:BYTE_0 src1_sel:DWORD
	s_mov_b32 s72, -1
	s_and_saveexec_b32 s73, s74
; %bb.4808:                             ;   in Loop: Header=BB6_3222 Depth=4
	s_xor_b32 s72, exec_lo, -1
; %bb.4809:                             ;   in Loop: Header=BB6_3222 Depth=4
	s_or_b32 exec_lo, exec_lo, s73
	s_and_b32 s72, s72, exec_lo
	s_or_saveexec_b32 s16, s16
	v_mov_b32_e32 v42, 0x7f800001
	s_xor_b32 exec_lo, exec_lo, s16
	s_cbranch_execnz .LBB6_5669
.LBB6_4810:                             ;   in Loop: Header=BB6_3222 Depth=4
	s_or_b32 exec_lo, exec_lo, s16
	v_lshl_or_b32 v113, v113, 16, v101
	s_and_saveexec_b32 s16, s72
	s_cbranch_execz .LBB6_4812
.LBB6_4811:                             ;   in Loop: Header=BB6_3222 Depth=4
	v_bfe_u32 v101, v113, 16, 2
	v_bfe_u32 v42, v113, 18, 5
	v_ffbh_u32_e32 v45, v101
	v_cmp_eq_u32_e32 vcc_lo, 0, v42
	v_min_u32_e32 v45, 32, v45
	v_subrev_nc_u32_e32 v57, 29, v45
	v_sub_nc_u32_e32 v45, 30, v45
	v_lshlrev_b32_sdwa v57, v57, v113 dst_sel:DWORD dst_unused:UNUSED_PAD src0_sel:DWORD src1_sel:WORD_1
	v_cndmask_b32_e32 v42, v42, v45, vcc_lo
	v_lshlrev_b32_e32 v45, 8, v113
	v_and_b32_e32 v57, 3, v57
	v_lshl_add_u32 v42, v42, 23, 0x37800000
	v_and_b32_e32 v45, 0x80000000, v45
	v_cndmask_b32_e32 v101, v101, v57, vcc_lo
	v_lshlrev_b32_e32 v101, 21, v101
	v_or3_b32 v42, v45, v42, v101
.LBB6_4812:                             ;   in Loop: Header=BB6_3222 Depth=4
	s_or_b32 exec_lo, exec_lo, s16
	v_and_b32_sdwa v45, v12, v40 dst_sel:DWORD dst_unused:UNUSED_PAD src0_sel:WORD_1 src1_sel:DWORD
	s_mov_b32 s72, 0
	s_mov_b32 s16, exec_lo
	v_cmpx_lt_i16_e32 0x7f, v45
	s_xor_b32 s16, exec_lo, s16
	s_cbranch_execz .LBB6_5670
; %bb.4813:                             ;   in Loop: Header=BB6_3222 Depth=4
	s_mov_b32 s72, -1
	s_mov_b32 s73, exec_lo
	v_cmpx_eq_u16_e32 0x80, v45
; %bb.4814:                             ;   in Loop: Header=BB6_3222 Depth=4
	s_xor_b32 s72, exec_lo, -1
; %bb.4815:                             ;   in Loop: Header=BB6_3222 Depth=4
	s_or_b32 exec_lo, exec_lo, s73
	s_and_b32 s72, s72, exec_lo
                                        ; implicit-def: $vgpr45
	s_or_saveexec_b32 s16, s16
	v_mov_b32_e32 v101, 0x7f800001
	s_xor_b32 exec_lo, exec_lo, s16
	s_cbranch_execnz .LBB6_5671
.LBB6_4816:                             ;   in Loop: Header=BB6_3222 Depth=4
	s_or_b32 exec_lo, exec_lo, s16
	s_and_saveexec_b32 s16, s72
	s_cbranch_execz .LBB6_4818
.LBB6_4817:                             ;   in Loop: Header=BB6_3222 Depth=4
	v_bfe_u32 v101, v12, 16, 2
	v_bfe_u32 v45, v12, 18, 5
	v_ffbh_u32_e32 v57, v101
	v_cmp_eq_u32_e32 vcc_lo, 0, v45
	v_min_u32_e32 v57, 32, v57
	v_subrev_nc_u32_e32 v60, 29, v57
	v_sub_nc_u32_e32 v57, 30, v57
	v_lshlrev_b32_sdwa v60, v60, v12 dst_sel:DWORD dst_unused:UNUSED_PAD src0_sel:DWORD src1_sel:WORD_1
	v_cndmask_b32_e32 v45, v45, v57, vcc_lo
	v_lshlrev_b32_e32 v57, 8, v12
	v_and_b32_e32 v60, 3, v60
	v_lshl_add_u32 v45, v45, 23, 0x37800000
	v_and_b32_e32 v57, 0x80000000, v57
	v_cndmask_b32_e32 v101, v101, v60, vcc_lo
	v_lshlrev_b32_e32 v101, 21, v101
	v_or3_b32 v101, v57, v45, v101
.LBB6_4818:                             ;   in Loop: Header=BB6_3222 Depth=4
	s_or_b32 exec_lo, exec_lo, s16
	v_add_f32_e32 v42, v42, v101
	v_and_b32_e32 v101, 0x7f800000, v42
	v_cmp_ne_u32_e32 vcc_lo, 0x7f800000, v101
	v_mov_b32_e32 v101, 0x80
	s_and_saveexec_b32 s72, vcc_lo
	s_cbranch_execz .LBB6_4826
; %bb.4819:                             ;   in Loop: Header=BB6_3222 Depth=4
	v_mov_b32_e32 v101, 0
	s_mov_b32 s73, exec_lo
	v_cmpx_ne_u32_e32 0, v42
	s_cbranch_execz .LBB6_4825
; %bb.4820:                             ;   in Loop: Header=BB6_3222 Depth=4
	v_bfe_u32 v45, v42, 23, 8
	v_and_b32_e32 v101, 0x7fffff, v42
	v_cmp_gt_u32_e64 s16, 0x71, v45
	v_sub_nc_u32_e32 v57, 0x70, v45
	v_cmp_eq_u32_e32 vcc_lo, 0, v45
	v_or_b32_e32 v60, 0x800000, v101
	v_cndmask_b32_e64 v57, 0, v57, s16
	v_cndmask_b32_e32 v101, v60, v101, vcc_lo
	v_cndmask_b32_e64 v57, v57, 0x6f, vcc_lo
	v_lshl_add_u32 v60, 0x200000, v57, -1
	v_lshlrev_b32_e64 v62, v57, 0x100000
	v_and_b32_e32 v60, v60, v101
	v_cmp_eq_u32_e64 s16, v60, v62
	v_lshrrev_b32_e32 v60, v57, v101
	v_add_nc_u32_e32 v101, 0xffffff91, v45
	v_lshrrev_b32_e32 v45, 23, v60
	v_cndmask_b32_e64 v101, v101, 0xffffff92, vcc_lo
	v_xor_b32_e32 v45, 1, v45
	v_add_nc_u32_e32 v101, v57, v101
	v_bfe_u32 v57, v60, 21, 1
	v_add_nc_u32_e32 v57, -1, v57
	v_cndmask_b32_e64 v57, 0, v57, s16
	s_mov_b32 s16, exec_lo
	v_add_nc_u32_e32 v57, v57, v60
	v_and_b32_e32 v57, 0x1fffff, v57
	v_add_nc_u32_e32 v57, v57, v60
                                        ; implicit-def: $vgpr60
	v_cmpx_ne_u32_e64 v101, v45
	s_xor_b32 s16, exec_lo, s16
; %bb.4821:                             ;   in Loop: Header=BB6_3222 Depth=4
	v_cmp_lt_u32_e32 vcc_lo, 0xffffff, v57
	v_sub_nc_u32_e32 v101, v101, v45
	v_cndmask_b32_e64 v45, 0, 1, vcc_lo
	v_add_co_ci_u32_e64 v60, null, 0, v101, vcc_lo
	v_lshrrev_b32_e32 v57, v45, v57
; %bb.4822:                             ;   in Loop: Header=BB6_3222 Depth=4
	s_andn2_saveexec_b32 s16, s16
; %bb.4823:                             ;   in Loop: Header=BB6_3222 Depth=4
	v_bfe_u32 v60, v57, 23, 1
; %bb.4824:                             ;   in Loop: Header=BB6_3222 Depth=4
	s_or_b32 exec_lo, exec_lo, s16
	v_and_b32_sdwa v101, v42, v117 dst_sel:DWORD dst_unused:UNUSED_PAD src0_sel:BYTE_3 src1_sel:DWORD
	v_lshrrev_b32_e32 v42, 21, v57
	v_min_i32_e32 v45, 31, v60
	v_cmp_gt_i32_e32 vcc_lo, 32, v60
	v_lshlrev_b32_e32 v45, 2, v45
	v_cndmask_b32_e32 v42, 3, v42, vcc_lo
	v_and_b32_e32 v45, 0xfc, v45
	v_or_b32_e32 v57, v60, v42
	v_and_b32_e32 v42, 3, v42
	v_cmp_ne_u32_e32 vcc_lo, 0, v57
	v_or3_b32 v101, v45, v101, v42
	v_cndmask_b32_e32 v101, 0, v101, vcc_lo
.LBB6_4825:                             ;   in Loop: Header=BB6_3222 Depth=4
	s_or_b32 exec_lo, exec_lo, s73
.LBB6_4826:                             ;   in Loop: Header=BB6_3222 Depth=4
	s_or_b32 exec_lo, exec_lo, s72
	v_cmp_gt_i16_sdwa s72, v113, v116 src0_sel:BYTE_3 src1_sel:DWORD
	s_mov_b32 s16, 0
	s_and_saveexec_b32 s73, s72
	s_xor_b32 s72, exec_lo, s73
	s_cbranch_execz .LBB6_5672
; %bb.4827:                             ;   in Loop: Header=BB6_3222 Depth=4
	v_cmp_eq_u16_sdwa s74, v113, v117 src0_sel:BYTE_3 src1_sel:DWORD
	s_mov_b32 s16, -1
	s_and_saveexec_b32 s73, s74
; %bb.4828:                             ;   in Loop: Header=BB6_3222 Depth=4
	s_xor_b32 s16, exec_lo, -1
; %bb.4829:                             ;   in Loop: Header=BB6_3222 Depth=4
	s_or_b32 exec_lo, exec_lo, s73
	s_and_b32 s16, s16, exec_lo
	s_or_saveexec_b32 s72, s72
	v_mov_b32_e32 v42, 0x7f800001
	s_xor_b32 exec_lo, exec_lo, s72
	s_cbranch_execnz .LBB6_5673
.LBB6_4830:                             ;   in Loop: Header=BB6_3222 Depth=4
	s_or_b32 exec_lo, exec_lo, s72
	s_and_saveexec_b32 s72, s16
	s_cbranch_execz .LBB6_4832
.LBB6_4831:                             ;   in Loop: Header=BB6_3222 Depth=4
	v_bfe_u32 v42, v113, 24, 2
	v_bfe_u32 v60, v113, 26, 5
	v_ffbh_u32_e32 v45, v42
	v_cmp_eq_u32_e32 vcc_lo, 0, v60
	v_min_u32_e32 v45, 32, v45
	v_subrev_nc_u32_e32 v57, 29, v45
	v_sub_nc_u32_e32 v45, 30, v45
	v_lshlrev_b32_sdwa v57, v57, v113 dst_sel:DWORD dst_unused:UNUSED_PAD src0_sel:DWORD src1_sel:BYTE_3
	v_cndmask_b32_e32 v45, v60, v45, vcc_lo
	v_and_b32_e32 v113, 0x80000000, v113
	v_and_b32_e32 v57, 3, v57
	v_lshl_add_u32 v45, v45, 23, 0x37800000
	v_cndmask_b32_e32 v42, v42, v57, vcc_lo
	v_lshlrev_b32_e32 v42, 21, v42
	v_or3_b32 v42, v113, v45, v42
.LBB6_4832:                             ;   in Loop: Header=BB6_3222 Depth=4
	s_or_b32 exec_lo, exec_lo, s72
	v_cmp_gt_i16_sdwa s72, v12, v116 src0_sel:BYTE_3 src1_sel:DWORD
	s_mov_b32 s16, 0
	s_and_saveexec_b32 s73, s72
	s_xor_b32 s72, exec_lo, s73
	s_cbranch_execz .LBB6_5674
; %bb.4833:                             ;   in Loop: Header=BB6_3222 Depth=4
	v_cmp_eq_u16_sdwa s74, v12, v117 src0_sel:BYTE_3 src1_sel:DWORD
	s_mov_b32 s16, -1
	s_and_saveexec_b32 s73, s74
; %bb.4834:                             ;   in Loop: Header=BB6_3222 Depth=4
	s_xor_b32 s16, exec_lo, -1
; %bb.4835:                             ;   in Loop: Header=BB6_3222 Depth=4
	s_or_b32 exec_lo, exec_lo, s73
	s_and_b32 s16, s16, exec_lo
	s_or_saveexec_b32 s72, s72
	v_mov_b32_e32 v113, 0x7f800001
	s_xor_b32 exec_lo, exec_lo, s72
	s_cbranch_execnz .LBB6_5675
.LBB6_4836:                             ;   in Loop: Header=BB6_3222 Depth=4
	s_or_b32 exec_lo, exec_lo, s72
	s_and_saveexec_b32 s72, s16
	s_cbranch_execz .LBB6_4838
.LBB6_4837:                             ;   in Loop: Header=BB6_3222 Depth=4
	v_bfe_u32 v113, v12, 24, 2
	v_bfe_u32 v60, v12, 26, 5
	v_ffbh_u32_e32 v45, v113
	v_cmp_eq_u32_e32 vcc_lo, 0, v60
	v_min_u32_e32 v45, 32, v45
	v_subrev_nc_u32_e32 v57, 29, v45
	v_sub_nc_u32_e32 v45, 30, v45
	v_lshlrev_b32_sdwa v57, v57, v12 dst_sel:DWORD dst_unused:UNUSED_PAD src0_sel:DWORD src1_sel:BYTE_3
	v_cndmask_b32_e32 v45, v60, v45, vcc_lo
	v_and_b32_e32 v12, 0x80000000, v12
	v_and_b32_e32 v57, 3, v57
	v_lshl_add_u32 v45, v45, 23, 0x37800000
	v_cndmask_b32_e32 v113, v113, v57, vcc_lo
	v_lshlrev_b32_e32 v113, 21, v113
	v_or3_b32 v113, v12, v45, v113
.LBB6_4838:                             ;   in Loop: Header=BB6_3222 Depth=4
	s_or_b32 exec_lo, exec_lo, s72
	v_add_f32_e32 v113, v42, v113
	v_and_b32_e32 v12, 0x7f800000, v113
	v_cmp_ne_u32_e32 vcc_lo, 0x7f800000, v12
	v_mov_b32_e32 v12, 0x8000
	s_and_saveexec_b32 s72, vcc_lo
	s_cbranch_execz .LBB6_4846
; %bb.4839:                             ;   in Loop: Header=BB6_3222 Depth=4
	v_mov_b32_e32 v12, 0
	s_mov_b32 s73, exec_lo
	v_cmpx_ne_u32_e32 0, v113
	s_cbranch_execz .LBB6_4845
; %bb.4840:                             ;   in Loop: Header=BB6_3222 Depth=4
	v_bfe_u32 v42, v113, 23, 8
	v_and_b32_e32 v12, 0x7fffff, v113
	v_cmp_gt_u32_e64 s16, 0x71, v42
	v_sub_nc_u32_e32 v45, 0x70, v42
	v_cmp_eq_u32_e32 vcc_lo, 0, v42
	v_or_b32_e32 v57, 0x800000, v12
	v_cndmask_b32_e64 v45, 0, v45, s16
	v_cndmask_b32_e32 v12, v57, v12, vcc_lo
	v_cndmask_b32_e64 v45, v45, 0x6f, vcc_lo
	v_lshl_add_u32 v57, 0x200000, v45, -1
	v_lshlrev_b32_e64 v60, v45, 0x100000
	v_and_b32_e32 v57, v57, v12
	v_cmp_eq_u32_e64 s16, v57, v60
	v_lshrrev_b32_e32 v57, v45, v12
	v_add_nc_u32_e32 v12, 0xffffff91, v42
	v_lshrrev_b32_e32 v42, 23, v57
	v_cndmask_b32_e64 v12, v12, 0xffffff92, vcc_lo
	v_xor_b32_e32 v42, 1, v42
	v_add_nc_u32_e32 v12, v45, v12
	v_bfe_u32 v45, v57, 21, 1
	v_add_nc_u32_e32 v45, -1, v45
	v_cndmask_b32_e64 v45, 0, v45, s16
	s_mov_b32 s16, exec_lo
	v_add_nc_u32_e32 v45, v45, v57
	v_and_b32_e32 v45, 0x1fffff, v45
	v_add_nc_u32_e32 v45, v45, v57
                                        ; implicit-def: $vgpr57
	v_cmpx_ne_u32_e64 v12, v42
	s_xor_b32 s16, exec_lo, s16
; %bb.4841:                             ;   in Loop: Header=BB6_3222 Depth=4
	v_cmp_lt_u32_e32 vcc_lo, 0xffffff, v45
	v_sub_nc_u32_e32 v12, v12, v42
	v_cndmask_b32_e64 v42, 0, 1, vcc_lo
	v_add_co_ci_u32_e64 v57, null, 0, v12, vcc_lo
	v_lshrrev_b32_e32 v45, v42, v45
; %bb.4842:                             ;   in Loop: Header=BB6_3222 Depth=4
	s_andn2_saveexec_b32 s16, s16
; %bb.4843:                             ;   in Loop: Header=BB6_3222 Depth=4
	v_bfe_u32 v57, v45, 23, 1
; %bb.4844:                             ;   in Loop: Header=BB6_3222 Depth=4
	s_or_b32 exec_lo, exec_lo, s16
	v_and_b32_sdwa v12, v113, v117 dst_sel:DWORD dst_unused:UNUSED_PAD src0_sel:BYTE_3 src1_sel:DWORD
	v_lshrrev_b32_e32 v113, 21, v45
	v_min_i32_e32 v42, 31, v57
	v_cmp_gt_i32_e32 vcc_lo, 32, v57
	v_lshlrev_b32_e32 v42, 2, v42
	v_cndmask_b32_e32 v113, 3, v113, vcc_lo
	v_and_b32_e32 v42, 0xfc, v42
	v_or_b32_e32 v45, v57, v113
	v_and_b32_e32 v113, 3, v113
	v_cmp_ne_u32_e32 vcc_lo, 0, v45
	v_or3_b32 v12, v12, v42, v113
	v_lshlrev_b32_e32 v12, 8, v12
	v_cndmask_b32_e32 v12, 0, v12, vcc_lo
.LBB6_4845:                             ;   in Loop: Header=BB6_3222 Depth=4
	s_or_b32 exec_lo, exec_lo, s73
.LBB6_4846:                             ;   in Loop: Header=BB6_3222 Depth=4
	s_or_b32 exec_lo, exec_lo, s72
	v_or_b32_e32 v113, v1, v31
	s_mov_b32 s72, 0
	v_cmp_gt_i16_sdwa s16, v113, v116 src0_sel:BYTE_0 src1_sel:DWORD
	s_and_saveexec_b32 s73, s16
	s_xor_b32 s16, exec_lo, s73
	s_cbranch_execz .LBB6_5676
; %bb.4847:                             ;   in Loop: Header=BB6_3222 Depth=4
	v_cmp_eq_u16_sdwa s74, v113, v117 src0_sel:BYTE_0 src1_sel:DWORD
	s_mov_b32 s72, -1
	s_and_saveexec_b32 s73, s74
; %bb.4848:                             ;   in Loop: Header=BB6_3222 Depth=4
	s_xor_b32 s72, exec_lo, -1
; %bb.4849:                             ;   in Loop: Header=BB6_3222 Depth=4
	s_or_b32 exec_lo, exec_lo, s73
	s_and_b32 s72, s72, exec_lo
	s_or_saveexec_b32 s16, s16
	v_mov_b32_e32 v1, 0x7f800001
	s_xor_b32 exec_lo, exec_lo, s16
	s_cbranch_execnz .LBB6_5677
.LBB6_4850:                             ;   in Loop: Header=BB6_3222 Depth=4
	s_or_b32 exec_lo, exec_lo, s16
	s_and_saveexec_b32 s16, s72
	s_cbranch_execz .LBB6_4852
.LBB6_4851:                             ;   in Loop: Header=BB6_3222 Depth=4
	v_and_b32_e32 v1, 3, v113
	v_bfe_u32 v31, v113, 2, 5
	v_ffbh_u32_e32 v42, v1
	v_cmp_eq_u32_e32 vcc_lo, 0, v31
	v_min_u32_e32 v42, 32, v42
	v_subrev_nc_u32_e32 v45, 29, v42
	v_sub_nc_u32_e32 v42, 30, v42
	v_lshlrev_b32_e32 v45, v45, v113
	v_cndmask_b32_e32 v31, v31, v42, vcc_lo
	v_lshlrev_b32_e32 v42, 24, v113
	v_and_b32_e32 v45, 3, v45
	v_lshl_add_u32 v31, v31, 23, 0x37800000
	v_and_b32_e32 v42, 0x80000000, v42
	v_cndmask_b32_e32 v1, v1, v45, vcc_lo
	v_lshlrev_b32_e32 v1, 21, v1
	v_or3_b32 v1, v42, v31, v1
.LBB6_4852:                             ;   in Loop: Header=BB6_3222 Depth=4
	s_or_b32 exec_lo, exec_lo, s16
	v_cmp_gt_i16_sdwa s16, v13, v116 src0_sel:BYTE_0 src1_sel:DWORD
	s_mov_b32 s72, 0
	s_and_saveexec_b32 s73, s16
	s_xor_b32 s16, exec_lo, s73
	s_cbranch_execz .LBB6_5678
; %bb.4853:                             ;   in Loop: Header=BB6_3222 Depth=4
	v_cmp_eq_u16_sdwa s74, v13, v117 src0_sel:BYTE_0 src1_sel:DWORD
	s_mov_b32 s72, -1
	s_and_saveexec_b32 s73, s74
; %bb.4854:                             ;   in Loop: Header=BB6_3222 Depth=4
	s_xor_b32 s72, exec_lo, -1
; %bb.4855:                             ;   in Loop: Header=BB6_3222 Depth=4
	s_or_b32 exec_lo, exec_lo, s73
	s_and_b32 s72, s72, exec_lo
	s_or_saveexec_b32 s16, s16
	v_mov_b32_e32 v31, 0x7f800001
	s_xor_b32 exec_lo, exec_lo, s16
	s_cbranch_execnz .LBB6_5679
.LBB6_4856:                             ;   in Loop: Header=BB6_3222 Depth=4
	s_or_b32 exec_lo, exec_lo, s16
	s_and_saveexec_b32 s16, s72
	s_cbranch_execz .LBB6_4858
.LBB6_4857:                             ;   in Loop: Header=BB6_3222 Depth=4
	v_and_b32_e32 v31, 3, v13
	v_bfe_u32 v42, v13, 2, 5
	v_ffbh_u32_e32 v45, v31
	v_cmp_eq_u32_e32 vcc_lo, 0, v42
	v_min_u32_e32 v45, 32, v45
	v_subrev_nc_u32_e32 v57, 29, v45
	v_sub_nc_u32_e32 v45, 30, v45
	v_lshlrev_b32_e32 v57, v57, v13
	v_cndmask_b32_e32 v42, v42, v45, vcc_lo
	v_lshlrev_b32_e32 v45, 24, v13
	v_and_b32_e32 v57, 3, v57
	v_lshl_add_u32 v42, v42, 23, 0x37800000
	v_and_b32_e32 v45, 0x80000000, v45
	v_cndmask_b32_e32 v31, v31, v57, vcc_lo
	v_lshlrev_b32_e32 v31, 21, v31
	v_or3_b32 v31, v45, v42, v31
.LBB6_4858:                             ;   in Loop: Header=BB6_3222 Depth=4
	s_or_b32 exec_lo, exec_lo, s16
	v_add_f32_e32 v31, v1, v31
	v_and_b32_e32 v1, 0x7f800000, v31
	v_cmp_ne_u32_e32 vcc_lo, 0x7f800000, v1
	v_mov_b32_e32 v1, 0x80
	s_and_saveexec_b32 s72, vcc_lo
	s_cbranch_execz .LBB6_4866
; %bb.4859:                             ;   in Loop: Header=BB6_3222 Depth=4
	v_mov_b32_e32 v1, 0
	s_mov_b32 s73, exec_lo
	v_cmpx_ne_u32_e32 0, v31
	s_cbranch_execz .LBB6_4865
; %bb.4860:                             ;   in Loop: Header=BB6_3222 Depth=4
	v_bfe_u32 v42, v31, 23, 8
	v_and_b32_e32 v1, 0x7fffff, v31
	v_cmp_gt_u32_e64 s16, 0x71, v42
	v_sub_nc_u32_e32 v45, 0x70, v42
	v_cmp_eq_u32_e32 vcc_lo, 0, v42
	v_or_b32_e32 v57, 0x800000, v1
	v_cndmask_b32_e64 v45, 0, v45, s16
	v_cndmask_b32_e32 v1, v57, v1, vcc_lo
	v_cndmask_b32_e64 v45, v45, 0x6f, vcc_lo
	v_lshl_add_u32 v57, 0x200000, v45, -1
	v_lshlrev_b32_e64 v60, v45, 0x100000
	v_and_b32_e32 v57, v57, v1
	v_cmp_eq_u32_e64 s16, v57, v60
	v_lshrrev_b32_e32 v57, v45, v1
	v_add_nc_u32_e32 v1, 0xffffff91, v42
	v_lshrrev_b32_e32 v42, 23, v57
	v_cndmask_b32_e64 v1, v1, 0xffffff92, vcc_lo
	v_xor_b32_e32 v42, 1, v42
	v_add_nc_u32_e32 v1, v45, v1
	v_bfe_u32 v45, v57, 21, 1
	v_add_nc_u32_e32 v45, -1, v45
	v_cndmask_b32_e64 v45, 0, v45, s16
	s_mov_b32 s16, exec_lo
	v_add_nc_u32_e32 v45, v45, v57
	v_and_b32_e32 v45, 0x1fffff, v45
	v_add_nc_u32_e32 v45, v45, v57
                                        ; implicit-def: $vgpr57
	v_cmpx_ne_u32_e64 v1, v42
	s_xor_b32 s16, exec_lo, s16
; %bb.4861:                             ;   in Loop: Header=BB6_3222 Depth=4
	v_cmp_lt_u32_e32 vcc_lo, 0xffffff, v45
	v_sub_nc_u32_e32 v1, v1, v42
	v_cndmask_b32_e64 v42, 0, 1, vcc_lo
	v_add_co_ci_u32_e64 v57, null, 0, v1, vcc_lo
	v_lshrrev_b32_e32 v45, v42, v45
; %bb.4862:                             ;   in Loop: Header=BB6_3222 Depth=4
	s_andn2_saveexec_b32 s16, s16
; %bb.4863:                             ;   in Loop: Header=BB6_3222 Depth=4
	v_bfe_u32 v57, v45, 23, 1
; %bb.4864:                             ;   in Loop: Header=BB6_3222 Depth=4
	s_or_b32 exec_lo, exec_lo, s16
	v_and_b32_sdwa v1, v31, v117 dst_sel:DWORD dst_unused:UNUSED_PAD src0_sel:BYTE_3 src1_sel:DWORD
	v_lshrrev_b32_e32 v31, 21, v45
	v_min_i32_e32 v42, 31, v57
	v_cmp_gt_i32_e32 vcc_lo, 32, v57
	v_lshlrev_b32_e32 v42, 2, v42
	v_cndmask_b32_e32 v31, 3, v31, vcc_lo
	v_and_b32_e32 v42, 0xfc, v42
	v_or_b32_e32 v45, v57, v31
	v_and_b32_e32 v31, 3, v31
	v_cmp_ne_u32_e32 vcc_lo, 0, v45
	v_or3_b32 v1, v42, v1, v31
	v_cndmask_b32_e32 v1, 0, v1, vcc_lo
.LBB6_4865:                             ;   in Loop: Header=BB6_3222 Depth=4
	s_or_b32 exec_lo, exec_lo, s73
.LBB6_4866:                             ;   in Loop: Header=BB6_3222 Depth=4
	s_or_b32 exec_lo, exec_lo, s72
	v_cmp_gt_i16_sdwa s72, v113, v116 src0_sel:BYTE_1 src1_sel:DWORD
	s_mov_b32 s16, 0
	s_and_saveexec_b32 s73, s72
	s_xor_b32 s72, exec_lo, s73
	s_cbranch_execz .LBB6_5680
; %bb.4867:                             ;   in Loop: Header=BB6_3222 Depth=4
	v_cmp_eq_u16_sdwa s74, v113, v117 src0_sel:BYTE_1 src1_sel:DWORD
	s_mov_b32 s16, -1
	s_and_saveexec_b32 s73, s74
; %bb.4868:                             ;   in Loop: Header=BB6_3222 Depth=4
	s_xor_b32 s16, exec_lo, -1
; %bb.4869:                             ;   in Loop: Header=BB6_3222 Depth=4
	s_or_b32 exec_lo, exec_lo, s73
	s_and_b32 s16, s16, exec_lo
	s_or_saveexec_b32 s72, s72
	v_mov_b32_e32 v31, 0x7f800001
	s_xor_b32 exec_lo, exec_lo, s72
	s_cbranch_execnz .LBB6_5681
.LBB6_4870:                             ;   in Loop: Header=BB6_3222 Depth=4
	s_or_b32 exec_lo, exec_lo, s72
	s_and_saveexec_b32 s72, s16
	s_cbranch_execz .LBB6_4872
.LBB6_4871:                             ;   in Loop: Header=BB6_3222 Depth=4
	v_and_b32_sdwa v31, v118, v113 dst_sel:DWORD dst_unused:UNUSED_PAD src0_sel:DWORD src1_sel:BYTE_1
	v_and_b32_e32 v42, 3, v31
	v_bfe_u32 v60, v31, 2, 5
	v_ffbh_u32_e32 v45, v42
	v_cmp_eq_u32_e32 vcc_lo, 0, v60
	v_min_u32_e32 v45, 32, v45
	v_subrev_nc_u32_e32 v57, 29, v45
	v_sub_nc_u32_e32 v45, 30, v45
	v_lshlrev_b32_e32 v31, v57, v31
	v_lshlrev_b32_sdwa v57, v119, v113 dst_sel:DWORD dst_unused:UNUSED_PAD src0_sel:DWORD src1_sel:BYTE_1
	v_cndmask_b32_e32 v45, v60, v45, vcc_lo
	v_and_b32_e32 v31, 3, v31
	v_lshl_add_u32 v45, v45, 23, 0x37800000
	v_cndmask_b32_e32 v31, v42, v31, vcc_lo
	v_and_b32_e32 v42, 0x80000000, v57
	v_lshlrev_b32_e32 v31, 21, v31
	v_or3_b32 v31, v42, v45, v31
.LBB6_4872:                             ;   in Loop: Header=BB6_3222 Depth=4
	s_or_b32 exec_lo, exec_lo, s72
	v_cmp_gt_i16_sdwa s72, v13, v116 src0_sel:BYTE_1 src1_sel:DWORD
	s_mov_b32 s16, 0
	s_and_saveexec_b32 s73, s72
	s_xor_b32 s72, exec_lo, s73
	s_cbranch_execz .LBB6_5682
; %bb.4873:                             ;   in Loop: Header=BB6_3222 Depth=4
	v_cmp_eq_u16_sdwa s74, v13, v117 src0_sel:BYTE_1 src1_sel:DWORD
	s_mov_b32 s16, -1
	s_and_saveexec_b32 s73, s74
; %bb.4874:                             ;   in Loop: Header=BB6_3222 Depth=4
	s_xor_b32 s16, exec_lo, -1
; %bb.4875:                             ;   in Loop: Header=BB6_3222 Depth=4
	s_or_b32 exec_lo, exec_lo, s73
	s_and_b32 s16, s16, exec_lo
	s_or_saveexec_b32 s72, s72
	v_mov_b32_e32 v42, 0x7f800001
	s_xor_b32 exec_lo, exec_lo, s72
	s_cbranch_execnz .LBB6_5683
.LBB6_4876:                             ;   in Loop: Header=BB6_3222 Depth=4
	s_or_b32 exec_lo, exec_lo, s72
	s_and_saveexec_b32 s72, s16
	s_cbranch_execz .LBB6_4878
.LBB6_4877:                             ;   in Loop: Header=BB6_3222 Depth=4
	v_and_b32_sdwa v42, v118, v13 dst_sel:DWORD dst_unused:UNUSED_PAD src0_sel:DWORD src1_sel:BYTE_1
	v_and_b32_e32 v45, 3, v42
	v_bfe_u32 v62, v42, 2, 5
	v_ffbh_u32_e32 v57, v45
	v_cmp_eq_u32_e32 vcc_lo, 0, v62
	v_min_u32_e32 v57, 32, v57
	v_subrev_nc_u32_e32 v60, 29, v57
	v_sub_nc_u32_e32 v57, 30, v57
	v_lshlrev_b32_e32 v42, v60, v42
	v_lshlrev_b32_sdwa v60, v119, v13 dst_sel:DWORD dst_unused:UNUSED_PAD src0_sel:DWORD src1_sel:BYTE_1
	v_cndmask_b32_e32 v57, v62, v57, vcc_lo
	v_and_b32_e32 v42, 3, v42
	v_lshl_add_u32 v57, v57, 23, 0x37800000
	v_cndmask_b32_e32 v42, v45, v42, vcc_lo
	v_and_b32_e32 v45, 0x80000000, v60
	v_lshlrev_b32_e32 v42, 21, v42
	v_or3_b32 v42, v45, v57, v42
.LBB6_4878:                             ;   in Loop: Header=BB6_3222 Depth=4
	s_or_b32 exec_lo, exec_lo, s72
	v_add_f32_e32 v42, v31, v42
	v_and_b32_e32 v31, 0x7f800000, v42
	v_cmp_ne_u32_e32 vcc_lo, 0x7f800000, v31
	v_mov_b32_e32 v31, 0x8000
	s_and_saveexec_b32 s72, vcc_lo
	s_cbranch_execz .LBB6_4886
; %bb.4879:                             ;   in Loop: Header=BB6_3222 Depth=4
	v_mov_b32_e32 v31, 0
	s_mov_b32 s73, exec_lo
	v_cmpx_ne_u32_e32 0, v42
	s_cbranch_execz .LBB6_4885
; %bb.4880:                             ;   in Loop: Header=BB6_3222 Depth=4
	v_bfe_u32 v45, v42, 23, 8
	v_and_b32_e32 v31, 0x7fffff, v42
	v_cmp_gt_u32_e64 s16, 0x71, v45
	v_sub_nc_u32_e32 v57, 0x70, v45
	v_cmp_eq_u32_e32 vcc_lo, 0, v45
	v_or_b32_e32 v60, 0x800000, v31
	v_cndmask_b32_e64 v57, 0, v57, s16
	v_cndmask_b32_e32 v31, v60, v31, vcc_lo
	v_cndmask_b32_e64 v57, v57, 0x6f, vcc_lo
	v_lshl_add_u32 v60, 0x200000, v57, -1
	v_lshlrev_b32_e64 v62, v57, 0x100000
	v_and_b32_e32 v60, v60, v31
	v_cmp_eq_u32_e64 s16, v60, v62
	v_lshrrev_b32_e32 v60, v57, v31
	v_add_nc_u32_e32 v31, 0xffffff91, v45
	v_lshrrev_b32_e32 v45, 23, v60
	v_cndmask_b32_e64 v31, v31, 0xffffff92, vcc_lo
	v_xor_b32_e32 v45, 1, v45
	v_add_nc_u32_e32 v31, v57, v31
	v_bfe_u32 v57, v60, 21, 1
	v_add_nc_u32_e32 v57, -1, v57
	v_cndmask_b32_e64 v57, 0, v57, s16
	s_mov_b32 s16, exec_lo
	v_add_nc_u32_e32 v57, v57, v60
	v_and_b32_e32 v57, 0x1fffff, v57
	v_add_nc_u32_e32 v57, v57, v60
                                        ; implicit-def: $vgpr60
	v_cmpx_ne_u32_e64 v31, v45
	s_xor_b32 s16, exec_lo, s16
; %bb.4881:                             ;   in Loop: Header=BB6_3222 Depth=4
	v_cmp_lt_u32_e32 vcc_lo, 0xffffff, v57
	v_sub_nc_u32_e32 v31, v31, v45
	v_cndmask_b32_e64 v45, 0, 1, vcc_lo
	v_add_co_ci_u32_e64 v60, null, 0, v31, vcc_lo
	v_lshrrev_b32_e32 v57, v45, v57
; %bb.4882:                             ;   in Loop: Header=BB6_3222 Depth=4
	s_andn2_saveexec_b32 s16, s16
; %bb.4883:                             ;   in Loop: Header=BB6_3222 Depth=4
	v_bfe_u32 v60, v57, 23, 1
; %bb.4884:                             ;   in Loop: Header=BB6_3222 Depth=4
	s_or_b32 exec_lo, exec_lo, s16
	v_and_b32_sdwa v31, v42, v117 dst_sel:DWORD dst_unused:UNUSED_PAD src0_sel:BYTE_3 src1_sel:DWORD
	v_lshrrev_b32_e32 v42, 21, v57
	v_min_i32_e32 v45, 31, v60
	v_cmp_gt_i32_e32 vcc_lo, 32, v60
	v_lshlrev_b32_e32 v45, 2, v45
	v_cndmask_b32_e32 v42, 3, v42, vcc_lo
	v_and_b32_e32 v45, 0xfc, v45
	v_or_b32_e32 v57, v60, v42
	v_and_b32_e32 v42, 3, v42
	v_cmp_ne_u32_e32 vcc_lo, 0, v57
	v_or3_b32 v31, v31, v45, v42
	v_lshlrev_b32_e32 v31, 8, v31
	v_cndmask_b32_e32 v31, 0, v31, vcc_lo
.LBB6_4885:                             ;   in Loop: Header=BB6_3222 Depth=4
	s_or_b32 exec_lo, exec_lo, s73
.LBB6_4886:                             ;   in Loop: Header=BB6_3222 Depth=4
	s_or_b32 exec_lo, exec_lo, s72
	v_or_b32_e32 v42, v110, v108
	s_mov_b32 s72, 0
	v_cmp_gt_i16_sdwa s16, v42, v116 src0_sel:BYTE_0 src1_sel:DWORD
	s_and_saveexec_b32 s73, s16
	s_xor_b32 s16, exec_lo, s73
	s_cbranch_execz .LBB6_5684
; %bb.4887:                             ;   in Loop: Header=BB6_3222 Depth=4
	v_cmp_eq_u16_sdwa s74, v42, v117 src0_sel:BYTE_0 src1_sel:DWORD
	s_mov_b32 s72, -1
	s_and_saveexec_b32 s73, s74
; %bb.4888:                             ;   in Loop: Header=BB6_3222 Depth=4
	s_xor_b32 s72, exec_lo, -1
; %bb.4889:                             ;   in Loop: Header=BB6_3222 Depth=4
	s_or_b32 exec_lo, exec_lo, s73
	s_and_b32 s72, s72, exec_lo
	s_or_saveexec_b32 s16, s16
	v_mov_b32_e32 v45, 0x7f800001
	s_xor_b32 exec_lo, exec_lo, s16
	s_cbranch_execnz .LBB6_5685
.LBB6_4890:                             ;   in Loop: Header=BB6_3222 Depth=4
	s_or_b32 exec_lo, exec_lo, s16
	v_lshl_or_b32 v42, v42, 16, v113
	s_and_saveexec_b32 s16, s72
	s_cbranch_execz .LBB6_4892
.LBB6_4891:                             ;   in Loop: Header=BB6_3222 Depth=4
	v_bfe_u32 v113, v42, 16, 2
	v_bfe_u32 v45, v42, 18, 5
	v_ffbh_u32_e32 v57, v113
	v_cmp_eq_u32_e32 vcc_lo, 0, v45
	v_min_u32_e32 v57, 32, v57
	v_subrev_nc_u32_e32 v60, 29, v57
	v_sub_nc_u32_e32 v57, 30, v57
	v_lshlrev_b32_sdwa v60, v60, v42 dst_sel:DWORD dst_unused:UNUSED_PAD src0_sel:DWORD src1_sel:WORD_1
	v_cndmask_b32_e32 v45, v45, v57, vcc_lo
	v_lshlrev_b32_e32 v57, 8, v42
	v_and_b32_e32 v60, 3, v60
	v_lshl_add_u32 v45, v45, 23, 0x37800000
	v_and_b32_e32 v57, 0x80000000, v57
	v_cndmask_b32_e32 v113, v113, v60, vcc_lo
	v_lshlrev_b32_e32 v113, 21, v113
	v_or3_b32 v45, v57, v45, v113
.LBB6_4892:                             ;   in Loop: Header=BB6_3222 Depth=4
	s_or_b32 exec_lo, exec_lo, s16
	v_and_b32_sdwa v57, v13, v40 dst_sel:DWORD dst_unused:UNUSED_PAD src0_sel:WORD_1 src1_sel:DWORD
	s_mov_b32 s72, 0
	s_mov_b32 s16, exec_lo
	v_cmpx_lt_i16_e32 0x7f, v57
	s_xor_b32 s16, exec_lo, s16
	s_cbranch_execz .LBB6_5686
; %bb.4893:                             ;   in Loop: Header=BB6_3222 Depth=4
	s_mov_b32 s72, -1
	s_mov_b32 s73, exec_lo
	v_cmpx_eq_u16_e32 0x80, v57
; %bb.4894:                             ;   in Loop: Header=BB6_3222 Depth=4
	s_xor_b32 s72, exec_lo, -1
; %bb.4895:                             ;   in Loop: Header=BB6_3222 Depth=4
	s_or_b32 exec_lo, exec_lo, s73
	s_and_b32 s72, s72, exec_lo
                                        ; implicit-def: $vgpr57
	s_or_saveexec_b32 s16, s16
	v_mov_b32_e32 v113, 0x7f800001
	s_xor_b32 exec_lo, exec_lo, s16
	s_cbranch_execnz .LBB6_5687
.LBB6_4896:                             ;   in Loop: Header=BB6_3222 Depth=4
	s_or_b32 exec_lo, exec_lo, s16
	s_and_saveexec_b32 s16, s72
	s_cbranch_execz .LBB6_4898
.LBB6_4897:                             ;   in Loop: Header=BB6_3222 Depth=4
	v_bfe_u32 v113, v13, 16, 2
	v_bfe_u32 v57, v13, 18, 5
	v_ffbh_u32_e32 v60, v113
	v_cmp_eq_u32_e32 vcc_lo, 0, v57
	v_min_u32_e32 v60, 32, v60
	v_subrev_nc_u32_e32 v62, 29, v60
	v_sub_nc_u32_e32 v60, 30, v60
	v_lshlrev_b32_sdwa v62, v62, v13 dst_sel:DWORD dst_unused:UNUSED_PAD src0_sel:DWORD src1_sel:WORD_1
	v_cndmask_b32_e32 v57, v57, v60, vcc_lo
	v_lshlrev_b32_e32 v60, 8, v13
	v_and_b32_e32 v62, 3, v62
	v_lshl_add_u32 v57, v57, 23, 0x37800000
	v_and_b32_e32 v60, 0x80000000, v60
	v_cndmask_b32_e32 v113, v113, v62, vcc_lo
	v_lshlrev_b32_e32 v113, 21, v113
	v_or3_b32 v113, v60, v57, v113
.LBB6_4898:                             ;   in Loop: Header=BB6_3222 Depth=4
	s_or_b32 exec_lo, exec_lo, s16
	v_add_f32_e32 v45, v45, v113
	v_and_b32_e32 v113, 0x7f800000, v45
	v_cmp_ne_u32_e32 vcc_lo, 0x7f800000, v113
	v_mov_b32_e32 v113, 0x80
	s_and_saveexec_b32 s72, vcc_lo
	s_cbranch_execz .LBB6_4906
; %bb.4899:                             ;   in Loop: Header=BB6_3222 Depth=4
	v_mov_b32_e32 v113, 0
	s_mov_b32 s73, exec_lo
	v_cmpx_ne_u32_e32 0, v45
	s_cbranch_execz .LBB6_4905
; %bb.4900:                             ;   in Loop: Header=BB6_3222 Depth=4
	v_bfe_u32 v57, v45, 23, 8
	v_and_b32_e32 v113, 0x7fffff, v45
	v_cmp_gt_u32_e64 s16, 0x71, v57
	v_sub_nc_u32_e32 v60, 0x70, v57
	v_cmp_eq_u32_e32 vcc_lo, 0, v57
	v_or_b32_e32 v62, 0x800000, v113
	v_cndmask_b32_e64 v60, 0, v60, s16
	v_cndmask_b32_e32 v113, v62, v113, vcc_lo
	v_cndmask_b32_e64 v60, v60, 0x6f, vcc_lo
	v_lshl_add_u32 v62, 0x200000, v60, -1
	v_lshlrev_b32_e64 v63, v60, 0x100000
	v_and_b32_e32 v62, v62, v113
	v_cmp_eq_u32_e64 s16, v62, v63
	v_lshrrev_b32_e32 v62, v60, v113
	v_add_nc_u32_e32 v113, 0xffffff91, v57
	v_lshrrev_b32_e32 v57, 23, v62
	v_cndmask_b32_e64 v113, v113, 0xffffff92, vcc_lo
	v_xor_b32_e32 v57, 1, v57
	v_add_nc_u32_e32 v113, v60, v113
	v_bfe_u32 v60, v62, 21, 1
	v_add_nc_u32_e32 v60, -1, v60
	v_cndmask_b32_e64 v60, 0, v60, s16
	s_mov_b32 s16, exec_lo
	v_add_nc_u32_e32 v60, v60, v62
	v_and_b32_e32 v60, 0x1fffff, v60
	v_add_nc_u32_e32 v60, v60, v62
                                        ; implicit-def: $vgpr62
	v_cmpx_ne_u32_e64 v113, v57
	s_xor_b32 s16, exec_lo, s16
; %bb.4901:                             ;   in Loop: Header=BB6_3222 Depth=4
	v_cmp_lt_u32_e32 vcc_lo, 0xffffff, v60
	v_sub_nc_u32_e32 v113, v113, v57
	v_cndmask_b32_e64 v57, 0, 1, vcc_lo
	v_add_co_ci_u32_e64 v62, null, 0, v113, vcc_lo
	v_lshrrev_b32_e32 v60, v57, v60
; %bb.4902:                             ;   in Loop: Header=BB6_3222 Depth=4
	s_andn2_saveexec_b32 s16, s16
; %bb.4903:                             ;   in Loop: Header=BB6_3222 Depth=4
	v_bfe_u32 v62, v60, 23, 1
; %bb.4904:                             ;   in Loop: Header=BB6_3222 Depth=4
	s_or_b32 exec_lo, exec_lo, s16
	v_and_b32_sdwa v113, v45, v117 dst_sel:DWORD dst_unused:UNUSED_PAD src0_sel:BYTE_3 src1_sel:DWORD
	v_lshrrev_b32_e32 v45, 21, v60
	v_min_i32_e32 v57, 31, v62
	v_cmp_gt_i32_e32 vcc_lo, 32, v62
	v_lshlrev_b32_e32 v57, 2, v57
	v_cndmask_b32_e32 v45, 3, v45, vcc_lo
	v_and_b32_e32 v57, 0xfc, v57
	v_or_b32_e32 v60, v62, v45
	v_and_b32_e32 v45, 3, v45
	v_cmp_ne_u32_e32 vcc_lo, 0, v60
	v_or3_b32 v113, v57, v113, v45
	v_cndmask_b32_e32 v113, 0, v113, vcc_lo
.LBB6_4905:                             ;   in Loop: Header=BB6_3222 Depth=4
	s_or_b32 exec_lo, exec_lo, s73
.LBB6_4906:                             ;   in Loop: Header=BB6_3222 Depth=4
	s_or_b32 exec_lo, exec_lo, s72
	v_cmp_gt_i16_sdwa s72, v42, v116 src0_sel:BYTE_3 src1_sel:DWORD
	s_mov_b32 s16, 0
	s_and_saveexec_b32 s73, s72
	s_xor_b32 s72, exec_lo, s73
	s_cbranch_execz .LBB6_5688
; %bb.4907:                             ;   in Loop: Header=BB6_3222 Depth=4
	v_cmp_eq_u16_sdwa s74, v42, v117 src0_sel:BYTE_3 src1_sel:DWORD
	s_mov_b32 s16, -1
	s_and_saveexec_b32 s73, s74
; %bb.4908:                             ;   in Loop: Header=BB6_3222 Depth=4
	s_xor_b32 s16, exec_lo, -1
; %bb.4909:                             ;   in Loop: Header=BB6_3222 Depth=4
	s_or_b32 exec_lo, exec_lo, s73
	s_and_b32 s16, s16, exec_lo
	s_or_saveexec_b32 s72, s72
	v_mov_b32_e32 v45, 0x7f800001
	s_xor_b32 exec_lo, exec_lo, s72
	s_cbranch_execnz .LBB6_5689
.LBB6_4910:                             ;   in Loop: Header=BB6_3222 Depth=4
	s_or_b32 exec_lo, exec_lo, s72
	s_and_saveexec_b32 s72, s16
	s_cbranch_execz .LBB6_4912
.LBB6_4911:                             ;   in Loop: Header=BB6_3222 Depth=4
	v_bfe_u32 v45, v42, 24, 2
	v_bfe_u32 v62, v42, 26, 5
	v_ffbh_u32_e32 v57, v45
	v_cmp_eq_u32_e32 vcc_lo, 0, v62
	v_min_u32_e32 v57, 32, v57
	v_subrev_nc_u32_e32 v60, 29, v57
	v_sub_nc_u32_e32 v57, 30, v57
	v_lshlrev_b32_sdwa v60, v60, v42 dst_sel:DWORD dst_unused:UNUSED_PAD src0_sel:DWORD src1_sel:BYTE_3
	v_cndmask_b32_e32 v57, v62, v57, vcc_lo
	v_and_b32_e32 v42, 0x80000000, v42
	v_and_b32_e32 v60, 3, v60
	v_lshl_add_u32 v57, v57, 23, 0x37800000
	v_cndmask_b32_e32 v45, v45, v60, vcc_lo
	v_lshlrev_b32_e32 v45, 21, v45
	v_or3_b32 v45, v42, v57, v45
.LBB6_4912:                             ;   in Loop: Header=BB6_3222 Depth=4
	s_or_b32 exec_lo, exec_lo, s72
	v_cmp_gt_i16_sdwa s72, v13, v116 src0_sel:BYTE_3 src1_sel:DWORD
	s_mov_b32 s16, 0
	s_and_saveexec_b32 s73, s72
	s_xor_b32 s72, exec_lo, s73
	s_cbranch_execz .LBB6_5690
; %bb.4913:                             ;   in Loop: Header=BB6_3222 Depth=4
	v_cmp_eq_u16_sdwa s74, v13, v117 src0_sel:BYTE_3 src1_sel:DWORD
	s_mov_b32 s16, -1
	s_and_saveexec_b32 s73, s74
; %bb.4914:                             ;   in Loop: Header=BB6_3222 Depth=4
	s_xor_b32 s16, exec_lo, -1
; %bb.4915:                             ;   in Loop: Header=BB6_3222 Depth=4
	s_or_b32 exec_lo, exec_lo, s73
	s_and_b32 s16, s16, exec_lo
	s_or_saveexec_b32 s72, s72
	v_mov_b32_e32 v42, 0x7f800001
	s_xor_b32 exec_lo, exec_lo, s72
	s_cbranch_execnz .LBB6_5691
.LBB6_4916:                             ;   in Loop: Header=BB6_3222 Depth=4
	s_or_b32 exec_lo, exec_lo, s72
	s_and_saveexec_b32 s72, s16
	s_cbranch_execz .LBB6_4918
.LBB6_4917:                             ;   in Loop: Header=BB6_3222 Depth=4
	v_bfe_u32 v42, v13, 24, 2
	v_bfe_u32 v62, v13, 26, 5
	v_ffbh_u32_e32 v57, v42
	v_cmp_eq_u32_e32 vcc_lo, 0, v62
	v_min_u32_e32 v57, 32, v57
	v_subrev_nc_u32_e32 v60, 29, v57
	v_sub_nc_u32_e32 v57, 30, v57
	v_lshlrev_b32_sdwa v60, v60, v13 dst_sel:DWORD dst_unused:UNUSED_PAD src0_sel:DWORD src1_sel:BYTE_3
	v_cndmask_b32_e32 v57, v62, v57, vcc_lo
	v_and_b32_e32 v13, 0x80000000, v13
	v_and_b32_e32 v60, 3, v60
	v_lshl_add_u32 v57, v57, 23, 0x37800000
	v_cndmask_b32_e32 v42, v42, v60, vcc_lo
	v_lshlrev_b32_e32 v42, 21, v42
	v_or3_b32 v42, v13, v57, v42
.LBB6_4918:                             ;   in Loop: Header=BB6_3222 Depth=4
	s_or_b32 exec_lo, exec_lo, s72
	v_add_f32_e32 v42, v45, v42
	v_and_b32_e32 v13, 0x7f800000, v42
	v_cmp_ne_u32_e32 vcc_lo, 0x7f800000, v13
	v_mov_b32_e32 v13, 0x8000
	s_and_saveexec_b32 s72, vcc_lo
	s_cbranch_execz .LBB6_4926
; %bb.4919:                             ;   in Loop: Header=BB6_3222 Depth=4
	v_mov_b32_e32 v13, 0
	s_mov_b32 s73, exec_lo
	v_cmpx_ne_u32_e32 0, v42
	s_cbranch_execz .LBB6_4925
; %bb.4920:                             ;   in Loop: Header=BB6_3222 Depth=4
	v_bfe_u32 v45, v42, 23, 8
	v_and_b32_e32 v13, 0x7fffff, v42
	v_cmp_gt_u32_e64 s16, 0x71, v45
	v_sub_nc_u32_e32 v57, 0x70, v45
	v_cmp_eq_u32_e32 vcc_lo, 0, v45
	v_or_b32_e32 v60, 0x800000, v13
	v_cndmask_b32_e64 v57, 0, v57, s16
	v_cndmask_b32_e32 v13, v60, v13, vcc_lo
	v_cndmask_b32_e64 v57, v57, 0x6f, vcc_lo
	v_lshl_add_u32 v60, 0x200000, v57, -1
	v_lshlrev_b32_e64 v62, v57, 0x100000
	v_and_b32_e32 v60, v60, v13
	v_cmp_eq_u32_e64 s16, v60, v62
	v_lshrrev_b32_e32 v60, v57, v13
	v_add_nc_u32_e32 v13, 0xffffff91, v45
	v_lshrrev_b32_e32 v45, 23, v60
	v_cndmask_b32_e64 v13, v13, 0xffffff92, vcc_lo
	v_xor_b32_e32 v45, 1, v45
	v_add_nc_u32_e32 v13, v57, v13
	v_bfe_u32 v57, v60, 21, 1
	v_add_nc_u32_e32 v57, -1, v57
	v_cndmask_b32_e64 v57, 0, v57, s16
	s_mov_b32 s16, exec_lo
	v_add_nc_u32_e32 v57, v57, v60
	v_and_b32_e32 v57, 0x1fffff, v57
	v_add_nc_u32_e32 v57, v57, v60
                                        ; implicit-def: $vgpr60
	v_cmpx_ne_u32_e64 v13, v45
	s_xor_b32 s16, exec_lo, s16
; %bb.4921:                             ;   in Loop: Header=BB6_3222 Depth=4
	v_cmp_lt_u32_e32 vcc_lo, 0xffffff, v57
	v_sub_nc_u32_e32 v13, v13, v45
	v_cndmask_b32_e64 v45, 0, 1, vcc_lo
	v_add_co_ci_u32_e64 v60, null, 0, v13, vcc_lo
	v_lshrrev_b32_e32 v57, v45, v57
; %bb.4922:                             ;   in Loop: Header=BB6_3222 Depth=4
	s_andn2_saveexec_b32 s16, s16
; %bb.4923:                             ;   in Loop: Header=BB6_3222 Depth=4
	v_bfe_u32 v60, v57, 23, 1
; %bb.4924:                             ;   in Loop: Header=BB6_3222 Depth=4
	s_or_b32 exec_lo, exec_lo, s16
	v_and_b32_sdwa v13, v42, v117 dst_sel:DWORD dst_unused:UNUSED_PAD src0_sel:BYTE_3 src1_sel:DWORD
	v_lshrrev_b32_e32 v42, 21, v57
	v_min_i32_e32 v45, 31, v60
	v_cmp_gt_i32_e32 vcc_lo, 32, v60
	v_lshlrev_b32_e32 v45, 2, v45
	v_cndmask_b32_e32 v42, 3, v42, vcc_lo
	v_and_b32_e32 v45, 0xfc, v45
	v_or_b32_e32 v57, v60, v42
	v_and_b32_e32 v42, 3, v42
	v_cmp_ne_u32_e32 vcc_lo, 0, v57
	v_or3_b32 v13, v13, v45, v42
	v_lshlrev_b32_e32 v13, 8, v13
	v_cndmask_b32_e32 v13, 0, v13, vcc_lo
.LBB6_4925:                             ;   in Loop: Header=BB6_3222 Depth=4
	s_or_b32 exec_lo, exec_lo, s73
.LBB6_4926:                             ;   in Loop: Header=BB6_3222 Depth=4
	s_or_b32 exec_lo, exec_lo, s72
	v_or_b32_e32 v45, v109, v106
	s_mov_b32 s72, 0
	v_cmp_gt_i16_sdwa s16, v45, v116 src0_sel:BYTE_0 src1_sel:DWORD
	s_and_saveexec_b32 s73, s16
	s_xor_b32 s16, exec_lo, s73
	s_cbranch_execz .LBB6_5692
; %bb.4927:                             ;   in Loop: Header=BB6_3222 Depth=4
	v_cmp_eq_u16_sdwa s74, v45, v117 src0_sel:BYTE_0 src1_sel:DWORD
	s_mov_b32 s72, -1
	s_and_saveexec_b32 s73, s74
; %bb.4928:                             ;   in Loop: Header=BB6_3222 Depth=4
	s_xor_b32 s72, exec_lo, -1
; %bb.4929:                             ;   in Loop: Header=BB6_3222 Depth=4
	s_or_b32 exec_lo, exec_lo, s73
	s_and_b32 s72, s72, exec_lo
	s_or_saveexec_b32 s16, s16
	v_mov_b32_e32 v42, 0x7f800001
	s_xor_b32 exec_lo, exec_lo, s16
	s_cbranch_execnz .LBB6_5693
.LBB6_4930:                             ;   in Loop: Header=BB6_3222 Depth=4
	s_or_b32 exec_lo, exec_lo, s16
	s_and_saveexec_b32 s16, s72
	s_cbranch_execz .LBB6_4932
.LBB6_4931:                             ;   in Loop: Header=BB6_3222 Depth=4
	v_and_b32_e32 v42, 3, v45
	v_bfe_u32 v57, v45, 2, 5
	v_ffbh_u32_e32 v60, v42
	v_cmp_eq_u32_e32 vcc_lo, 0, v57
	v_min_u32_e32 v60, 32, v60
	v_subrev_nc_u32_e32 v62, 29, v60
	v_sub_nc_u32_e32 v60, 30, v60
	v_lshlrev_b32_e32 v62, v62, v45
	v_cndmask_b32_e32 v57, v57, v60, vcc_lo
	v_lshlrev_b32_e32 v60, 24, v45
	v_and_b32_e32 v62, 3, v62
	v_lshl_add_u32 v57, v57, 23, 0x37800000
	v_and_b32_e32 v60, 0x80000000, v60
	v_cndmask_b32_e32 v42, v42, v62, vcc_lo
	v_lshlrev_b32_e32 v42, 21, v42
	v_or3_b32 v42, v60, v57, v42
.LBB6_4932:                             ;   in Loop: Header=BB6_3222 Depth=4
	s_or_b32 exec_lo, exec_lo, s16
	v_cmp_gt_i16_sdwa s16, v14, v116 src0_sel:BYTE_0 src1_sel:DWORD
	s_mov_b32 s72, 0
	s_and_saveexec_b32 s73, s16
	s_xor_b32 s16, exec_lo, s73
	s_cbranch_execz .LBB6_5694
; %bb.4933:                             ;   in Loop: Header=BB6_3222 Depth=4
	v_cmp_eq_u16_sdwa s74, v14, v117 src0_sel:BYTE_0 src1_sel:DWORD
	s_mov_b32 s72, -1
	s_and_saveexec_b32 s73, s74
; %bb.4934:                             ;   in Loop: Header=BB6_3222 Depth=4
	s_xor_b32 s72, exec_lo, -1
; %bb.4935:                             ;   in Loop: Header=BB6_3222 Depth=4
	s_or_b32 exec_lo, exec_lo, s73
	s_and_b32 s72, s72, exec_lo
	s_or_saveexec_b32 s16, s16
	v_mov_b32_e32 v57, 0x7f800001
	s_xor_b32 exec_lo, exec_lo, s16
	s_cbranch_execnz .LBB6_5695
.LBB6_4936:                             ;   in Loop: Header=BB6_3222 Depth=4
	s_or_b32 exec_lo, exec_lo, s16
	s_and_saveexec_b32 s16, s72
	s_cbranch_execz .LBB6_4938
.LBB6_4937:                             ;   in Loop: Header=BB6_3222 Depth=4
	v_and_b32_e32 v57, 3, v14
	v_bfe_u32 v60, v14, 2, 5
	v_ffbh_u32_e32 v62, v57
	v_cmp_eq_u32_e32 vcc_lo, 0, v60
	v_min_u32_e32 v62, 32, v62
	v_subrev_nc_u32_e32 v63, 29, v62
	v_sub_nc_u32_e32 v62, 30, v62
	v_lshlrev_b32_e32 v63, v63, v14
	v_cndmask_b32_e32 v60, v60, v62, vcc_lo
	v_lshlrev_b32_e32 v62, 24, v14
	v_and_b32_e32 v63, 3, v63
	v_lshl_add_u32 v60, v60, 23, 0x37800000
	v_and_b32_e32 v62, 0x80000000, v62
	v_cndmask_b32_e32 v57, v57, v63, vcc_lo
	v_lshlrev_b32_e32 v57, 21, v57
	v_or3_b32 v57, v62, v60, v57
.LBB6_4938:                             ;   in Loop: Header=BB6_3222 Depth=4
	s_or_b32 exec_lo, exec_lo, s16
	v_add_f32_e32 v57, v42, v57
	v_and_b32_e32 v42, 0x7f800000, v57
	v_cmp_ne_u32_e32 vcc_lo, 0x7f800000, v42
	v_mov_b32_e32 v42, 0x80
	s_and_saveexec_b32 s72, vcc_lo
	s_cbranch_execz .LBB6_4946
; %bb.4939:                             ;   in Loop: Header=BB6_3222 Depth=4
	v_mov_b32_e32 v42, 0
	s_mov_b32 s73, exec_lo
	v_cmpx_ne_u32_e32 0, v57
	s_cbranch_execz .LBB6_4945
; %bb.4940:                             ;   in Loop: Header=BB6_3222 Depth=4
	v_bfe_u32 v60, v57, 23, 8
	v_and_b32_e32 v42, 0x7fffff, v57
	v_cmp_gt_u32_e64 s16, 0x71, v60
	v_sub_nc_u32_e32 v62, 0x70, v60
	v_cmp_eq_u32_e32 vcc_lo, 0, v60
	v_or_b32_e32 v63, 0x800000, v42
	v_cndmask_b32_e64 v62, 0, v62, s16
	v_cndmask_b32_e32 v42, v63, v42, vcc_lo
	v_cndmask_b32_e64 v62, v62, 0x6f, vcc_lo
	v_lshl_add_u32 v63, 0x200000, v62, -1
	v_lshlrev_b32_e64 v72, v62, 0x100000
	v_and_b32_e32 v63, v63, v42
	v_cmp_eq_u32_e64 s16, v63, v72
	v_lshrrev_b32_e32 v63, v62, v42
	v_add_nc_u32_e32 v42, 0xffffff91, v60
	v_lshrrev_b32_e32 v60, 23, v63
	v_cndmask_b32_e64 v42, v42, 0xffffff92, vcc_lo
	v_xor_b32_e32 v60, 1, v60
	v_add_nc_u32_e32 v42, v62, v42
	v_bfe_u32 v62, v63, 21, 1
	v_add_nc_u32_e32 v62, -1, v62
	v_cndmask_b32_e64 v62, 0, v62, s16
	s_mov_b32 s16, exec_lo
	v_add_nc_u32_e32 v62, v62, v63
	v_and_b32_e32 v62, 0x1fffff, v62
	v_add_nc_u32_e32 v62, v62, v63
                                        ; implicit-def: $vgpr63
	v_cmpx_ne_u32_e64 v42, v60
	s_xor_b32 s16, exec_lo, s16
; %bb.4941:                             ;   in Loop: Header=BB6_3222 Depth=4
	v_cmp_lt_u32_e32 vcc_lo, 0xffffff, v62
	v_sub_nc_u32_e32 v42, v42, v60
	v_cndmask_b32_e64 v60, 0, 1, vcc_lo
	v_add_co_ci_u32_e64 v63, null, 0, v42, vcc_lo
	v_lshrrev_b32_e32 v62, v60, v62
; %bb.4942:                             ;   in Loop: Header=BB6_3222 Depth=4
	s_andn2_saveexec_b32 s16, s16
; %bb.4943:                             ;   in Loop: Header=BB6_3222 Depth=4
	v_bfe_u32 v63, v62, 23, 1
; %bb.4944:                             ;   in Loop: Header=BB6_3222 Depth=4
	s_or_b32 exec_lo, exec_lo, s16
	v_and_b32_sdwa v42, v57, v117 dst_sel:DWORD dst_unused:UNUSED_PAD src0_sel:BYTE_3 src1_sel:DWORD
	v_lshrrev_b32_e32 v57, 21, v62
	v_min_i32_e32 v60, 31, v63
	v_cmp_gt_i32_e32 vcc_lo, 32, v63
	v_lshlrev_b32_e32 v60, 2, v60
	v_cndmask_b32_e32 v57, 3, v57, vcc_lo
	v_and_b32_e32 v60, 0xfc, v60
	v_or_b32_e32 v62, v63, v57
	v_and_b32_e32 v57, 3, v57
	v_cmp_ne_u32_e32 vcc_lo, 0, v62
	v_or3_b32 v42, v60, v42, v57
	v_cndmask_b32_e32 v42, 0, v42, vcc_lo
.LBB6_4945:                             ;   in Loop: Header=BB6_3222 Depth=4
	s_or_b32 exec_lo, exec_lo, s73
.LBB6_4946:                             ;   in Loop: Header=BB6_3222 Depth=4
	s_or_b32 exec_lo, exec_lo, s72
	v_cmp_gt_i16_sdwa s72, v45, v116 src0_sel:BYTE_1 src1_sel:DWORD
	s_mov_b32 s16, 0
	s_and_saveexec_b32 s73, s72
	s_xor_b32 s72, exec_lo, s73
	s_cbranch_execz .LBB6_5696
; %bb.4947:                             ;   in Loop: Header=BB6_3222 Depth=4
	v_cmp_eq_u16_sdwa s74, v45, v117 src0_sel:BYTE_1 src1_sel:DWORD
	s_mov_b32 s16, -1
	s_and_saveexec_b32 s73, s74
; %bb.4948:                             ;   in Loop: Header=BB6_3222 Depth=4
	s_xor_b32 s16, exec_lo, -1
; %bb.4949:                             ;   in Loop: Header=BB6_3222 Depth=4
	s_or_b32 exec_lo, exec_lo, s73
	s_and_b32 s16, s16, exec_lo
	s_or_saveexec_b32 s72, s72
	v_mov_b32_e32 v57, 0x7f800001
	s_xor_b32 exec_lo, exec_lo, s72
	s_cbranch_execnz .LBB6_5697
.LBB6_4950:                             ;   in Loop: Header=BB6_3222 Depth=4
	s_or_b32 exec_lo, exec_lo, s72
	s_and_saveexec_b32 s72, s16
	s_cbranch_execz .LBB6_4952
.LBB6_4951:                             ;   in Loop: Header=BB6_3222 Depth=4
	v_and_b32_sdwa v57, v118, v45 dst_sel:DWORD dst_unused:UNUSED_PAD src0_sel:DWORD src1_sel:BYTE_1
	v_and_b32_e32 v60, 3, v57
	v_bfe_u32 v72, v57, 2, 5
	v_ffbh_u32_e32 v62, v60
	v_cmp_eq_u32_e32 vcc_lo, 0, v72
	v_min_u32_e32 v62, 32, v62
	v_subrev_nc_u32_e32 v63, 29, v62
	v_sub_nc_u32_e32 v62, 30, v62
	v_lshlrev_b32_e32 v57, v63, v57
	v_lshlrev_b32_sdwa v63, v119, v45 dst_sel:DWORD dst_unused:UNUSED_PAD src0_sel:DWORD src1_sel:BYTE_1
	v_cndmask_b32_e32 v62, v72, v62, vcc_lo
	v_and_b32_e32 v57, 3, v57
	v_lshl_add_u32 v62, v62, 23, 0x37800000
	v_cndmask_b32_e32 v57, v60, v57, vcc_lo
	v_and_b32_e32 v60, 0x80000000, v63
	v_lshlrev_b32_e32 v57, 21, v57
	v_or3_b32 v57, v60, v62, v57
.LBB6_4952:                             ;   in Loop: Header=BB6_3222 Depth=4
	s_or_b32 exec_lo, exec_lo, s72
	v_cmp_gt_i16_sdwa s72, v14, v116 src0_sel:BYTE_1 src1_sel:DWORD
	s_mov_b32 s16, 0
	s_and_saveexec_b32 s73, s72
	s_xor_b32 s72, exec_lo, s73
	s_cbranch_execz .LBB6_5698
; %bb.4953:                             ;   in Loop: Header=BB6_3222 Depth=4
	v_cmp_eq_u16_sdwa s74, v14, v117 src0_sel:BYTE_1 src1_sel:DWORD
	s_mov_b32 s16, -1
	s_and_saveexec_b32 s73, s74
; %bb.4954:                             ;   in Loop: Header=BB6_3222 Depth=4
	s_xor_b32 s16, exec_lo, -1
; %bb.4955:                             ;   in Loop: Header=BB6_3222 Depth=4
	s_or_b32 exec_lo, exec_lo, s73
	s_and_b32 s16, s16, exec_lo
	s_or_saveexec_b32 s72, s72
	v_mov_b32_e32 v60, 0x7f800001
	s_xor_b32 exec_lo, exec_lo, s72
	s_cbranch_execnz .LBB6_5699
.LBB6_4956:                             ;   in Loop: Header=BB6_3222 Depth=4
	s_or_b32 exec_lo, exec_lo, s72
	s_and_saveexec_b32 s72, s16
	s_cbranch_execz .LBB6_4958
.LBB6_4957:                             ;   in Loop: Header=BB6_3222 Depth=4
	v_and_b32_sdwa v60, v118, v14 dst_sel:DWORD dst_unused:UNUSED_PAD src0_sel:DWORD src1_sel:BYTE_1
	v_and_b32_e32 v62, 3, v60
	v_bfe_u32 v73, v60, 2, 5
	v_ffbh_u32_e32 v63, v62
	v_cmp_eq_u32_e32 vcc_lo, 0, v73
	v_min_u32_e32 v63, 32, v63
	v_subrev_nc_u32_e32 v72, 29, v63
	v_sub_nc_u32_e32 v63, 30, v63
	v_lshlrev_b32_e32 v60, v72, v60
	v_lshlrev_b32_sdwa v72, v119, v14 dst_sel:DWORD dst_unused:UNUSED_PAD src0_sel:DWORD src1_sel:BYTE_1
	v_cndmask_b32_e32 v63, v73, v63, vcc_lo
	v_and_b32_e32 v60, 3, v60
	v_lshl_add_u32 v63, v63, 23, 0x37800000
	v_cndmask_b32_e32 v60, v62, v60, vcc_lo
	v_and_b32_e32 v62, 0x80000000, v72
	v_lshlrev_b32_e32 v60, 21, v60
	v_or3_b32 v60, v62, v63, v60
.LBB6_4958:                             ;   in Loop: Header=BB6_3222 Depth=4
	s_or_b32 exec_lo, exec_lo, s72
	v_add_f32_e32 v60, v57, v60
	v_and_b32_e32 v57, 0x7f800000, v60
	v_cmp_ne_u32_e32 vcc_lo, 0x7f800000, v57
	v_mov_b32_e32 v57, 0x8000
	s_and_saveexec_b32 s72, vcc_lo
	s_cbranch_execz .LBB6_4966
; %bb.4959:                             ;   in Loop: Header=BB6_3222 Depth=4
	v_mov_b32_e32 v57, 0
	s_mov_b32 s73, exec_lo
	v_cmpx_ne_u32_e32 0, v60
	s_cbranch_execz .LBB6_4965
; %bb.4960:                             ;   in Loop: Header=BB6_3222 Depth=4
	v_bfe_u32 v62, v60, 23, 8
	v_and_b32_e32 v57, 0x7fffff, v60
	v_cmp_gt_u32_e64 s16, 0x71, v62
	v_sub_nc_u32_e32 v63, 0x70, v62
	v_cmp_eq_u32_e32 vcc_lo, 0, v62
	v_or_b32_e32 v72, 0x800000, v57
	v_cndmask_b32_e64 v63, 0, v63, s16
	v_cndmask_b32_e32 v57, v72, v57, vcc_lo
	v_cndmask_b32_e64 v63, v63, 0x6f, vcc_lo
	v_lshl_add_u32 v72, 0x200000, v63, -1
	v_lshlrev_b32_e64 v73, v63, 0x100000
	v_and_b32_e32 v72, v72, v57
	v_cmp_eq_u32_e64 s16, v72, v73
	v_lshrrev_b32_e32 v72, v63, v57
	v_add_nc_u32_e32 v57, 0xffffff91, v62
	v_lshrrev_b32_e32 v62, 23, v72
	v_cndmask_b32_e64 v57, v57, 0xffffff92, vcc_lo
	v_xor_b32_e32 v62, 1, v62
	v_add_nc_u32_e32 v57, v63, v57
	v_bfe_u32 v63, v72, 21, 1
	v_add_nc_u32_e32 v63, -1, v63
	v_cndmask_b32_e64 v63, 0, v63, s16
	s_mov_b32 s16, exec_lo
	v_add_nc_u32_e32 v63, v63, v72
	v_and_b32_e32 v63, 0x1fffff, v63
	v_add_nc_u32_e32 v63, v63, v72
                                        ; implicit-def: $vgpr72
	v_cmpx_ne_u32_e64 v57, v62
	s_xor_b32 s16, exec_lo, s16
; %bb.4961:                             ;   in Loop: Header=BB6_3222 Depth=4
	v_cmp_lt_u32_e32 vcc_lo, 0xffffff, v63
	v_sub_nc_u32_e32 v57, v57, v62
	v_cndmask_b32_e64 v62, 0, 1, vcc_lo
	v_add_co_ci_u32_e64 v72, null, 0, v57, vcc_lo
	v_lshrrev_b32_e32 v63, v62, v63
; %bb.4962:                             ;   in Loop: Header=BB6_3222 Depth=4
	s_andn2_saveexec_b32 s16, s16
; %bb.4963:                             ;   in Loop: Header=BB6_3222 Depth=4
	v_bfe_u32 v72, v63, 23, 1
; %bb.4964:                             ;   in Loop: Header=BB6_3222 Depth=4
	s_or_b32 exec_lo, exec_lo, s16
	v_and_b32_sdwa v57, v60, v117 dst_sel:DWORD dst_unused:UNUSED_PAD src0_sel:BYTE_3 src1_sel:DWORD
	v_lshrrev_b32_e32 v60, 21, v63
	v_min_i32_e32 v62, 31, v72
	v_cmp_gt_i32_e32 vcc_lo, 32, v72
	v_lshlrev_b32_e32 v62, 2, v62
	v_cndmask_b32_e32 v60, 3, v60, vcc_lo
	v_and_b32_e32 v62, 0xfc, v62
	v_or_b32_e32 v63, v72, v60
	v_and_b32_e32 v60, 3, v60
	v_cmp_ne_u32_e32 vcc_lo, 0, v63
	v_or3_b32 v57, v57, v62, v60
	v_lshlrev_b32_e32 v57, 8, v57
	v_cndmask_b32_e32 v57, 0, v57, vcc_lo
.LBB6_4965:                             ;   in Loop: Header=BB6_3222 Depth=4
	s_or_b32 exec_lo, exec_lo, s73
.LBB6_4966:                             ;   in Loop: Header=BB6_3222 Depth=4
	s_or_b32 exec_lo, exec_lo, s72
	v_or_b32_e32 v60, v112, v104
	s_mov_b32 s72, 0
	v_cmp_gt_i16_sdwa s16, v60, v116 src0_sel:BYTE_0 src1_sel:DWORD
	s_and_saveexec_b32 s73, s16
	s_xor_b32 s16, exec_lo, s73
	s_cbranch_execz .LBB6_5700
; %bb.4967:                             ;   in Loop: Header=BB6_3222 Depth=4
	v_cmp_eq_u16_sdwa s74, v60, v117 src0_sel:BYTE_0 src1_sel:DWORD
	s_mov_b32 s72, -1
	s_and_saveexec_b32 s73, s74
; %bb.4968:                             ;   in Loop: Header=BB6_3222 Depth=4
	s_xor_b32 s72, exec_lo, -1
; %bb.4969:                             ;   in Loop: Header=BB6_3222 Depth=4
	s_or_b32 exec_lo, exec_lo, s73
	s_and_b32 s72, s72, exec_lo
	s_or_saveexec_b32 s16, s16
	v_mov_b32_e32 v112, 0x7f800001
	s_xor_b32 exec_lo, exec_lo, s16
	s_cbranch_execnz .LBB6_5701
.LBB6_4970:                             ;   in Loop: Header=BB6_3222 Depth=4
	s_or_b32 exec_lo, exec_lo, s16
	v_lshl_or_b32 v45, v60, 16, v45
	s_and_saveexec_b32 s16, s72
	s_cbranch_execz .LBB6_4972
.LBB6_4971:                             ;   in Loop: Header=BB6_3222 Depth=4
	v_bfe_u32 v112, v45, 16, 2
	v_bfe_u32 v60, v45, 18, 5
	v_ffbh_u32_e32 v62, v112
	v_cmp_eq_u32_e32 vcc_lo, 0, v60
	v_min_u32_e32 v62, 32, v62
	v_subrev_nc_u32_e32 v63, 29, v62
	v_sub_nc_u32_e32 v62, 30, v62
	v_lshlrev_b32_sdwa v63, v63, v45 dst_sel:DWORD dst_unused:UNUSED_PAD src0_sel:DWORD src1_sel:WORD_1
	v_cndmask_b32_e32 v60, v60, v62, vcc_lo
	v_lshlrev_b32_e32 v62, 8, v45
	v_and_b32_e32 v63, 3, v63
	v_lshl_add_u32 v60, v60, 23, 0x37800000
	v_and_b32_e32 v62, 0x80000000, v62
	v_cndmask_b32_e32 v112, v112, v63, vcc_lo
	v_lshlrev_b32_e32 v112, 21, v112
	v_or3_b32 v112, v62, v60, v112
.LBB6_4972:                             ;   in Loop: Header=BB6_3222 Depth=4
	s_or_b32 exec_lo, exec_lo, s16
	v_and_b32_sdwa v62, v14, v40 dst_sel:DWORD dst_unused:UNUSED_PAD src0_sel:WORD_1 src1_sel:DWORD
	s_mov_b32 s72, 0
	s_mov_b32 s16, exec_lo
	v_cmpx_lt_i16_e32 0x7f, v62
	s_xor_b32 s16, exec_lo, s16
	s_cbranch_execz .LBB6_5702
; %bb.4973:                             ;   in Loop: Header=BB6_3222 Depth=4
	s_mov_b32 s72, -1
	s_mov_b32 s73, exec_lo
	v_cmpx_eq_u16_e32 0x80, v62
; %bb.4974:                             ;   in Loop: Header=BB6_3222 Depth=4
	s_xor_b32 s72, exec_lo, -1
; %bb.4975:                             ;   in Loop: Header=BB6_3222 Depth=4
	s_or_b32 exec_lo, exec_lo, s73
	s_and_b32 s72, s72, exec_lo
                                        ; implicit-def: $vgpr62
	s_or_saveexec_b32 s16, s16
	v_mov_b32_e32 v60, 0x7f800001
	s_xor_b32 exec_lo, exec_lo, s16
	s_cbranch_execnz .LBB6_5703
.LBB6_4976:                             ;   in Loop: Header=BB6_3222 Depth=4
	s_or_b32 exec_lo, exec_lo, s16
	s_and_saveexec_b32 s16, s72
	s_cbranch_execz .LBB6_4978
.LBB6_4977:                             ;   in Loop: Header=BB6_3222 Depth=4
	v_bfe_u32 v60, v14, 16, 2
	v_bfe_u32 v62, v14, 18, 5
	v_ffbh_u32_e32 v63, v60
	v_cmp_eq_u32_e32 vcc_lo, 0, v62
	v_min_u32_e32 v63, 32, v63
	v_subrev_nc_u32_e32 v72, 29, v63
	v_sub_nc_u32_e32 v63, 30, v63
	v_lshlrev_b32_sdwa v72, v72, v14 dst_sel:DWORD dst_unused:UNUSED_PAD src0_sel:DWORD src1_sel:WORD_1
	v_cndmask_b32_e32 v62, v62, v63, vcc_lo
	v_lshlrev_b32_e32 v63, 8, v14
	v_and_b32_e32 v72, 3, v72
	v_lshl_add_u32 v62, v62, 23, 0x37800000
	v_and_b32_e32 v63, 0x80000000, v63
	v_cndmask_b32_e32 v60, v60, v72, vcc_lo
	v_lshlrev_b32_e32 v60, 21, v60
	v_or3_b32 v60, v63, v62, v60
.LBB6_4978:                             ;   in Loop: Header=BB6_3222 Depth=4
	s_or_b32 exec_lo, exec_lo, s16
	v_add_f32_e32 v60, v112, v60
	v_and_b32_e32 v112, 0x7f800000, v60
	v_cmp_ne_u32_e32 vcc_lo, 0x7f800000, v112
	v_mov_b32_e32 v112, 0x80
	s_and_saveexec_b32 s72, vcc_lo
	s_cbranch_execz .LBB6_4986
; %bb.4979:                             ;   in Loop: Header=BB6_3222 Depth=4
	v_mov_b32_e32 v112, 0
	s_mov_b32 s73, exec_lo
	v_cmpx_ne_u32_e32 0, v60
	s_cbranch_execz .LBB6_4985
; %bb.4980:                             ;   in Loop: Header=BB6_3222 Depth=4
	v_bfe_u32 v62, v60, 23, 8
	v_and_b32_e32 v112, 0x7fffff, v60
	v_cmp_gt_u32_e64 s16, 0x71, v62
	v_sub_nc_u32_e32 v63, 0x70, v62
	v_cmp_eq_u32_e32 vcc_lo, 0, v62
	v_or_b32_e32 v72, 0x800000, v112
	v_cndmask_b32_e64 v63, 0, v63, s16
	v_cndmask_b32_e32 v112, v72, v112, vcc_lo
	v_cndmask_b32_e64 v63, v63, 0x6f, vcc_lo
	v_lshl_add_u32 v72, 0x200000, v63, -1
	v_lshlrev_b32_e64 v73, v63, 0x100000
	v_and_b32_e32 v72, v72, v112
	v_cmp_eq_u32_e64 s16, v72, v73
	v_lshrrev_b32_e32 v72, v63, v112
	v_add_nc_u32_e32 v112, 0xffffff91, v62
	v_lshrrev_b32_e32 v62, 23, v72
	v_cndmask_b32_e64 v112, v112, 0xffffff92, vcc_lo
	v_xor_b32_e32 v62, 1, v62
	v_add_nc_u32_e32 v112, v63, v112
	v_bfe_u32 v63, v72, 21, 1
	v_add_nc_u32_e32 v63, -1, v63
	v_cndmask_b32_e64 v63, 0, v63, s16
	s_mov_b32 s16, exec_lo
	v_add_nc_u32_e32 v63, v63, v72
	v_and_b32_e32 v63, 0x1fffff, v63
	v_add_nc_u32_e32 v63, v63, v72
                                        ; implicit-def: $vgpr72
	v_cmpx_ne_u32_e64 v112, v62
	s_xor_b32 s16, exec_lo, s16
; %bb.4981:                             ;   in Loop: Header=BB6_3222 Depth=4
	v_cmp_lt_u32_e32 vcc_lo, 0xffffff, v63
	v_sub_nc_u32_e32 v112, v112, v62
	v_cndmask_b32_e64 v62, 0, 1, vcc_lo
	v_add_co_ci_u32_e64 v72, null, 0, v112, vcc_lo
	v_lshrrev_b32_e32 v63, v62, v63
; %bb.4982:                             ;   in Loop: Header=BB6_3222 Depth=4
	s_andn2_saveexec_b32 s16, s16
; %bb.4983:                             ;   in Loop: Header=BB6_3222 Depth=4
	v_bfe_u32 v72, v63, 23, 1
; %bb.4984:                             ;   in Loop: Header=BB6_3222 Depth=4
	s_or_b32 exec_lo, exec_lo, s16
	v_and_b32_sdwa v112, v60, v117 dst_sel:DWORD dst_unused:UNUSED_PAD src0_sel:BYTE_3 src1_sel:DWORD
	v_lshrrev_b32_e32 v60, 21, v63
	v_min_i32_e32 v62, 31, v72
	v_cmp_gt_i32_e32 vcc_lo, 32, v72
	v_lshlrev_b32_e32 v62, 2, v62
	v_cndmask_b32_e32 v60, 3, v60, vcc_lo
	v_and_b32_e32 v62, 0xfc, v62
	v_or_b32_e32 v63, v72, v60
	v_and_b32_e32 v60, 3, v60
	v_cmp_ne_u32_e32 vcc_lo, 0, v63
	v_or3_b32 v112, v62, v112, v60
	v_cndmask_b32_e32 v112, 0, v112, vcc_lo
.LBB6_4985:                             ;   in Loop: Header=BB6_3222 Depth=4
	s_or_b32 exec_lo, exec_lo, s73
.LBB6_4986:                             ;   in Loop: Header=BB6_3222 Depth=4
	s_or_b32 exec_lo, exec_lo, s72
	v_cmp_gt_i16_sdwa s72, v45, v116 src0_sel:BYTE_3 src1_sel:DWORD
	s_mov_b32 s16, 0
	s_and_saveexec_b32 s73, s72
	s_xor_b32 s72, exec_lo, s73
	s_cbranch_execz .LBB6_5704
; %bb.4987:                             ;   in Loop: Header=BB6_3222 Depth=4
	v_cmp_eq_u16_sdwa s74, v45, v117 src0_sel:BYTE_3 src1_sel:DWORD
	s_mov_b32 s16, -1
	s_and_saveexec_b32 s73, s74
; %bb.4988:                             ;   in Loop: Header=BB6_3222 Depth=4
	s_xor_b32 s16, exec_lo, -1
; %bb.4989:                             ;   in Loop: Header=BB6_3222 Depth=4
	s_or_b32 exec_lo, exec_lo, s73
	s_and_b32 s16, s16, exec_lo
	s_or_saveexec_b32 s72, s72
	v_mov_b32_e32 v60, 0x7f800001
	s_xor_b32 exec_lo, exec_lo, s72
	s_cbranch_execnz .LBB6_5705
.LBB6_4990:                             ;   in Loop: Header=BB6_3222 Depth=4
	s_or_b32 exec_lo, exec_lo, s72
	s_and_saveexec_b32 s72, s16
	s_cbranch_execz .LBB6_4992
.LBB6_4991:                             ;   in Loop: Header=BB6_3222 Depth=4
	v_bfe_u32 v60, v45, 24, 2
	v_bfe_u32 v72, v45, 26, 5
	v_ffbh_u32_e32 v62, v60
	v_cmp_eq_u32_e32 vcc_lo, 0, v72
	v_min_u32_e32 v62, 32, v62
	v_subrev_nc_u32_e32 v63, 29, v62
	v_sub_nc_u32_e32 v62, 30, v62
	v_lshlrev_b32_sdwa v63, v63, v45 dst_sel:DWORD dst_unused:UNUSED_PAD src0_sel:DWORD src1_sel:BYTE_3
	v_cndmask_b32_e32 v62, v72, v62, vcc_lo
	v_and_b32_e32 v45, 0x80000000, v45
	v_and_b32_e32 v63, 3, v63
	v_lshl_add_u32 v62, v62, 23, 0x37800000
	v_cndmask_b32_e32 v60, v60, v63, vcc_lo
	v_lshlrev_b32_e32 v60, 21, v60
	v_or3_b32 v60, v45, v62, v60
.LBB6_4992:                             ;   in Loop: Header=BB6_3222 Depth=4
	s_or_b32 exec_lo, exec_lo, s72
	v_cmp_gt_i16_sdwa s72, v14, v116 src0_sel:BYTE_3 src1_sel:DWORD
	s_mov_b32 s16, 0
	s_and_saveexec_b32 s73, s72
	s_xor_b32 s72, exec_lo, s73
	s_cbranch_execz .LBB6_5706
; %bb.4993:                             ;   in Loop: Header=BB6_3222 Depth=4
	v_cmp_eq_u16_sdwa s74, v14, v117 src0_sel:BYTE_3 src1_sel:DWORD
	s_mov_b32 s16, -1
	s_and_saveexec_b32 s73, s74
; %bb.4994:                             ;   in Loop: Header=BB6_3222 Depth=4
	s_xor_b32 s16, exec_lo, -1
; %bb.4995:                             ;   in Loop: Header=BB6_3222 Depth=4
	s_or_b32 exec_lo, exec_lo, s73
	s_and_b32 s16, s16, exec_lo
	s_or_saveexec_b32 s72, s72
	v_mov_b32_e32 v45, 0x7f800001
	s_xor_b32 exec_lo, exec_lo, s72
	s_cbranch_execnz .LBB6_5707
.LBB6_4996:                             ;   in Loop: Header=BB6_3222 Depth=4
	s_or_b32 exec_lo, exec_lo, s72
	s_and_saveexec_b32 s72, s16
	s_cbranch_execz .LBB6_4998
.LBB6_4997:                             ;   in Loop: Header=BB6_3222 Depth=4
	v_bfe_u32 v45, v14, 24, 2
	v_bfe_u32 v72, v14, 26, 5
	v_ffbh_u32_e32 v62, v45
	v_cmp_eq_u32_e32 vcc_lo, 0, v72
	v_min_u32_e32 v62, 32, v62
	v_subrev_nc_u32_e32 v63, 29, v62
	v_sub_nc_u32_e32 v62, 30, v62
	v_lshlrev_b32_sdwa v63, v63, v14 dst_sel:DWORD dst_unused:UNUSED_PAD src0_sel:DWORD src1_sel:BYTE_3
	v_cndmask_b32_e32 v62, v72, v62, vcc_lo
	v_and_b32_e32 v14, 0x80000000, v14
	v_and_b32_e32 v63, 3, v63
	v_lshl_add_u32 v62, v62, 23, 0x37800000
	v_cndmask_b32_e32 v45, v45, v63, vcc_lo
	v_lshlrev_b32_e32 v45, 21, v45
	v_or3_b32 v45, v14, v62, v45
.LBB6_4998:                             ;   in Loop: Header=BB6_3222 Depth=4
	s_or_b32 exec_lo, exec_lo, s72
	v_add_f32_e32 v45, v60, v45
	v_and_b32_e32 v14, 0x7f800000, v45
	v_cmp_ne_u32_e32 vcc_lo, 0x7f800000, v14
	v_mov_b32_e32 v14, 0x8000
	s_and_saveexec_b32 s72, vcc_lo
	s_cbranch_execz .LBB6_5006
; %bb.4999:                             ;   in Loop: Header=BB6_3222 Depth=4
	v_mov_b32_e32 v14, 0
	s_mov_b32 s73, exec_lo
	v_cmpx_ne_u32_e32 0, v45
	s_cbranch_execz .LBB6_5005
; %bb.5000:                             ;   in Loop: Header=BB6_3222 Depth=4
	v_bfe_u32 v60, v45, 23, 8
	v_and_b32_e32 v14, 0x7fffff, v45
	v_cmp_gt_u32_e64 s16, 0x71, v60
	v_sub_nc_u32_e32 v62, 0x70, v60
	v_cmp_eq_u32_e32 vcc_lo, 0, v60
	v_or_b32_e32 v63, 0x800000, v14
	v_cndmask_b32_e64 v62, 0, v62, s16
	v_cndmask_b32_e32 v14, v63, v14, vcc_lo
	v_cndmask_b32_e64 v62, v62, 0x6f, vcc_lo
	v_lshl_add_u32 v63, 0x200000, v62, -1
	v_lshlrev_b32_e64 v72, v62, 0x100000
	v_and_b32_e32 v63, v63, v14
	v_cmp_eq_u32_e64 s16, v63, v72
	v_lshrrev_b32_e32 v63, v62, v14
	v_add_nc_u32_e32 v14, 0xffffff91, v60
	v_lshrrev_b32_e32 v60, 23, v63
	v_cndmask_b32_e64 v14, v14, 0xffffff92, vcc_lo
	v_xor_b32_e32 v60, 1, v60
	v_add_nc_u32_e32 v14, v62, v14
	v_bfe_u32 v62, v63, 21, 1
	v_add_nc_u32_e32 v62, -1, v62
	v_cndmask_b32_e64 v62, 0, v62, s16
	s_mov_b32 s16, exec_lo
	v_add_nc_u32_e32 v62, v62, v63
	v_and_b32_e32 v62, 0x1fffff, v62
	v_add_nc_u32_e32 v62, v62, v63
                                        ; implicit-def: $vgpr63
	v_cmpx_ne_u32_e64 v14, v60
	s_xor_b32 s16, exec_lo, s16
; %bb.5001:                             ;   in Loop: Header=BB6_3222 Depth=4
	v_cmp_lt_u32_e32 vcc_lo, 0xffffff, v62
	v_sub_nc_u32_e32 v14, v14, v60
	v_cndmask_b32_e64 v60, 0, 1, vcc_lo
	v_add_co_ci_u32_e64 v63, null, 0, v14, vcc_lo
	v_lshrrev_b32_e32 v62, v60, v62
; %bb.5002:                             ;   in Loop: Header=BB6_3222 Depth=4
	s_andn2_saveexec_b32 s16, s16
; %bb.5003:                             ;   in Loop: Header=BB6_3222 Depth=4
	v_bfe_u32 v63, v62, 23, 1
; %bb.5004:                             ;   in Loop: Header=BB6_3222 Depth=4
	s_or_b32 exec_lo, exec_lo, s16
	v_and_b32_sdwa v14, v45, v117 dst_sel:DWORD dst_unused:UNUSED_PAD src0_sel:BYTE_3 src1_sel:DWORD
	v_lshrrev_b32_e32 v45, 21, v62
	v_min_i32_e32 v60, 31, v63
	v_cmp_gt_i32_e32 vcc_lo, 32, v63
	v_lshlrev_b32_e32 v60, 2, v60
	v_cndmask_b32_e32 v45, 3, v45, vcc_lo
	v_and_b32_e32 v60, 0xfc, v60
	v_or_b32_e32 v62, v63, v45
	v_and_b32_e32 v45, 3, v45
	v_cmp_ne_u32_e32 vcc_lo, 0, v62
	v_or3_b32 v14, v14, v60, v45
	v_lshlrev_b32_e32 v14, 8, v14
	v_cndmask_b32_e32 v14, 0, v14, vcc_lo
.LBB6_5005:                             ;   in Loop: Header=BB6_3222 Depth=4
	s_or_b32 exec_lo, exec_lo, s73
.LBB6_5006:                             ;   in Loop: Header=BB6_3222 Depth=4
	s_or_b32 exec_lo, exec_lo, s72
	v_or_b32_e32 v45, v105, v51
	s_mov_b32 s72, 0
	v_cmp_gt_i16_sdwa s16, v45, v116 src0_sel:BYTE_0 src1_sel:DWORD
	s_and_saveexec_b32 s73, s16
	s_xor_b32 s16, exec_lo, s73
	s_cbranch_execz .LBB6_5708
; %bb.5007:                             ;   in Loop: Header=BB6_3222 Depth=4
	v_cmp_eq_u16_sdwa s74, v45, v117 src0_sel:BYTE_0 src1_sel:DWORD
	s_mov_b32 s72, -1
	s_and_saveexec_b32 s73, s74
; %bb.5008:                             ;   in Loop: Header=BB6_3222 Depth=4
	s_xor_b32 s72, exec_lo, -1
; %bb.5009:                             ;   in Loop: Header=BB6_3222 Depth=4
	s_or_b32 exec_lo, exec_lo, s73
	s_and_b32 s72, s72, exec_lo
	s_or_saveexec_b32 s16, s16
	v_mov_b32_e32 v51, 0x7f800001
	s_xor_b32 exec_lo, exec_lo, s16
	s_cbranch_execnz .LBB6_5709
.LBB6_5010:                             ;   in Loop: Header=BB6_3222 Depth=4
	s_or_b32 exec_lo, exec_lo, s16
	s_and_saveexec_b32 s16, s72
	s_cbranch_execz .LBB6_5012
.LBB6_5011:                             ;   in Loop: Header=BB6_3222 Depth=4
	v_and_b32_e32 v51, 3, v45
	v_bfe_u32 v60, v45, 2, 5
	v_ffbh_u32_e32 v62, v51
	v_cmp_eq_u32_e32 vcc_lo, 0, v60
	v_min_u32_e32 v62, 32, v62
	v_subrev_nc_u32_e32 v63, 29, v62
	v_sub_nc_u32_e32 v62, 30, v62
	v_lshlrev_b32_e32 v63, v63, v45
	v_cndmask_b32_e32 v60, v60, v62, vcc_lo
	v_lshlrev_b32_e32 v62, 24, v45
	v_and_b32_e32 v63, 3, v63
	v_lshl_add_u32 v60, v60, 23, 0x37800000
	v_and_b32_e32 v62, 0x80000000, v62
	v_cndmask_b32_e32 v51, v51, v63, vcc_lo
	v_lshlrev_b32_e32 v51, 21, v51
	v_or3_b32 v51, v62, v60, v51
.LBB6_5012:                             ;   in Loop: Header=BB6_3222 Depth=4
	s_or_b32 exec_lo, exec_lo, s16
	v_cmp_gt_i16_sdwa s16, v15, v116 src0_sel:BYTE_0 src1_sel:DWORD
	s_mov_b32 s72, 0
	s_and_saveexec_b32 s73, s16
	s_xor_b32 s16, exec_lo, s73
	s_cbranch_execz .LBB6_5710
; %bb.5013:                             ;   in Loop: Header=BB6_3222 Depth=4
	v_cmp_eq_u16_sdwa s74, v15, v117 src0_sel:BYTE_0 src1_sel:DWORD
	s_mov_b32 s72, -1
	s_and_saveexec_b32 s73, s74
; %bb.5014:                             ;   in Loop: Header=BB6_3222 Depth=4
	s_xor_b32 s72, exec_lo, -1
; %bb.5015:                             ;   in Loop: Header=BB6_3222 Depth=4
	s_or_b32 exec_lo, exec_lo, s73
	s_and_b32 s72, s72, exec_lo
	s_or_saveexec_b32 s16, s16
	v_mov_b32_e32 v60, 0x7f800001
	s_xor_b32 exec_lo, exec_lo, s16
	s_cbranch_execnz .LBB6_5711
.LBB6_5016:                             ;   in Loop: Header=BB6_3222 Depth=4
	s_or_b32 exec_lo, exec_lo, s16
	s_and_saveexec_b32 s16, s72
	s_cbranch_execz .LBB6_5018
.LBB6_5017:                             ;   in Loop: Header=BB6_3222 Depth=4
	v_and_b32_e32 v60, 3, v15
	v_bfe_u32 v62, v15, 2, 5
	v_ffbh_u32_e32 v63, v60
	v_cmp_eq_u32_e32 vcc_lo, 0, v62
	v_min_u32_e32 v63, 32, v63
	v_subrev_nc_u32_e32 v72, 29, v63
	v_sub_nc_u32_e32 v63, 30, v63
	v_lshlrev_b32_e32 v72, v72, v15
	v_cndmask_b32_e32 v62, v62, v63, vcc_lo
	v_lshlrev_b32_e32 v63, 24, v15
	v_and_b32_e32 v72, 3, v72
	v_lshl_add_u32 v62, v62, 23, 0x37800000
	v_and_b32_e32 v63, 0x80000000, v63
	v_cndmask_b32_e32 v60, v60, v72, vcc_lo
	v_lshlrev_b32_e32 v60, 21, v60
	v_or3_b32 v60, v63, v62, v60
.LBB6_5018:                             ;   in Loop: Header=BB6_3222 Depth=4
	s_or_b32 exec_lo, exec_lo, s16
	v_add_f32_e32 v60, v51, v60
	v_and_b32_e32 v51, 0x7f800000, v60
	v_cmp_ne_u32_e32 vcc_lo, 0x7f800000, v51
	v_mov_b32_e32 v51, 0x80
	s_and_saveexec_b32 s72, vcc_lo
	s_cbranch_execz .LBB6_5026
; %bb.5019:                             ;   in Loop: Header=BB6_3222 Depth=4
	v_mov_b32_e32 v51, 0
	s_mov_b32 s73, exec_lo
	v_cmpx_ne_u32_e32 0, v60
	s_cbranch_execz .LBB6_5025
; %bb.5020:                             ;   in Loop: Header=BB6_3222 Depth=4
	v_bfe_u32 v62, v60, 23, 8
	v_and_b32_e32 v51, 0x7fffff, v60
	v_cmp_gt_u32_e64 s16, 0x71, v62
	v_sub_nc_u32_e32 v63, 0x70, v62
	v_cmp_eq_u32_e32 vcc_lo, 0, v62
	v_or_b32_e32 v72, 0x800000, v51
	v_cndmask_b32_e64 v63, 0, v63, s16
	v_cndmask_b32_e32 v51, v72, v51, vcc_lo
	v_cndmask_b32_e64 v63, v63, 0x6f, vcc_lo
	v_lshl_add_u32 v72, 0x200000, v63, -1
	v_lshlrev_b32_e64 v73, v63, 0x100000
	v_and_b32_e32 v72, v72, v51
	v_cmp_eq_u32_e64 s16, v72, v73
	v_lshrrev_b32_e32 v72, v63, v51
	v_add_nc_u32_e32 v51, 0xffffff91, v62
	v_lshrrev_b32_e32 v62, 23, v72
	v_cndmask_b32_e64 v51, v51, 0xffffff92, vcc_lo
	v_xor_b32_e32 v62, 1, v62
	v_add_nc_u32_e32 v51, v63, v51
	v_bfe_u32 v63, v72, 21, 1
	v_add_nc_u32_e32 v63, -1, v63
	v_cndmask_b32_e64 v63, 0, v63, s16
	s_mov_b32 s16, exec_lo
	v_add_nc_u32_e32 v63, v63, v72
	v_and_b32_e32 v63, 0x1fffff, v63
	v_add_nc_u32_e32 v63, v63, v72
                                        ; implicit-def: $vgpr72
	v_cmpx_ne_u32_e64 v51, v62
	s_xor_b32 s16, exec_lo, s16
; %bb.5021:                             ;   in Loop: Header=BB6_3222 Depth=4
	v_cmp_lt_u32_e32 vcc_lo, 0xffffff, v63
	v_sub_nc_u32_e32 v51, v51, v62
	v_cndmask_b32_e64 v62, 0, 1, vcc_lo
	v_add_co_ci_u32_e64 v72, null, 0, v51, vcc_lo
	v_lshrrev_b32_e32 v63, v62, v63
; %bb.5022:                             ;   in Loop: Header=BB6_3222 Depth=4
	s_andn2_saveexec_b32 s16, s16
; %bb.5023:                             ;   in Loop: Header=BB6_3222 Depth=4
	v_bfe_u32 v72, v63, 23, 1
; %bb.5024:                             ;   in Loop: Header=BB6_3222 Depth=4
	s_or_b32 exec_lo, exec_lo, s16
	v_and_b32_sdwa v51, v60, v117 dst_sel:DWORD dst_unused:UNUSED_PAD src0_sel:BYTE_3 src1_sel:DWORD
	v_lshrrev_b32_e32 v60, 21, v63
	v_min_i32_e32 v62, 31, v72
	v_cmp_gt_i32_e32 vcc_lo, 32, v72
	v_lshlrev_b32_e32 v62, 2, v62
	v_cndmask_b32_e32 v60, 3, v60, vcc_lo
	v_and_b32_e32 v62, 0xfc, v62
	v_or_b32_e32 v63, v72, v60
	v_and_b32_e32 v60, 3, v60
	v_cmp_ne_u32_e32 vcc_lo, 0, v63
	v_or3_b32 v51, v62, v51, v60
	v_cndmask_b32_e32 v51, 0, v51, vcc_lo
.LBB6_5025:                             ;   in Loop: Header=BB6_3222 Depth=4
	s_or_b32 exec_lo, exec_lo, s73
.LBB6_5026:                             ;   in Loop: Header=BB6_3222 Depth=4
	s_or_b32 exec_lo, exec_lo, s72
	v_cmp_gt_i16_sdwa s72, v45, v116 src0_sel:BYTE_1 src1_sel:DWORD
	s_mov_b32 s16, 0
	s_and_saveexec_b32 s73, s72
	s_xor_b32 s72, exec_lo, s73
	s_cbranch_execz .LBB6_5712
; %bb.5027:                             ;   in Loop: Header=BB6_3222 Depth=4
	v_cmp_eq_u16_sdwa s74, v45, v117 src0_sel:BYTE_1 src1_sel:DWORD
	s_mov_b32 s16, -1
	s_and_saveexec_b32 s73, s74
; %bb.5028:                             ;   in Loop: Header=BB6_3222 Depth=4
	s_xor_b32 s16, exec_lo, -1
; %bb.5029:                             ;   in Loop: Header=BB6_3222 Depth=4
	s_or_b32 exec_lo, exec_lo, s73
	s_and_b32 s16, s16, exec_lo
	s_or_saveexec_b32 s72, s72
	v_mov_b32_e32 v60, 0x7f800001
	s_xor_b32 exec_lo, exec_lo, s72
	s_cbranch_execnz .LBB6_5713
.LBB6_5030:                             ;   in Loop: Header=BB6_3222 Depth=4
	s_or_b32 exec_lo, exec_lo, s72
	s_and_saveexec_b32 s72, s16
	s_cbranch_execz .LBB6_5032
.LBB6_5031:                             ;   in Loop: Header=BB6_3222 Depth=4
	v_and_b32_sdwa v60, v118, v45 dst_sel:DWORD dst_unused:UNUSED_PAD src0_sel:DWORD src1_sel:BYTE_1
	v_and_b32_e32 v62, 3, v60
	v_bfe_u32 v73, v60, 2, 5
	v_ffbh_u32_e32 v63, v62
	v_cmp_eq_u32_e32 vcc_lo, 0, v73
	v_min_u32_e32 v63, 32, v63
	v_subrev_nc_u32_e32 v72, 29, v63
	v_sub_nc_u32_e32 v63, 30, v63
	v_lshlrev_b32_e32 v60, v72, v60
	v_lshlrev_b32_sdwa v72, v119, v45 dst_sel:DWORD dst_unused:UNUSED_PAD src0_sel:DWORD src1_sel:BYTE_1
	v_cndmask_b32_e32 v63, v73, v63, vcc_lo
	v_and_b32_e32 v60, 3, v60
	v_lshl_add_u32 v63, v63, 23, 0x37800000
	v_cndmask_b32_e32 v60, v62, v60, vcc_lo
	v_and_b32_e32 v62, 0x80000000, v72
	v_lshlrev_b32_e32 v60, 21, v60
	v_or3_b32 v60, v62, v63, v60
.LBB6_5032:                             ;   in Loop: Header=BB6_3222 Depth=4
	s_or_b32 exec_lo, exec_lo, s72
	v_cmp_gt_i16_sdwa s72, v15, v116 src0_sel:BYTE_1 src1_sel:DWORD
	s_mov_b32 s16, 0
	s_and_saveexec_b32 s73, s72
	s_xor_b32 s72, exec_lo, s73
	s_cbranch_execz .LBB6_5714
; %bb.5033:                             ;   in Loop: Header=BB6_3222 Depth=4
	v_cmp_eq_u16_sdwa s74, v15, v117 src0_sel:BYTE_1 src1_sel:DWORD
	s_mov_b32 s16, -1
	s_and_saveexec_b32 s73, s74
; %bb.5034:                             ;   in Loop: Header=BB6_3222 Depth=4
	s_xor_b32 s16, exec_lo, -1
; %bb.5035:                             ;   in Loop: Header=BB6_3222 Depth=4
	s_or_b32 exec_lo, exec_lo, s73
	s_and_b32 s16, s16, exec_lo
	s_or_saveexec_b32 s72, s72
	v_mov_b32_e32 v62, 0x7f800001
	s_xor_b32 exec_lo, exec_lo, s72
	s_cbranch_execnz .LBB6_5715
.LBB6_5036:                             ;   in Loop: Header=BB6_3222 Depth=4
	s_or_b32 exec_lo, exec_lo, s72
	s_and_saveexec_b32 s72, s16
	s_cbranch_execz .LBB6_5038
.LBB6_5037:                             ;   in Loop: Header=BB6_3222 Depth=4
	v_and_b32_sdwa v62, v118, v15 dst_sel:DWORD dst_unused:UNUSED_PAD src0_sel:DWORD src1_sel:BYTE_1
	v_and_b32_e32 v63, 3, v62
	v_bfe_u32 v74, v62, 2, 5
	v_ffbh_u32_e32 v72, v63
	v_cmp_eq_u32_e32 vcc_lo, 0, v74
	v_min_u32_e32 v72, 32, v72
	v_subrev_nc_u32_e32 v73, 29, v72
	v_sub_nc_u32_e32 v72, 30, v72
	v_lshlrev_b32_e32 v62, v73, v62
	v_lshlrev_b32_sdwa v73, v119, v15 dst_sel:DWORD dst_unused:UNUSED_PAD src0_sel:DWORD src1_sel:BYTE_1
	v_cndmask_b32_e32 v72, v74, v72, vcc_lo
	v_and_b32_e32 v62, 3, v62
	v_lshl_add_u32 v72, v72, 23, 0x37800000
	v_cndmask_b32_e32 v62, v63, v62, vcc_lo
	v_and_b32_e32 v63, 0x80000000, v73
	v_lshlrev_b32_e32 v62, 21, v62
	v_or3_b32 v62, v63, v72, v62
.LBB6_5038:                             ;   in Loop: Header=BB6_3222 Depth=4
	s_or_b32 exec_lo, exec_lo, s72
	v_add_f32_e32 v62, v60, v62
	v_and_b32_e32 v60, 0x7f800000, v62
	v_cmp_ne_u32_e32 vcc_lo, 0x7f800000, v60
	v_mov_b32_e32 v60, 0x8000
	s_and_saveexec_b32 s72, vcc_lo
	s_cbranch_execz .LBB6_5046
; %bb.5039:                             ;   in Loop: Header=BB6_3222 Depth=4
	v_mov_b32_e32 v60, 0
	s_mov_b32 s73, exec_lo
	v_cmpx_ne_u32_e32 0, v62
	s_cbranch_execz .LBB6_5045
; %bb.5040:                             ;   in Loop: Header=BB6_3222 Depth=4
	v_bfe_u32 v63, v62, 23, 8
	v_and_b32_e32 v60, 0x7fffff, v62
	v_cmp_gt_u32_e64 s16, 0x71, v63
	v_sub_nc_u32_e32 v72, 0x70, v63
	v_cmp_eq_u32_e32 vcc_lo, 0, v63
	v_or_b32_e32 v73, 0x800000, v60
	v_cndmask_b32_e64 v72, 0, v72, s16
	v_cndmask_b32_e32 v60, v73, v60, vcc_lo
	v_cndmask_b32_e64 v72, v72, 0x6f, vcc_lo
	v_lshl_add_u32 v73, 0x200000, v72, -1
	v_lshlrev_b32_e64 v74, v72, 0x100000
	v_and_b32_e32 v73, v73, v60
	v_cmp_eq_u32_e64 s16, v73, v74
	v_lshrrev_b32_e32 v73, v72, v60
	v_add_nc_u32_e32 v60, 0xffffff91, v63
	v_lshrrev_b32_e32 v63, 23, v73
	v_cndmask_b32_e64 v60, v60, 0xffffff92, vcc_lo
	v_xor_b32_e32 v63, 1, v63
	v_add_nc_u32_e32 v60, v72, v60
	v_bfe_u32 v72, v73, 21, 1
	v_add_nc_u32_e32 v72, -1, v72
	v_cndmask_b32_e64 v72, 0, v72, s16
	s_mov_b32 s16, exec_lo
	v_add_nc_u32_e32 v72, v72, v73
	v_and_b32_e32 v72, 0x1fffff, v72
	v_add_nc_u32_e32 v72, v72, v73
                                        ; implicit-def: $vgpr73
	v_cmpx_ne_u32_e64 v60, v63
	s_xor_b32 s16, exec_lo, s16
; %bb.5041:                             ;   in Loop: Header=BB6_3222 Depth=4
	v_cmp_lt_u32_e32 vcc_lo, 0xffffff, v72
	v_sub_nc_u32_e32 v60, v60, v63
	v_cndmask_b32_e64 v63, 0, 1, vcc_lo
	v_add_co_ci_u32_e64 v73, null, 0, v60, vcc_lo
	v_lshrrev_b32_e32 v72, v63, v72
; %bb.5042:                             ;   in Loop: Header=BB6_3222 Depth=4
	s_andn2_saveexec_b32 s16, s16
; %bb.5043:                             ;   in Loop: Header=BB6_3222 Depth=4
	v_bfe_u32 v73, v72, 23, 1
; %bb.5044:                             ;   in Loop: Header=BB6_3222 Depth=4
	s_or_b32 exec_lo, exec_lo, s16
	v_and_b32_sdwa v60, v62, v117 dst_sel:DWORD dst_unused:UNUSED_PAD src0_sel:BYTE_3 src1_sel:DWORD
	v_lshrrev_b32_e32 v62, 21, v72
	v_min_i32_e32 v63, 31, v73
	v_cmp_gt_i32_e32 vcc_lo, 32, v73
	v_lshlrev_b32_e32 v63, 2, v63
	v_cndmask_b32_e32 v62, 3, v62, vcc_lo
	v_and_b32_e32 v63, 0xfc, v63
	v_or_b32_e32 v72, v73, v62
	v_and_b32_e32 v62, 3, v62
	v_cmp_ne_u32_e32 vcc_lo, 0, v72
	v_or3_b32 v60, v60, v63, v62
	v_lshlrev_b32_e32 v60, 8, v60
	v_cndmask_b32_e32 v60, 0, v60, vcc_lo
.LBB6_5045:                             ;   in Loop: Header=BB6_3222 Depth=4
	s_or_b32 exec_lo, exec_lo, s73
.LBB6_5046:                             ;   in Loop: Header=BB6_3222 Depth=4
	s_or_b32 exec_lo, exec_lo, s72
	v_or_b32_e32 v63, v95, v93
	s_mov_b32 s72, 0
	v_cmp_gt_i16_sdwa s16, v63, v116 src0_sel:BYTE_0 src1_sel:DWORD
	s_and_saveexec_b32 s73, s16
	s_xor_b32 s16, exec_lo, s73
	s_cbranch_execz .LBB6_5716
; %bb.5047:                             ;   in Loop: Header=BB6_3222 Depth=4
	v_cmp_eq_u16_sdwa s74, v63, v117 src0_sel:BYTE_0 src1_sel:DWORD
	s_mov_b32 s72, -1
	s_and_saveexec_b32 s73, s74
; %bb.5048:                             ;   in Loop: Header=BB6_3222 Depth=4
	s_xor_b32 s72, exec_lo, -1
; %bb.5049:                             ;   in Loop: Header=BB6_3222 Depth=4
	s_or_b32 exec_lo, exec_lo, s73
	s_and_b32 s72, s72, exec_lo
	s_or_saveexec_b32 s16, s16
	v_mov_b32_e32 v62, 0x7f800001
	s_xor_b32 exec_lo, exec_lo, s16
	s_cbranch_execnz .LBB6_5717
.LBB6_5050:                             ;   in Loop: Header=BB6_3222 Depth=4
	s_or_b32 exec_lo, exec_lo, s16
	v_lshl_or_b32 v45, v63, 16, v45
	s_and_saveexec_b32 s16, s72
	s_cbranch_execz .LBB6_5052
.LBB6_5051:                             ;   in Loop: Header=BB6_3222 Depth=4
	v_bfe_u32 v62, v45, 16, 2
	v_bfe_u32 v63, v45, 18, 5
	v_ffbh_u32_e32 v72, v62
	v_cmp_eq_u32_e32 vcc_lo, 0, v63
	v_min_u32_e32 v72, 32, v72
	v_subrev_nc_u32_e32 v73, 29, v72
	v_sub_nc_u32_e32 v72, 30, v72
	v_lshlrev_b32_sdwa v73, v73, v45 dst_sel:DWORD dst_unused:UNUSED_PAD src0_sel:DWORD src1_sel:WORD_1
	v_cndmask_b32_e32 v63, v63, v72, vcc_lo
	v_lshlrev_b32_e32 v72, 8, v45
	v_and_b32_e32 v73, 3, v73
	v_lshl_add_u32 v63, v63, 23, 0x37800000
	v_and_b32_e32 v72, 0x80000000, v72
	v_cndmask_b32_e32 v62, v62, v73, vcc_lo
	v_lshlrev_b32_e32 v62, 21, v62
	v_or3_b32 v62, v72, v63, v62
.LBB6_5052:                             ;   in Loop: Header=BB6_3222 Depth=4
	s_or_b32 exec_lo, exec_lo, s16
	v_and_b32_sdwa v72, v15, v40 dst_sel:DWORD dst_unused:UNUSED_PAD src0_sel:WORD_1 src1_sel:DWORD
	s_mov_b32 s72, 0
	s_mov_b32 s16, exec_lo
	v_cmpx_lt_i16_e32 0x7f, v72
	s_xor_b32 s16, exec_lo, s16
	s_cbranch_execz .LBB6_5718
; %bb.5053:                             ;   in Loop: Header=BB6_3222 Depth=4
	s_mov_b32 s72, -1
	s_mov_b32 s73, exec_lo
	v_cmpx_eq_u16_e32 0x80, v72
; %bb.5054:                             ;   in Loop: Header=BB6_3222 Depth=4
	s_xor_b32 s72, exec_lo, -1
; %bb.5055:                             ;   in Loop: Header=BB6_3222 Depth=4
	s_or_b32 exec_lo, exec_lo, s73
	s_and_b32 s72, s72, exec_lo
                                        ; implicit-def: $vgpr72
	s_or_saveexec_b32 s16, s16
	v_mov_b32_e32 v63, 0x7f800001
	s_xor_b32 exec_lo, exec_lo, s16
	s_cbranch_execnz .LBB6_5719
.LBB6_5056:                             ;   in Loop: Header=BB6_3222 Depth=4
	s_or_b32 exec_lo, exec_lo, s16
	s_and_saveexec_b32 s16, s72
	s_cbranch_execz .LBB6_5058
.LBB6_5057:                             ;   in Loop: Header=BB6_3222 Depth=4
	v_bfe_u32 v63, v15, 16, 2
	v_bfe_u32 v72, v15, 18, 5
	v_ffbh_u32_e32 v73, v63
	v_cmp_eq_u32_e32 vcc_lo, 0, v72
	v_min_u32_e32 v73, 32, v73
	v_subrev_nc_u32_e32 v74, 29, v73
	v_sub_nc_u32_e32 v73, 30, v73
	v_lshlrev_b32_sdwa v74, v74, v15 dst_sel:DWORD dst_unused:UNUSED_PAD src0_sel:DWORD src1_sel:WORD_1
	v_cndmask_b32_e32 v72, v72, v73, vcc_lo
	v_lshlrev_b32_e32 v73, 8, v15
	v_and_b32_e32 v74, 3, v74
	v_lshl_add_u32 v72, v72, 23, 0x37800000
	v_and_b32_e32 v73, 0x80000000, v73
	v_cndmask_b32_e32 v63, v63, v74, vcc_lo
	v_lshlrev_b32_e32 v63, 21, v63
	v_or3_b32 v63, v73, v72, v63
.LBB6_5058:                             ;   in Loop: Header=BB6_3222 Depth=4
	s_or_b32 exec_lo, exec_lo, s16
	v_add_f32_e32 v63, v62, v63
	v_and_b32_e32 v62, 0x7f800000, v63
	v_cmp_ne_u32_e32 vcc_lo, 0x7f800000, v62
	v_mov_b32_e32 v62, 0x80
	s_and_saveexec_b32 s72, vcc_lo
	s_cbranch_execz .LBB6_5066
; %bb.5059:                             ;   in Loop: Header=BB6_3222 Depth=4
	v_mov_b32_e32 v62, 0
	s_mov_b32 s73, exec_lo
	v_cmpx_ne_u32_e32 0, v63
	s_cbranch_execz .LBB6_5065
; %bb.5060:                             ;   in Loop: Header=BB6_3222 Depth=4
	v_bfe_u32 v72, v63, 23, 8
	v_and_b32_e32 v62, 0x7fffff, v63
	v_cmp_gt_u32_e64 s16, 0x71, v72
	v_sub_nc_u32_e32 v73, 0x70, v72
	v_cmp_eq_u32_e32 vcc_lo, 0, v72
	v_or_b32_e32 v74, 0x800000, v62
	v_cndmask_b32_e64 v73, 0, v73, s16
	v_cndmask_b32_e32 v62, v74, v62, vcc_lo
	v_cndmask_b32_e64 v73, v73, 0x6f, vcc_lo
	v_lshl_add_u32 v74, 0x200000, v73, -1
	v_lshlrev_b32_e64 v75, v73, 0x100000
	v_and_b32_e32 v74, v74, v62
	v_cmp_eq_u32_e64 s16, v74, v75
	v_lshrrev_b32_e32 v74, v73, v62
	v_add_nc_u32_e32 v62, 0xffffff91, v72
	v_lshrrev_b32_e32 v72, 23, v74
	v_cndmask_b32_e64 v62, v62, 0xffffff92, vcc_lo
	v_xor_b32_e32 v72, 1, v72
	v_add_nc_u32_e32 v62, v73, v62
	v_bfe_u32 v73, v74, 21, 1
	v_add_nc_u32_e32 v73, -1, v73
	v_cndmask_b32_e64 v73, 0, v73, s16
	s_mov_b32 s16, exec_lo
	v_add_nc_u32_e32 v73, v73, v74
	v_and_b32_e32 v73, 0x1fffff, v73
	v_add_nc_u32_e32 v73, v73, v74
                                        ; implicit-def: $vgpr74
	v_cmpx_ne_u32_e64 v62, v72
	s_xor_b32 s16, exec_lo, s16
; %bb.5061:                             ;   in Loop: Header=BB6_3222 Depth=4
	v_cmp_lt_u32_e32 vcc_lo, 0xffffff, v73
	v_sub_nc_u32_e32 v62, v62, v72
	v_cndmask_b32_e64 v72, 0, 1, vcc_lo
	v_add_co_ci_u32_e64 v74, null, 0, v62, vcc_lo
	v_lshrrev_b32_e32 v73, v72, v73
; %bb.5062:                             ;   in Loop: Header=BB6_3222 Depth=4
	s_andn2_saveexec_b32 s16, s16
; %bb.5063:                             ;   in Loop: Header=BB6_3222 Depth=4
	v_bfe_u32 v74, v73, 23, 1
; %bb.5064:                             ;   in Loop: Header=BB6_3222 Depth=4
	s_or_b32 exec_lo, exec_lo, s16
	v_and_b32_sdwa v62, v63, v117 dst_sel:DWORD dst_unused:UNUSED_PAD src0_sel:BYTE_3 src1_sel:DWORD
	v_lshrrev_b32_e32 v63, 21, v73
	v_min_i32_e32 v72, 31, v74
	v_cmp_gt_i32_e32 vcc_lo, 32, v74
	v_lshlrev_b32_e32 v72, 2, v72
	v_cndmask_b32_e32 v63, 3, v63, vcc_lo
	v_and_b32_e32 v72, 0xfc, v72
	v_or_b32_e32 v73, v74, v63
	v_and_b32_e32 v63, 3, v63
	v_cmp_ne_u32_e32 vcc_lo, 0, v73
	v_or3_b32 v62, v72, v62, v63
	v_cndmask_b32_e32 v62, 0, v62, vcc_lo
.LBB6_5065:                             ;   in Loop: Header=BB6_3222 Depth=4
	s_or_b32 exec_lo, exec_lo, s73
.LBB6_5066:                             ;   in Loop: Header=BB6_3222 Depth=4
	s_or_b32 exec_lo, exec_lo, s72
	v_cmp_gt_i16_sdwa s72, v45, v116 src0_sel:BYTE_3 src1_sel:DWORD
	s_mov_b32 s16, 0
	s_and_saveexec_b32 s73, s72
	s_xor_b32 s72, exec_lo, s73
	s_cbranch_execz .LBB6_5720
; %bb.5067:                             ;   in Loop: Header=BB6_3222 Depth=4
	v_cmp_eq_u16_sdwa s74, v45, v117 src0_sel:BYTE_3 src1_sel:DWORD
	s_mov_b32 s16, -1
	s_and_saveexec_b32 s73, s74
; %bb.5068:                             ;   in Loop: Header=BB6_3222 Depth=4
	s_xor_b32 s16, exec_lo, -1
; %bb.5069:                             ;   in Loop: Header=BB6_3222 Depth=4
	s_or_b32 exec_lo, exec_lo, s73
	s_and_b32 s16, s16, exec_lo
	s_or_saveexec_b32 s72, s72
	v_mov_b32_e32 v63, 0x7f800001
	s_xor_b32 exec_lo, exec_lo, s72
	s_cbranch_execnz .LBB6_5721
.LBB6_5070:                             ;   in Loop: Header=BB6_3222 Depth=4
	s_or_b32 exec_lo, exec_lo, s72
	s_and_saveexec_b32 s72, s16
	s_cbranch_execz .LBB6_5072
.LBB6_5071:                             ;   in Loop: Header=BB6_3222 Depth=4
	v_bfe_u32 v63, v45, 24, 2
	v_bfe_u32 v74, v45, 26, 5
	v_ffbh_u32_e32 v72, v63
	v_cmp_eq_u32_e32 vcc_lo, 0, v74
	v_min_u32_e32 v72, 32, v72
	v_subrev_nc_u32_e32 v73, 29, v72
	v_sub_nc_u32_e32 v72, 30, v72
	v_lshlrev_b32_sdwa v73, v73, v45 dst_sel:DWORD dst_unused:UNUSED_PAD src0_sel:DWORD src1_sel:BYTE_3
	v_cndmask_b32_e32 v72, v74, v72, vcc_lo
	v_and_b32_e32 v45, 0x80000000, v45
	v_and_b32_e32 v73, 3, v73
	v_lshl_add_u32 v72, v72, 23, 0x37800000
	v_cndmask_b32_e32 v63, v63, v73, vcc_lo
	v_lshlrev_b32_e32 v63, 21, v63
	v_or3_b32 v63, v45, v72, v63
.LBB6_5072:                             ;   in Loop: Header=BB6_3222 Depth=4
	s_or_b32 exec_lo, exec_lo, s72
	v_cmp_gt_i16_sdwa s72, v15, v116 src0_sel:BYTE_3 src1_sel:DWORD
	s_mov_b32 s16, 0
	s_and_saveexec_b32 s73, s72
	s_xor_b32 s72, exec_lo, s73
	s_cbranch_execz .LBB6_5722
; %bb.5073:                             ;   in Loop: Header=BB6_3222 Depth=4
	v_cmp_eq_u16_sdwa s74, v15, v117 src0_sel:BYTE_3 src1_sel:DWORD
	s_mov_b32 s16, -1
	s_and_saveexec_b32 s73, s74
; %bb.5074:                             ;   in Loop: Header=BB6_3222 Depth=4
	s_xor_b32 s16, exec_lo, -1
; %bb.5075:                             ;   in Loop: Header=BB6_3222 Depth=4
	s_or_b32 exec_lo, exec_lo, s73
	s_and_b32 s16, s16, exec_lo
	s_or_saveexec_b32 s72, s72
	v_mov_b32_e32 v45, 0x7f800001
	s_xor_b32 exec_lo, exec_lo, s72
	s_cbranch_execnz .LBB6_5723
.LBB6_5076:                             ;   in Loop: Header=BB6_3222 Depth=4
	s_or_b32 exec_lo, exec_lo, s72
	s_and_saveexec_b32 s72, s16
	s_cbranch_execz .LBB6_5078
.LBB6_5077:                             ;   in Loop: Header=BB6_3222 Depth=4
	v_bfe_u32 v45, v15, 24, 2
	v_bfe_u32 v74, v15, 26, 5
	v_ffbh_u32_e32 v72, v45
	v_cmp_eq_u32_e32 vcc_lo, 0, v74
	v_min_u32_e32 v72, 32, v72
	v_subrev_nc_u32_e32 v73, 29, v72
	v_sub_nc_u32_e32 v72, 30, v72
	v_lshlrev_b32_sdwa v73, v73, v15 dst_sel:DWORD dst_unused:UNUSED_PAD src0_sel:DWORD src1_sel:BYTE_3
	v_cndmask_b32_e32 v72, v74, v72, vcc_lo
	v_and_b32_e32 v15, 0x80000000, v15
	v_and_b32_e32 v73, 3, v73
	v_lshl_add_u32 v72, v72, 23, 0x37800000
	v_cndmask_b32_e32 v45, v45, v73, vcc_lo
	v_lshlrev_b32_e32 v45, 21, v45
	v_or3_b32 v45, v15, v72, v45
.LBB6_5078:                             ;   in Loop: Header=BB6_3222 Depth=4
	s_or_b32 exec_lo, exec_lo, s72
	v_add_f32_e32 v45, v63, v45
	v_and_b32_e32 v15, 0x7f800000, v45
	v_cmp_ne_u32_e32 vcc_lo, 0x7f800000, v15
	v_mov_b32_e32 v15, 0x8000
	s_and_saveexec_b32 s72, vcc_lo
	s_cbranch_execz .LBB6_5086
; %bb.5079:                             ;   in Loop: Header=BB6_3222 Depth=4
	v_mov_b32_e32 v15, 0
	s_mov_b32 s73, exec_lo
	v_cmpx_ne_u32_e32 0, v45
	s_cbranch_execz .LBB6_5085
; %bb.5080:                             ;   in Loop: Header=BB6_3222 Depth=4
	v_bfe_u32 v63, v45, 23, 8
	v_and_b32_e32 v15, 0x7fffff, v45
	v_cmp_gt_u32_e64 s16, 0x71, v63
	v_sub_nc_u32_e32 v72, 0x70, v63
	v_cmp_eq_u32_e32 vcc_lo, 0, v63
	v_or_b32_e32 v73, 0x800000, v15
	v_cndmask_b32_e64 v72, 0, v72, s16
	v_cndmask_b32_e32 v15, v73, v15, vcc_lo
	v_cndmask_b32_e64 v72, v72, 0x6f, vcc_lo
	v_lshl_add_u32 v73, 0x200000, v72, -1
	v_lshlrev_b32_e64 v74, v72, 0x100000
	v_and_b32_e32 v73, v73, v15
	v_cmp_eq_u32_e64 s16, v73, v74
	v_lshrrev_b32_e32 v73, v72, v15
	v_add_nc_u32_e32 v15, 0xffffff91, v63
	v_lshrrev_b32_e32 v63, 23, v73
	v_cndmask_b32_e64 v15, v15, 0xffffff92, vcc_lo
	v_xor_b32_e32 v63, 1, v63
	v_add_nc_u32_e32 v15, v72, v15
	v_bfe_u32 v72, v73, 21, 1
	v_add_nc_u32_e32 v72, -1, v72
	v_cndmask_b32_e64 v72, 0, v72, s16
	s_mov_b32 s16, exec_lo
	v_add_nc_u32_e32 v72, v72, v73
	v_and_b32_e32 v72, 0x1fffff, v72
	v_add_nc_u32_e32 v72, v72, v73
                                        ; implicit-def: $vgpr73
	v_cmpx_ne_u32_e64 v15, v63
	s_xor_b32 s16, exec_lo, s16
; %bb.5081:                             ;   in Loop: Header=BB6_3222 Depth=4
	v_cmp_lt_u32_e32 vcc_lo, 0xffffff, v72
	v_sub_nc_u32_e32 v15, v15, v63
	v_cndmask_b32_e64 v63, 0, 1, vcc_lo
	v_add_co_ci_u32_e64 v73, null, 0, v15, vcc_lo
	v_lshrrev_b32_e32 v72, v63, v72
; %bb.5082:                             ;   in Loop: Header=BB6_3222 Depth=4
	s_andn2_saveexec_b32 s16, s16
; %bb.5083:                             ;   in Loop: Header=BB6_3222 Depth=4
	v_bfe_u32 v73, v72, 23, 1
; %bb.5084:                             ;   in Loop: Header=BB6_3222 Depth=4
	s_or_b32 exec_lo, exec_lo, s16
	v_and_b32_sdwa v15, v45, v117 dst_sel:DWORD dst_unused:UNUSED_PAD src0_sel:BYTE_3 src1_sel:DWORD
	v_lshrrev_b32_e32 v45, 21, v72
	v_min_i32_e32 v63, 31, v73
	v_cmp_gt_i32_e32 vcc_lo, 32, v73
	v_lshlrev_b32_e32 v63, 2, v63
	v_cndmask_b32_e32 v45, 3, v45, vcc_lo
	v_and_b32_e32 v63, 0xfc, v63
	v_or_b32_e32 v72, v73, v45
	v_and_b32_e32 v45, 3, v45
	v_cmp_ne_u32_e32 vcc_lo, 0, v72
	v_or3_b32 v15, v15, v63, v45
	v_lshlrev_b32_e32 v15, 8, v15
	v_cndmask_b32_e32 v15, 0, v15, vcc_lo
.LBB6_5085:                             ;   in Loop: Header=BB6_3222 Depth=4
	s_or_b32 exec_lo, exec_lo, s73
.LBB6_5086:                             ;   in Loop: Header=BB6_3222 Depth=4
	s_or_b32 exec_lo, exec_lo, s72
	v_or_b32_e32 v45, v50, v90
	s_mov_b32 s72, 0
	v_cmp_gt_i16_sdwa s16, v45, v116 src0_sel:BYTE_0 src1_sel:DWORD
	s_and_saveexec_b32 s73, s16
	s_xor_b32 s16, exec_lo, s73
	s_cbranch_execz .LBB6_5724
; %bb.5087:                             ;   in Loop: Header=BB6_3222 Depth=4
	v_cmp_eq_u16_sdwa s74, v45, v117 src0_sel:BYTE_0 src1_sel:DWORD
	s_mov_b32 s72, -1
	s_and_saveexec_b32 s73, s74
; %bb.5088:                             ;   in Loop: Header=BB6_3222 Depth=4
	s_xor_b32 s72, exec_lo, -1
; %bb.5089:                             ;   in Loop: Header=BB6_3222 Depth=4
	s_or_b32 exec_lo, exec_lo, s73
	s_and_b32 s72, s72, exec_lo
	s_or_saveexec_b32 s16, s16
	v_mov_b32_e32 v50, 0x7f800001
	s_xor_b32 exec_lo, exec_lo, s16
	s_cbranch_execnz .LBB6_5725
.LBB6_5090:                             ;   in Loop: Header=BB6_3222 Depth=4
	s_or_b32 exec_lo, exec_lo, s16
	s_and_saveexec_b32 s16, s72
	s_cbranch_execz .LBB6_5092
.LBB6_5091:                             ;   in Loop: Header=BB6_3222 Depth=4
	v_and_b32_e32 v50, 3, v45
	v_bfe_u32 v63, v45, 2, 5
	v_ffbh_u32_e32 v72, v50
	v_cmp_eq_u32_e32 vcc_lo, 0, v63
	v_min_u32_e32 v72, 32, v72
	v_subrev_nc_u32_e32 v73, 29, v72
	v_sub_nc_u32_e32 v72, 30, v72
	v_lshlrev_b32_e32 v73, v73, v45
	v_cndmask_b32_e32 v63, v63, v72, vcc_lo
	v_lshlrev_b32_e32 v72, 24, v45
	v_and_b32_e32 v73, 3, v73
	v_lshl_add_u32 v63, v63, 23, 0x37800000
	v_and_b32_e32 v72, 0x80000000, v72
	v_cndmask_b32_e32 v50, v50, v73, vcc_lo
	v_lshlrev_b32_e32 v50, 21, v50
	v_or3_b32 v50, v72, v63, v50
.LBB6_5092:                             ;   in Loop: Header=BB6_3222 Depth=4
	s_or_b32 exec_lo, exec_lo, s16
	s_waitcnt vmcnt(0)
	v_cmp_gt_i16_sdwa s16, v8, v116 src0_sel:BYTE_0 src1_sel:DWORD
	s_mov_b32 s72, 0
	s_and_saveexec_b32 s73, s16
	s_xor_b32 s16, exec_lo, s73
	s_cbranch_execz .LBB6_5726
; %bb.5093:                             ;   in Loop: Header=BB6_3222 Depth=4
	v_cmp_eq_u16_sdwa s74, v8, v117 src0_sel:BYTE_0 src1_sel:DWORD
	s_mov_b32 s72, -1
	s_and_saveexec_b32 s73, s74
; %bb.5094:                             ;   in Loop: Header=BB6_3222 Depth=4
	s_xor_b32 s72, exec_lo, -1
; %bb.5095:                             ;   in Loop: Header=BB6_3222 Depth=4
	s_or_b32 exec_lo, exec_lo, s73
	s_and_b32 s72, s72, exec_lo
	s_or_saveexec_b32 s16, s16
	v_mov_b32_e32 v63, 0x7f800001
	s_xor_b32 exec_lo, exec_lo, s16
	s_cbranch_execnz .LBB6_5727
.LBB6_5096:                             ;   in Loop: Header=BB6_3222 Depth=4
	s_or_b32 exec_lo, exec_lo, s16
	s_and_saveexec_b32 s16, s72
	s_cbranch_execz .LBB6_5098
.LBB6_5097:                             ;   in Loop: Header=BB6_3222 Depth=4
	v_and_b32_e32 v63, 3, v8
	v_bfe_u32 v72, v8, 2, 5
	v_ffbh_u32_e32 v73, v63
	v_cmp_eq_u32_e32 vcc_lo, 0, v72
	v_min_u32_e32 v73, 32, v73
	v_subrev_nc_u32_e32 v74, 29, v73
	v_sub_nc_u32_e32 v73, 30, v73
	v_lshlrev_b32_e32 v74, v74, v8
	v_cndmask_b32_e32 v72, v72, v73, vcc_lo
	v_lshlrev_b32_e32 v73, 24, v8
	v_and_b32_e32 v74, 3, v74
	v_lshl_add_u32 v72, v72, 23, 0x37800000
	v_and_b32_e32 v73, 0x80000000, v73
	v_cndmask_b32_e32 v63, v63, v74, vcc_lo
	v_lshlrev_b32_e32 v63, 21, v63
	v_or3_b32 v63, v73, v72, v63
.LBB6_5098:                             ;   in Loop: Header=BB6_3222 Depth=4
	s_or_b32 exec_lo, exec_lo, s16
	v_add_f32_e32 v63, v50, v63
	v_and_b32_e32 v50, 0x7f800000, v63
	v_cmp_ne_u32_e32 vcc_lo, 0x7f800000, v50
	v_mov_b32_e32 v50, 0x80
	s_and_saveexec_b32 s72, vcc_lo
	s_cbranch_execz .LBB6_5106
; %bb.5099:                             ;   in Loop: Header=BB6_3222 Depth=4
	v_mov_b32_e32 v50, 0
	s_mov_b32 s73, exec_lo
	v_cmpx_ne_u32_e32 0, v63
	s_cbranch_execz .LBB6_5105
; %bb.5100:                             ;   in Loop: Header=BB6_3222 Depth=4
	v_bfe_u32 v72, v63, 23, 8
	v_and_b32_e32 v50, 0x7fffff, v63
	v_cmp_gt_u32_e64 s16, 0x71, v72
	v_sub_nc_u32_e32 v73, 0x70, v72
	v_cmp_eq_u32_e32 vcc_lo, 0, v72
	v_or_b32_e32 v74, 0x800000, v50
	v_cndmask_b32_e64 v73, 0, v73, s16
	v_cndmask_b32_e32 v50, v74, v50, vcc_lo
	v_cndmask_b32_e64 v73, v73, 0x6f, vcc_lo
	v_lshl_add_u32 v74, 0x200000, v73, -1
	v_lshlrev_b32_e64 v75, v73, 0x100000
	v_and_b32_e32 v74, v74, v50
	v_cmp_eq_u32_e64 s16, v74, v75
	v_lshrrev_b32_e32 v74, v73, v50
	v_add_nc_u32_e32 v50, 0xffffff91, v72
	v_lshrrev_b32_e32 v72, 23, v74
	v_cndmask_b32_e64 v50, v50, 0xffffff92, vcc_lo
	v_xor_b32_e32 v72, 1, v72
	v_add_nc_u32_e32 v50, v73, v50
	v_bfe_u32 v73, v74, 21, 1
	v_add_nc_u32_e32 v73, -1, v73
	v_cndmask_b32_e64 v73, 0, v73, s16
	s_mov_b32 s16, exec_lo
	v_add_nc_u32_e32 v73, v73, v74
	v_and_b32_e32 v73, 0x1fffff, v73
	v_add_nc_u32_e32 v73, v73, v74
                                        ; implicit-def: $vgpr74
	v_cmpx_ne_u32_e64 v50, v72
	s_xor_b32 s16, exec_lo, s16
; %bb.5101:                             ;   in Loop: Header=BB6_3222 Depth=4
	v_cmp_lt_u32_e32 vcc_lo, 0xffffff, v73
	v_sub_nc_u32_e32 v50, v50, v72
	v_cndmask_b32_e64 v72, 0, 1, vcc_lo
	v_add_co_ci_u32_e64 v74, null, 0, v50, vcc_lo
	v_lshrrev_b32_e32 v73, v72, v73
; %bb.5102:                             ;   in Loop: Header=BB6_3222 Depth=4
	s_andn2_saveexec_b32 s16, s16
; %bb.5103:                             ;   in Loop: Header=BB6_3222 Depth=4
	v_bfe_u32 v74, v73, 23, 1
; %bb.5104:                             ;   in Loop: Header=BB6_3222 Depth=4
	s_or_b32 exec_lo, exec_lo, s16
	v_and_b32_sdwa v50, v63, v117 dst_sel:DWORD dst_unused:UNUSED_PAD src0_sel:BYTE_3 src1_sel:DWORD
	v_lshrrev_b32_e32 v63, 21, v73
	v_min_i32_e32 v72, 31, v74
	v_cmp_gt_i32_e32 vcc_lo, 32, v74
	v_lshlrev_b32_e32 v72, 2, v72
	v_cndmask_b32_e32 v63, 3, v63, vcc_lo
	v_and_b32_e32 v72, 0xfc, v72
	v_or_b32_e32 v73, v74, v63
	v_and_b32_e32 v63, 3, v63
	v_cmp_ne_u32_e32 vcc_lo, 0, v73
	v_or3_b32 v50, v72, v50, v63
	v_cndmask_b32_e32 v50, 0, v50, vcc_lo
.LBB6_5105:                             ;   in Loop: Header=BB6_3222 Depth=4
	s_or_b32 exec_lo, exec_lo, s73
.LBB6_5106:                             ;   in Loop: Header=BB6_3222 Depth=4
	s_or_b32 exec_lo, exec_lo, s72
	v_cmp_gt_i16_sdwa s72, v45, v116 src0_sel:BYTE_1 src1_sel:DWORD
	s_mov_b32 s16, 0
	s_and_saveexec_b32 s73, s72
	s_xor_b32 s72, exec_lo, s73
	s_cbranch_execz .LBB6_5728
; %bb.5107:                             ;   in Loop: Header=BB6_3222 Depth=4
	v_cmp_eq_u16_sdwa s74, v45, v117 src0_sel:BYTE_1 src1_sel:DWORD
	s_mov_b32 s16, -1
	s_and_saveexec_b32 s73, s74
; %bb.5108:                             ;   in Loop: Header=BB6_3222 Depth=4
	s_xor_b32 s16, exec_lo, -1
; %bb.5109:                             ;   in Loop: Header=BB6_3222 Depth=4
	s_or_b32 exec_lo, exec_lo, s73
	s_and_b32 s16, s16, exec_lo
	s_or_saveexec_b32 s72, s72
	v_mov_b32_e32 v63, 0x7f800001
	s_xor_b32 exec_lo, exec_lo, s72
	s_cbranch_execnz .LBB6_5729
.LBB6_5110:                             ;   in Loop: Header=BB6_3222 Depth=4
	s_or_b32 exec_lo, exec_lo, s72
	s_and_saveexec_b32 s72, s16
	s_cbranch_execz .LBB6_5112
.LBB6_5111:                             ;   in Loop: Header=BB6_3222 Depth=4
	v_and_b32_sdwa v63, v118, v45 dst_sel:DWORD dst_unused:UNUSED_PAD src0_sel:DWORD src1_sel:BYTE_1
	v_and_b32_e32 v72, 3, v63
	v_bfe_u32 v75, v63, 2, 5
	v_ffbh_u32_e32 v73, v72
	v_cmp_eq_u32_e32 vcc_lo, 0, v75
	v_min_u32_e32 v73, 32, v73
	v_subrev_nc_u32_e32 v74, 29, v73
	v_sub_nc_u32_e32 v73, 30, v73
	v_lshlrev_b32_e32 v63, v74, v63
	v_lshlrev_b32_sdwa v74, v119, v45 dst_sel:DWORD dst_unused:UNUSED_PAD src0_sel:DWORD src1_sel:BYTE_1
	v_cndmask_b32_e32 v73, v75, v73, vcc_lo
	v_and_b32_e32 v63, 3, v63
	v_lshl_add_u32 v73, v73, 23, 0x37800000
	v_cndmask_b32_e32 v63, v72, v63, vcc_lo
	v_and_b32_e32 v72, 0x80000000, v74
	v_lshlrev_b32_e32 v63, 21, v63
	v_or3_b32 v63, v72, v73, v63
.LBB6_5112:                             ;   in Loop: Header=BB6_3222 Depth=4
	s_or_b32 exec_lo, exec_lo, s72
	v_cmp_gt_i16_sdwa s72, v8, v116 src0_sel:BYTE_1 src1_sel:DWORD
	s_mov_b32 s16, 0
	s_and_saveexec_b32 s73, s72
	s_xor_b32 s72, exec_lo, s73
	s_cbranch_execz .LBB6_5730
; %bb.5113:                             ;   in Loop: Header=BB6_3222 Depth=4
	v_cmp_eq_u16_sdwa s74, v8, v117 src0_sel:BYTE_1 src1_sel:DWORD
	s_mov_b32 s16, -1
	s_and_saveexec_b32 s73, s74
; %bb.5114:                             ;   in Loop: Header=BB6_3222 Depth=4
	s_xor_b32 s16, exec_lo, -1
; %bb.5115:                             ;   in Loop: Header=BB6_3222 Depth=4
	s_or_b32 exec_lo, exec_lo, s73
	s_and_b32 s16, s16, exec_lo
	s_or_saveexec_b32 s72, s72
	v_mov_b32_e32 v72, 0x7f800001
	s_xor_b32 exec_lo, exec_lo, s72
	s_cbranch_execnz .LBB6_5731
.LBB6_5116:                             ;   in Loop: Header=BB6_3222 Depth=4
	s_or_b32 exec_lo, exec_lo, s72
	s_and_saveexec_b32 s72, s16
	s_cbranch_execz .LBB6_5118
.LBB6_5117:                             ;   in Loop: Header=BB6_3222 Depth=4
	v_and_b32_sdwa v72, v118, v8 dst_sel:DWORD dst_unused:UNUSED_PAD src0_sel:DWORD src1_sel:BYTE_1
	v_and_b32_e32 v73, 3, v72
	v_bfe_u32 v90, v72, 2, 5
	v_ffbh_u32_e32 v74, v73
	v_cmp_eq_u32_e32 vcc_lo, 0, v90
	v_min_u32_e32 v74, 32, v74
	v_subrev_nc_u32_e32 v75, 29, v74
	v_sub_nc_u32_e32 v74, 30, v74
	v_lshlrev_b32_e32 v72, v75, v72
	v_lshlrev_b32_sdwa v75, v119, v8 dst_sel:DWORD dst_unused:UNUSED_PAD src0_sel:DWORD src1_sel:BYTE_1
	v_cndmask_b32_e32 v74, v90, v74, vcc_lo
	v_and_b32_e32 v72, 3, v72
	v_lshl_add_u32 v74, v74, 23, 0x37800000
	v_cndmask_b32_e32 v72, v73, v72, vcc_lo
	v_and_b32_e32 v73, 0x80000000, v75
	v_lshlrev_b32_e32 v72, 21, v72
	v_or3_b32 v72, v73, v74, v72
.LBB6_5118:                             ;   in Loop: Header=BB6_3222 Depth=4
	s_or_b32 exec_lo, exec_lo, s72
	v_add_f32_e32 v72, v63, v72
	v_and_b32_e32 v63, 0x7f800000, v72
	v_cmp_ne_u32_e32 vcc_lo, 0x7f800000, v63
	v_mov_b32_e32 v63, 0x8000
	s_and_saveexec_b32 s72, vcc_lo
	s_cbranch_execz .LBB6_5126
; %bb.5119:                             ;   in Loop: Header=BB6_3222 Depth=4
	v_mov_b32_e32 v63, 0
	s_mov_b32 s73, exec_lo
	v_cmpx_ne_u32_e32 0, v72
	s_cbranch_execz .LBB6_5125
; %bb.5120:                             ;   in Loop: Header=BB6_3222 Depth=4
	v_bfe_u32 v73, v72, 23, 8
	v_and_b32_e32 v63, 0x7fffff, v72
	v_cmp_gt_u32_e64 s16, 0x71, v73
	v_sub_nc_u32_e32 v74, 0x70, v73
	v_cmp_eq_u32_e32 vcc_lo, 0, v73
	v_or_b32_e32 v75, 0x800000, v63
	v_cndmask_b32_e64 v74, 0, v74, s16
	v_cndmask_b32_e32 v63, v75, v63, vcc_lo
	v_cndmask_b32_e64 v74, v74, 0x6f, vcc_lo
	v_lshl_add_u32 v75, 0x200000, v74, -1
	v_lshlrev_b32_e64 v90, v74, 0x100000
	v_and_b32_e32 v75, v75, v63
	v_cmp_eq_u32_e64 s16, v75, v90
	v_lshrrev_b32_e32 v75, v74, v63
	v_add_nc_u32_e32 v63, 0xffffff91, v73
	v_lshrrev_b32_e32 v73, 23, v75
	v_cndmask_b32_e64 v63, v63, 0xffffff92, vcc_lo
	v_xor_b32_e32 v73, 1, v73
	v_add_nc_u32_e32 v63, v74, v63
	v_bfe_u32 v74, v75, 21, 1
	v_add_nc_u32_e32 v74, -1, v74
	v_cndmask_b32_e64 v74, 0, v74, s16
	s_mov_b32 s16, exec_lo
	v_add_nc_u32_e32 v74, v74, v75
	v_and_b32_e32 v74, 0x1fffff, v74
	v_add_nc_u32_e32 v74, v74, v75
                                        ; implicit-def: $vgpr75
	v_cmpx_ne_u32_e64 v63, v73
	s_xor_b32 s16, exec_lo, s16
; %bb.5121:                             ;   in Loop: Header=BB6_3222 Depth=4
	v_cmp_lt_u32_e32 vcc_lo, 0xffffff, v74
	v_sub_nc_u32_e32 v63, v63, v73
	v_cndmask_b32_e64 v73, 0, 1, vcc_lo
	v_add_co_ci_u32_e64 v75, null, 0, v63, vcc_lo
	v_lshrrev_b32_e32 v74, v73, v74
; %bb.5122:                             ;   in Loop: Header=BB6_3222 Depth=4
	s_andn2_saveexec_b32 s16, s16
; %bb.5123:                             ;   in Loop: Header=BB6_3222 Depth=4
	v_bfe_u32 v75, v74, 23, 1
; %bb.5124:                             ;   in Loop: Header=BB6_3222 Depth=4
	s_or_b32 exec_lo, exec_lo, s16
	v_and_b32_sdwa v63, v72, v117 dst_sel:DWORD dst_unused:UNUSED_PAD src0_sel:BYTE_3 src1_sel:DWORD
	v_lshrrev_b32_e32 v72, 21, v74
	v_min_i32_e32 v73, 31, v75
	v_cmp_gt_i32_e32 vcc_lo, 32, v75
	v_lshlrev_b32_e32 v73, 2, v73
	v_cndmask_b32_e32 v72, 3, v72, vcc_lo
	v_and_b32_e32 v73, 0xfc, v73
	v_or_b32_e32 v74, v75, v72
	v_and_b32_e32 v72, 3, v72
	v_cmp_ne_u32_e32 vcc_lo, 0, v74
	v_or3_b32 v63, v63, v73, v72
	v_lshlrev_b32_e32 v63, 8, v63
	v_cndmask_b32_e32 v63, 0, v63, vcc_lo
.LBB6_5125:                             ;   in Loop: Header=BB6_3222 Depth=4
	s_or_b32 exec_lo, exec_lo, s73
.LBB6_5126:                             ;   in Loop: Header=BB6_3222 Depth=4
	s_or_b32 exec_lo, exec_lo, s72
	v_or_b32_e32 v72, v92, v5
	s_mov_b32 s72, 0
	v_cmp_gt_i16_sdwa s16, v72, v116 src0_sel:BYTE_0 src1_sel:DWORD
	s_and_saveexec_b32 s73, s16
	s_xor_b32 s16, exec_lo, s73
	s_cbranch_execz .LBB6_5732
; %bb.5127:                             ;   in Loop: Header=BB6_3222 Depth=4
	v_cmp_eq_u16_sdwa s74, v72, v117 src0_sel:BYTE_0 src1_sel:DWORD
	s_mov_b32 s72, -1
	s_and_saveexec_b32 s73, s74
; %bb.5128:                             ;   in Loop: Header=BB6_3222 Depth=4
	s_xor_b32 s72, exec_lo, -1
; %bb.5129:                             ;   in Loop: Header=BB6_3222 Depth=4
	s_or_b32 exec_lo, exec_lo, s73
	s_and_b32 s72, s72, exec_lo
	s_or_saveexec_b32 s16, s16
	v_mov_b32_e32 v5, 0x7f800001
	s_xor_b32 exec_lo, exec_lo, s16
	s_cbranch_execnz .LBB6_5733
.LBB6_5130:                             ;   in Loop: Header=BB6_3222 Depth=4
	s_or_b32 exec_lo, exec_lo, s16
	v_lshl_or_b32 v45, v72, 16, v45
	s_and_saveexec_b32 s16, s72
	s_cbranch_execz .LBB6_5132
.LBB6_5131:                             ;   in Loop: Header=BB6_3222 Depth=4
	v_bfe_u32 v5, v45, 16, 2
	v_bfe_u32 v72, v45, 18, 5
	v_ffbh_u32_e32 v73, v5
	v_cmp_eq_u32_e32 vcc_lo, 0, v72
	v_min_u32_e32 v73, 32, v73
	v_subrev_nc_u32_e32 v74, 29, v73
	v_sub_nc_u32_e32 v73, 30, v73
	v_lshlrev_b32_sdwa v74, v74, v45 dst_sel:DWORD dst_unused:UNUSED_PAD src0_sel:DWORD src1_sel:WORD_1
	v_cndmask_b32_e32 v72, v72, v73, vcc_lo
	v_lshlrev_b32_e32 v73, 8, v45
	v_and_b32_e32 v74, 3, v74
	v_lshl_add_u32 v72, v72, 23, 0x37800000
	v_and_b32_e32 v73, 0x80000000, v73
	v_cndmask_b32_e32 v5, v5, v74, vcc_lo
	v_lshlrev_b32_e32 v5, 21, v5
	v_or3_b32 v5, v73, v72, v5
.LBB6_5132:                             ;   in Loop: Header=BB6_3222 Depth=4
	s_or_b32 exec_lo, exec_lo, s16
	v_and_b32_sdwa v73, v8, v40 dst_sel:DWORD dst_unused:UNUSED_PAD src0_sel:WORD_1 src1_sel:DWORD
	s_mov_b32 s72, 0
	s_mov_b32 s16, exec_lo
	v_cmpx_lt_i16_e32 0x7f, v73
	s_xor_b32 s16, exec_lo, s16
	s_cbranch_execz .LBB6_5734
; %bb.5133:                             ;   in Loop: Header=BB6_3222 Depth=4
	s_mov_b32 s72, -1
	s_mov_b32 s73, exec_lo
	v_cmpx_eq_u16_e32 0x80, v73
; %bb.5134:                             ;   in Loop: Header=BB6_3222 Depth=4
	s_xor_b32 s72, exec_lo, -1
; %bb.5135:                             ;   in Loop: Header=BB6_3222 Depth=4
	s_or_b32 exec_lo, exec_lo, s73
	s_and_b32 s72, s72, exec_lo
                                        ; implicit-def: $vgpr73
	s_or_saveexec_b32 s16, s16
	v_mov_b32_e32 v72, 0x7f800001
	s_xor_b32 exec_lo, exec_lo, s16
	s_cbranch_execnz .LBB6_5735
.LBB6_5136:                             ;   in Loop: Header=BB6_3222 Depth=4
	s_or_b32 exec_lo, exec_lo, s16
	s_and_saveexec_b32 s16, s72
	s_cbranch_execz .LBB6_5138
.LBB6_5137:                             ;   in Loop: Header=BB6_3222 Depth=4
	v_bfe_u32 v72, v8, 16, 2
	v_bfe_u32 v73, v8, 18, 5
	v_ffbh_u32_e32 v74, v72
	v_cmp_eq_u32_e32 vcc_lo, 0, v73
	v_min_u32_e32 v74, 32, v74
	v_subrev_nc_u32_e32 v75, 29, v74
	v_sub_nc_u32_e32 v74, 30, v74
	v_lshlrev_b32_sdwa v75, v75, v8 dst_sel:DWORD dst_unused:UNUSED_PAD src0_sel:DWORD src1_sel:WORD_1
	v_cndmask_b32_e32 v73, v73, v74, vcc_lo
	v_lshlrev_b32_e32 v74, 8, v8
	v_and_b32_e32 v75, 3, v75
	v_lshl_add_u32 v73, v73, 23, 0x37800000
	v_and_b32_e32 v74, 0x80000000, v74
	v_cndmask_b32_e32 v72, v72, v75, vcc_lo
	v_lshlrev_b32_e32 v72, 21, v72
	v_or3_b32 v72, v74, v73, v72
.LBB6_5138:                             ;   in Loop: Header=BB6_3222 Depth=4
	s_or_b32 exec_lo, exec_lo, s16
	v_add_f32_e32 v72, v5, v72
	v_and_b32_e32 v5, 0x7f800000, v72
	v_cmp_ne_u32_e32 vcc_lo, 0x7f800000, v5
	v_mov_b32_e32 v5, 0x80
	s_and_saveexec_b32 s72, vcc_lo
	s_cbranch_execz .LBB6_5146
; %bb.5139:                             ;   in Loop: Header=BB6_3222 Depth=4
	v_mov_b32_e32 v5, 0
	s_mov_b32 s73, exec_lo
	v_cmpx_ne_u32_e32 0, v72
	s_cbranch_execz .LBB6_5145
; %bb.5140:                             ;   in Loop: Header=BB6_3222 Depth=4
	v_bfe_u32 v73, v72, 23, 8
	v_and_b32_e32 v5, 0x7fffff, v72
	v_cmp_gt_u32_e64 s16, 0x71, v73
	v_sub_nc_u32_e32 v74, 0x70, v73
	v_cmp_eq_u32_e32 vcc_lo, 0, v73
	v_or_b32_e32 v75, 0x800000, v5
	v_cndmask_b32_e64 v74, 0, v74, s16
	v_cndmask_b32_e32 v5, v75, v5, vcc_lo
	v_cndmask_b32_e64 v74, v74, 0x6f, vcc_lo
	v_lshl_add_u32 v75, 0x200000, v74, -1
	v_lshlrev_b32_e64 v90, v74, 0x100000
	v_and_b32_e32 v75, v75, v5
	v_cmp_eq_u32_e64 s16, v75, v90
	v_lshrrev_b32_e32 v75, v74, v5
	v_add_nc_u32_e32 v5, 0xffffff91, v73
	v_lshrrev_b32_e32 v73, 23, v75
	v_cndmask_b32_e64 v5, v5, 0xffffff92, vcc_lo
	v_xor_b32_e32 v73, 1, v73
	v_add_nc_u32_e32 v5, v74, v5
	v_bfe_u32 v74, v75, 21, 1
	v_add_nc_u32_e32 v74, -1, v74
	v_cndmask_b32_e64 v74, 0, v74, s16
	s_mov_b32 s16, exec_lo
	v_add_nc_u32_e32 v74, v74, v75
	v_and_b32_e32 v74, 0x1fffff, v74
	v_add_nc_u32_e32 v74, v74, v75
                                        ; implicit-def: $vgpr75
	v_cmpx_ne_u32_e64 v5, v73
	s_xor_b32 s16, exec_lo, s16
; %bb.5141:                             ;   in Loop: Header=BB6_3222 Depth=4
	v_cmp_lt_u32_e32 vcc_lo, 0xffffff, v74
	v_sub_nc_u32_e32 v5, v5, v73
	v_cndmask_b32_e64 v73, 0, 1, vcc_lo
	v_add_co_ci_u32_e64 v75, null, 0, v5, vcc_lo
	v_lshrrev_b32_e32 v74, v73, v74
; %bb.5142:                             ;   in Loop: Header=BB6_3222 Depth=4
	s_andn2_saveexec_b32 s16, s16
; %bb.5143:                             ;   in Loop: Header=BB6_3222 Depth=4
	v_bfe_u32 v75, v74, 23, 1
; %bb.5144:                             ;   in Loop: Header=BB6_3222 Depth=4
	s_or_b32 exec_lo, exec_lo, s16
	v_and_b32_sdwa v5, v72, v117 dst_sel:DWORD dst_unused:UNUSED_PAD src0_sel:BYTE_3 src1_sel:DWORD
	v_lshrrev_b32_e32 v72, 21, v74
	v_min_i32_e32 v73, 31, v75
	v_cmp_gt_i32_e32 vcc_lo, 32, v75
	v_lshlrev_b32_e32 v73, 2, v73
	v_cndmask_b32_e32 v72, 3, v72, vcc_lo
	v_and_b32_e32 v73, 0xfc, v73
	v_or_b32_e32 v74, v75, v72
	v_and_b32_e32 v72, 3, v72
	v_cmp_ne_u32_e32 vcc_lo, 0, v74
	v_or3_b32 v5, v73, v5, v72
	v_cndmask_b32_e32 v5, 0, v5, vcc_lo
.LBB6_5145:                             ;   in Loop: Header=BB6_3222 Depth=4
	s_or_b32 exec_lo, exec_lo, s73
.LBB6_5146:                             ;   in Loop: Header=BB6_3222 Depth=4
	s_or_b32 exec_lo, exec_lo, s72
	v_cmp_gt_i16_sdwa s72, v45, v116 src0_sel:BYTE_3 src1_sel:DWORD
	s_mov_b32 s16, 0
	s_and_saveexec_b32 s73, s72
	s_xor_b32 s72, exec_lo, s73
	s_cbranch_execz .LBB6_5736
; %bb.5147:                             ;   in Loop: Header=BB6_3222 Depth=4
	v_cmp_eq_u16_sdwa s74, v45, v117 src0_sel:BYTE_3 src1_sel:DWORD
	s_mov_b32 s16, -1
	s_and_saveexec_b32 s73, s74
; %bb.5148:                             ;   in Loop: Header=BB6_3222 Depth=4
	s_xor_b32 s16, exec_lo, -1
; %bb.5149:                             ;   in Loop: Header=BB6_3222 Depth=4
	s_or_b32 exec_lo, exec_lo, s73
	s_and_b32 s16, s16, exec_lo
	s_or_saveexec_b32 s72, s72
	v_mov_b32_e32 v72, 0x7f800001
	s_xor_b32 exec_lo, exec_lo, s72
	s_cbranch_execnz .LBB6_5737
.LBB6_5150:                             ;   in Loop: Header=BB6_3222 Depth=4
	s_or_b32 exec_lo, exec_lo, s72
	s_and_saveexec_b32 s72, s16
	s_cbranch_execz .LBB6_5152
.LBB6_5151:                             ;   in Loop: Header=BB6_3222 Depth=4
	v_bfe_u32 v72, v45, 24, 2
	v_bfe_u32 v75, v45, 26, 5
	v_ffbh_u32_e32 v73, v72
	v_cmp_eq_u32_e32 vcc_lo, 0, v75
	v_min_u32_e32 v73, 32, v73
	v_subrev_nc_u32_e32 v74, 29, v73
	v_sub_nc_u32_e32 v73, 30, v73
	v_lshlrev_b32_sdwa v74, v74, v45 dst_sel:DWORD dst_unused:UNUSED_PAD src0_sel:DWORD src1_sel:BYTE_3
	v_cndmask_b32_e32 v73, v75, v73, vcc_lo
	v_and_b32_e32 v45, 0x80000000, v45
	v_and_b32_e32 v74, 3, v74
	v_lshl_add_u32 v73, v73, 23, 0x37800000
	v_cndmask_b32_e32 v72, v72, v74, vcc_lo
	v_lshlrev_b32_e32 v72, 21, v72
	v_or3_b32 v72, v45, v73, v72
.LBB6_5152:                             ;   in Loop: Header=BB6_3222 Depth=4
	s_or_b32 exec_lo, exec_lo, s72
	v_cmp_gt_i16_sdwa s72, v8, v116 src0_sel:BYTE_3 src1_sel:DWORD
	s_mov_b32 s16, 0
	s_and_saveexec_b32 s73, s72
	s_xor_b32 s72, exec_lo, s73
	s_cbranch_execz .LBB6_5738
; %bb.5153:                             ;   in Loop: Header=BB6_3222 Depth=4
	v_cmp_eq_u16_sdwa s74, v8, v117 src0_sel:BYTE_3 src1_sel:DWORD
	s_mov_b32 s16, -1
	s_and_saveexec_b32 s73, s74
; %bb.5154:                             ;   in Loop: Header=BB6_3222 Depth=4
	s_xor_b32 s16, exec_lo, -1
; %bb.5155:                             ;   in Loop: Header=BB6_3222 Depth=4
	s_or_b32 exec_lo, exec_lo, s73
	s_and_b32 s16, s16, exec_lo
	s_or_saveexec_b32 s72, s72
	v_mov_b32_e32 v45, 0x7f800001
	s_xor_b32 exec_lo, exec_lo, s72
	s_cbranch_execnz .LBB6_5739
.LBB6_5156:                             ;   in Loop: Header=BB6_3222 Depth=4
	s_or_b32 exec_lo, exec_lo, s72
	s_and_saveexec_b32 s72, s16
	s_cbranch_execz .LBB6_5158
.LBB6_5157:                             ;   in Loop: Header=BB6_3222 Depth=4
	v_bfe_u32 v45, v8, 24, 2
	v_bfe_u32 v75, v8, 26, 5
	v_ffbh_u32_e32 v73, v45
	v_cmp_eq_u32_e32 vcc_lo, 0, v75
	v_min_u32_e32 v73, 32, v73
	v_subrev_nc_u32_e32 v74, 29, v73
	v_sub_nc_u32_e32 v73, 30, v73
	v_lshlrev_b32_sdwa v74, v74, v8 dst_sel:DWORD dst_unused:UNUSED_PAD src0_sel:DWORD src1_sel:BYTE_3
	v_cndmask_b32_e32 v73, v75, v73, vcc_lo
	v_and_b32_e32 v8, 0x80000000, v8
	v_and_b32_e32 v74, 3, v74
	v_lshl_add_u32 v73, v73, 23, 0x37800000
	v_cndmask_b32_e32 v45, v45, v74, vcc_lo
	v_lshlrev_b32_e32 v45, 21, v45
	v_or3_b32 v45, v8, v73, v45
.LBB6_5158:                             ;   in Loop: Header=BB6_3222 Depth=4
	s_or_b32 exec_lo, exec_lo, s72
	v_add_f32_e32 v45, v72, v45
	v_and_b32_e32 v8, 0x7f800000, v45
	v_cmp_ne_u32_e32 vcc_lo, 0x7f800000, v8
	v_mov_b32_e32 v8, 0x8000
	s_and_saveexec_b32 s72, vcc_lo
	s_cbranch_execz .LBB6_5166
; %bb.5159:                             ;   in Loop: Header=BB6_3222 Depth=4
	v_mov_b32_e32 v8, 0
	s_mov_b32 s73, exec_lo
	v_cmpx_ne_u32_e32 0, v45
	s_cbranch_execz .LBB6_5165
; %bb.5160:                             ;   in Loop: Header=BB6_3222 Depth=4
	v_bfe_u32 v72, v45, 23, 8
	v_and_b32_e32 v8, 0x7fffff, v45
	v_cmp_gt_u32_e64 s16, 0x71, v72
	v_sub_nc_u32_e32 v73, 0x70, v72
	v_cmp_eq_u32_e32 vcc_lo, 0, v72
	v_or_b32_e32 v74, 0x800000, v8
	v_cndmask_b32_e64 v73, 0, v73, s16
	v_cndmask_b32_e32 v8, v74, v8, vcc_lo
	v_cndmask_b32_e64 v73, v73, 0x6f, vcc_lo
	v_lshl_add_u32 v74, 0x200000, v73, -1
	v_lshlrev_b32_e64 v75, v73, 0x100000
	v_and_b32_e32 v74, v74, v8
	v_cmp_eq_u32_e64 s16, v74, v75
	v_lshrrev_b32_e32 v74, v73, v8
	v_add_nc_u32_e32 v8, 0xffffff91, v72
	v_lshrrev_b32_e32 v72, 23, v74
	v_cndmask_b32_e64 v8, v8, 0xffffff92, vcc_lo
	v_xor_b32_e32 v72, 1, v72
	v_add_nc_u32_e32 v8, v73, v8
	v_bfe_u32 v73, v74, 21, 1
	v_add_nc_u32_e32 v73, -1, v73
	v_cndmask_b32_e64 v73, 0, v73, s16
	s_mov_b32 s16, exec_lo
	v_add_nc_u32_e32 v73, v73, v74
	v_and_b32_e32 v73, 0x1fffff, v73
	v_add_nc_u32_e32 v73, v73, v74
                                        ; implicit-def: $vgpr74
	v_cmpx_ne_u32_e64 v8, v72
	s_xor_b32 s16, exec_lo, s16
; %bb.5161:                             ;   in Loop: Header=BB6_3222 Depth=4
	v_cmp_lt_u32_e32 vcc_lo, 0xffffff, v73
	v_sub_nc_u32_e32 v8, v8, v72
	v_cndmask_b32_e64 v72, 0, 1, vcc_lo
	v_add_co_ci_u32_e64 v74, null, 0, v8, vcc_lo
	v_lshrrev_b32_e32 v73, v72, v73
; %bb.5162:                             ;   in Loop: Header=BB6_3222 Depth=4
	s_andn2_saveexec_b32 s16, s16
; %bb.5163:                             ;   in Loop: Header=BB6_3222 Depth=4
	v_bfe_u32 v74, v73, 23, 1
; %bb.5164:                             ;   in Loop: Header=BB6_3222 Depth=4
	s_or_b32 exec_lo, exec_lo, s16
	v_and_b32_sdwa v8, v45, v117 dst_sel:DWORD dst_unused:UNUSED_PAD src0_sel:BYTE_3 src1_sel:DWORD
	v_lshrrev_b32_e32 v45, 21, v73
	v_min_i32_e32 v72, 31, v74
	v_cmp_gt_i32_e32 vcc_lo, 32, v74
	v_lshlrev_b32_e32 v72, 2, v72
	v_cndmask_b32_e32 v45, 3, v45, vcc_lo
	v_and_b32_e32 v72, 0xfc, v72
	v_or_b32_e32 v73, v74, v45
	v_and_b32_e32 v45, 3, v45
	v_cmp_ne_u32_e32 vcc_lo, 0, v73
	v_or3_b32 v8, v8, v72, v45
	v_lshlrev_b32_e32 v8, 8, v8
	v_cndmask_b32_e32 v8, 0, v8, vcc_lo
.LBB6_5165:                             ;   in Loop: Header=BB6_3222 Depth=4
	s_or_b32 exec_lo, exec_lo, s73
.LBB6_5166:                             ;   in Loop: Header=BB6_3222 Depth=4
	s_or_b32 exec_lo, exec_lo, s72
	v_or_b32_e32 v73, v89, v88
	s_mov_b32 s72, 0
	v_cmp_gt_i16_sdwa s16, v73, v116 src0_sel:BYTE_0 src1_sel:DWORD
	s_and_saveexec_b32 s73, s16
	s_xor_b32 s16, exec_lo, s73
	s_cbranch_execz .LBB6_5740
; %bb.5167:                             ;   in Loop: Header=BB6_3222 Depth=4
	v_cmp_eq_u16_sdwa s74, v73, v117 src0_sel:BYTE_0 src1_sel:DWORD
	s_mov_b32 s72, -1
	s_and_saveexec_b32 s73, s74
; %bb.5168:                             ;   in Loop: Header=BB6_3222 Depth=4
	s_xor_b32 s72, exec_lo, -1
; %bb.5169:                             ;   in Loop: Header=BB6_3222 Depth=4
	s_or_b32 exec_lo, exec_lo, s73
	s_and_b32 s72, s72, exec_lo
	s_or_saveexec_b32 s16, s16
	v_mov_b32_e32 v45, 0x7f800001
	s_xor_b32 exec_lo, exec_lo, s16
	s_cbranch_execnz .LBB6_5741
.LBB6_5170:                             ;   in Loop: Header=BB6_3222 Depth=4
	s_or_b32 exec_lo, exec_lo, s16
	s_and_saveexec_b32 s16, s72
	s_cbranch_execz .LBB6_5172
.LBB6_5171:                             ;   in Loop: Header=BB6_3222 Depth=4
	v_and_b32_e32 v45, 3, v73
	v_bfe_u32 v72, v73, 2, 5
	v_ffbh_u32_e32 v74, v45
	v_cmp_eq_u32_e32 vcc_lo, 0, v72
	v_min_u32_e32 v74, 32, v74
	v_subrev_nc_u32_e32 v75, 29, v74
	v_sub_nc_u32_e32 v74, 30, v74
	v_lshlrev_b32_e32 v75, v75, v73
	v_cndmask_b32_e32 v72, v72, v74, vcc_lo
	v_lshlrev_b32_e32 v74, 24, v73
	v_and_b32_e32 v75, 3, v75
	v_lshl_add_u32 v72, v72, 23, 0x37800000
	v_and_b32_e32 v74, 0x80000000, v74
	v_cndmask_b32_e32 v45, v45, v75, vcc_lo
	v_lshlrev_b32_e32 v45, 21, v45
	v_or3_b32 v45, v74, v72, v45
.LBB6_5172:                             ;   in Loop: Header=BB6_3222 Depth=4
	s_or_b32 exec_lo, exec_lo, s16
	v_cmp_gt_i16_sdwa s16, v9, v116 src0_sel:BYTE_0 src1_sel:DWORD
	s_mov_b32 s72, 0
	s_and_saveexec_b32 s73, s16
	s_xor_b32 s16, exec_lo, s73
	s_cbranch_execz .LBB6_5742
; %bb.5173:                             ;   in Loop: Header=BB6_3222 Depth=4
	v_cmp_eq_u16_sdwa s74, v9, v117 src0_sel:BYTE_0 src1_sel:DWORD
	s_mov_b32 s72, -1
	s_and_saveexec_b32 s73, s74
; %bb.5174:                             ;   in Loop: Header=BB6_3222 Depth=4
	s_xor_b32 s72, exec_lo, -1
; %bb.5175:                             ;   in Loop: Header=BB6_3222 Depth=4
	s_or_b32 exec_lo, exec_lo, s73
	s_and_b32 s72, s72, exec_lo
	s_or_saveexec_b32 s16, s16
	v_mov_b32_e32 v72, 0x7f800001
	s_xor_b32 exec_lo, exec_lo, s16
	s_cbranch_execnz .LBB6_5743
.LBB6_5176:                             ;   in Loop: Header=BB6_3222 Depth=4
	s_or_b32 exec_lo, exec_lo, s16
	s_and_saveexec_b32 s16, s72
	s_cbranch_execz .LBB6_5178
.LBB6_5177:                             ;   in Loop: Header=BB6_3222 Depth=4
	v_and_b32_e32 v72, 3, v9
	v_bfe_u32 v74, v9, 2, 5
	v_ffbh_u32_e32 v75, v72
	v_cmp_eq_u32_e32 vcc_lo, 0, v74
	v_min_u32_e32 v75, 32, v75
	v_subrev_nc_u32_e32 v88, 29, v75
	v_sub_nc_u32_e32 v75, 30, v75
	v_lshlrev_b32_e32 v88, v88, v9
	v_cndmask_b32_e32 v74, v74, v75, vcc_lo
	v_lshlrev_b32_e32 v75, 24, v9
	v_and_b32_e32 v88, 3, v88
	v_lshl_add_u32 v74, v74, 23, 0x37800000
	v_and_b32_e32 v75, 0x80000000, v75
	v_cndmask_b32_e32 v72, v72, v88, vcc_lo
	v_lshlrev_b32_e32 v72, 21, v72
	v_or3_b32 v72, v75, v74, v72
.LBB6_5178:                             ;   in Loop: Header=BB6_3222 Depth=4
	s_or_b32 exec_lo, exec_lo, s16
	v_add_f32_e32 v72, v45, v72
	v_and_b32_e32 v45, 0x7f800000, v72
	v_cmp_ne_u32_e32 vcc_lo, 0x7f800000, v45
	v_mov_b32_e32 v45, 0x80
	s_and_saveexec_b32 s72, vcc_lo
	s_cbranch_execz .LBB6_5186
; %bb.5179:                             ;   in Loop: Header=BB6_3222 Depth=4
	v_mov_b32_e32 v45, 0
	s_mov_b32 s73, exec_lo
	v_cmpx_ne_u32_e32 0, v72
	s_cbranch_execz .LBB6_5185
; %bb.5180:                             ;   in Loop: Header=BB6_3222 Depth=4
	v_bfe_u32 v74, v72, 23, 8
	v_and_b32_e32 v45, 0x7fffff, v72
	v_cmp_gt_u32_e64 s16, 0x71, v74
	v_sub_nc_u32_e32 v75, 0x70, v74
	v_cmp_eq_u32_e32 vcc_lo, 0, v74
	v_or_b32_e32 v88, 0x800000, v45
	v_cndmask_b32_e64 v75, 0, v75, s16
	v_cndmask_b32_e32 v45, v88, v45, vcc_lo
	v_cndmask_b32_e64 v75, v75, 0x6f, vcc_lo
	v_lshl_add_u32 v88, 0x200000, v75, -1
	v_lshlrev_b32_e64 v89, v75, 0x100000
	v_and_b32_e32 v88, v88, v45
	v_cmp_eq_u32_e64 s16, v88, v89
	v_lshrrev_b32_e32 v88, v75, v45
	v_add_nc_u32_e32 v45, 0xffffff91, v74
	v_lshrrev_b32_e32 v74, 23, v88
	v_cndmask_b32_e64 v45, v45, 0xffffff92, vcc_lo
	v_xor_b32_e32 v74, 1, v74
	v_add_nc_u32_e32 v45, v75, v45
	v_bfe_u32 v75, v88, 21, 1
	v_add_nc_u32_e32 v75, -1, v75
	v_cndmask_b32_e64 v75, 0, v75, s16
	s_mov_b32 s16, exec_lo
	v_add_nc_u32_e32 v75, v75, v88
	v_and_b32_e32 v75, 0x1fffff, v75
	v_add_nc_u32_e32 v75, v75, v88
                                        ; implicit-def: $vgpr88
	v_cmpx_ne_u32_e64 v45, v74
	s_xor_b32 s16, exec_lo, s16
; %bb.5181:                             ;   in Loop: Header=BB6_3222 Depth=4
	v_cmp_lt_u32_e32 vcc_lo, 0xffffff, v75
	v_sub_nc_u32_e32 v45, v45, v74
	v_cndmask_b32_e64 v74, 0, 1, vcc_lo
	v_add_co_ci_u32_e64 v88, null, 0, v45, vcc_lo
	v_lshrrev_b32_e32 v75, v74, v75
; %bb.5182:                             ;   in Loop: Header=BB6_3222 Depth=4
	s_andn2_saveexec_b32 s16, s16
; %bb.5183:                             ;   in Loop: Header=BB6_3222 Depth=4
	v_bfe_u32 v88, v75, 23, 1
; %bb.5184:                             ;   in Loop: Header=BB6_3222 Depth=4
	s_or_b32 exec_lo, exec_lo, s16
	v_and_b32_sdwa v45, v72, v117 dst_sel:DWORD dst_unused:UNUSED_PAD src0_sel:BYTE_3 src1_sel:DWORD
	v_lshrrev_b32_e32 v72, 21, v75
	v_min_i32_e32 v74, 31, v88
	v_cmp_gt_i32_e32 vcc_lo, 32, v88
	v_lshlrev_b32_e32 v74, 2, v74
	v_cndmask_b32_e32 v72, 3, v72, vcc_lo
	v_and_b32_e32 v74, 0xfc, v74
	v_or_b32_e32 v75, v88, v72
	v_and_b32_e32 v72, 3, v72
	v_cmp_ne_u32_e32 vcc_lo, 0, v75
	v_or3_b32 v45, v74, v45, v72
	v_cndmask_b32_e32 v45, 0, v45, vcc_lo
.LBB6_5185:                             ;   in Loop: Header=BB6_3222 Depth=4
	s_or_b32 exec_lo, exec_lo, s73
.LBB6_5186:                             ;   in Loop: Header=BB6_3222 Depth=4
	s_or_b32 exec_lo, exec_lo, s72
	v_cmp_gt_i16_sdwa s72, v73, v116 src0_sel:BYTE_1 src1_sel:DWORD
	s_mov_b32 s16, 0
	s_and_saveexec_b32 s73, s72
	s_xor_b32 s72, exec_lo, s73
	s_cbranch_execz .LBB6_5744
; %bb.5187:                             ;   in Loop: Header=BB6_3222 Depth=4
	v_cmp_eq_u16_sdwa s74, v73, v117 src0_sel:BYTE_1 src1_sel:DWORD
	s_mov_b32 s16, -1
	s_and_saveexec_b32 s73, s74
; %bb.5188:                             ;   in Loop: Header=BB6_3222 Depth=4
	s_xor_b32 s16, exec_lo, -1
; %bb.5189:                             ;   in Loop: Header=BB6_3222 Depth=4
	s_or_b32 exec_lo, exec_lo, s73
	s_and_b32 s16, s16, exec_lo
	s_or_saveexec_b32 s72, s72
	v_mov_b32_e32 v72, 0x7f800001
	s_xor_b32 exec_lo, exec_lo, s72
	s_cbranch_execnz .LBB6_5745
.LBB6_5190:                             ;   in Loop: Header=BB6_3222 Depth=4
	s_or_b32 exec_lo, exec_lo, s72
	s_and_saveexec_b32 s72, s16
	s_cbranch_execz .LBB6_5192
.LBB6_5191:                             ;   in Loop: Header=BB6_3222 Depth=4
	v_and_b32_sdwa v72, v118, v73 dst_sel:DWORD dst_unused:UNUSED_PAD src0_sel:DWORD src1_sel:BYTE_1
	v_and_b32_e32 v74, 3, v72
	v_bfe_u32 v89, v72, 2, 5
	v_ffbh_u32_e32 v75, v74
	v_cmp_eq_u32_e32 vcc_lo, 0, v89
	v_min_u32_e32 v75, 32, v75
	v_subrev_nc_u32_e32 v88, 29, v75
	v_sub_nc_u32_e32 v75, 30, v75
	v_lshlrev_b32_e32 v72, v88, v72
	v_lshlrev_b32_sdwa v88, v119, v73 dst_sel:DWORD dst_unused:UNUSED_PAD src0_sel:DWORD src1_sel:BYTE_1
	v_cndmask_b32_e32 v75, v89, v75, vcc_lo
	v_and_b32_e32 v72, 3, v72
	v_lshl_add_u32 v75, v75, 23, 0x37800000
	v_cndmask_b32_e32 v72, v74, v72, vcc_lo
	v_and_b32_e32 v74, 0x80000000, v88
	v_lshlrev_b32_e32 v72, 21, v72
	v_or3_b32 v72, v74, v75, v72
.LBB6_5192:                             ;   in Loop: Header=BB6_3222 Depth=4
	s_or_b32 exec_lo, exec_lo, s72
	v_cmp_gt_i16_sdwa s72, v9, v116 src0_sel:BYTE_1 src1_sel:DWORD
	s_mov_b32 s16, 0
	s_and_saveexec_b32 s73, s72
	s_xor_b32 s72, exec_lo, s73
	s_cbranch_execz .LBB6_5746
; %bb.5193:                             ;   in Loop: Header=BB6_3222 Depth=4
	v_cmp_eq_u16_sdwa s74, v9, v117 src0_sel:BYTE_1 src1_sel:DWORD
	s_mov_b32 s16, -1
	s_and_saveexec_b32 s73, s74
; %bb.5194:                             ;   in Loop: Header=BB6_3222 Depth=4
	s_xor_b32 s16, exec_lo, -1
; %bb.5195:                             ;   in Loop: Header=BB6_3222 Depth=4
	s_or_b32 exec_lo, exec_lo, s73
	s_and_b32 s16, s16, exec_lo
	s_or_saveexec_b32 s72, s72
	v_mov_b32_e32 v74, 0x7f800001
	s_xor_b32 exec_lo, exec_lo, s72
	s_cbranch_execnz .LBB6_5747
.LBB6_5196:                             ;   in Loop: Header=BB6_3222 Depth=4
	s_or_b32 exec_lo, exec_lo, s72
	s_and_saveexec_b32 s72, s16
	s_cbranch_execz .LBB6_5198
.LBB6_5197:                             ;   in Loop: Header=BB6_3222 Depth=4
	v_and_b32_sdwa v74, v118, v9 dst_sel:DWORD dst_unused:UNUSED_PAD src0_sel:DWORD src1_sel:BYTE_1
	v_and_b32_e32 v75, 3, v74
	v_bfe_u32 v90, v74, 2, 5
	v_ffbh_u32_e32 v88, v75
	v_cmp_eq_u32_e32 vcc_lo, 0, v90
	v_min_u32_e32 v88, 32, v88
	v_subrev_nc_u32_e32 v89, 29, v88
	v_sub_nc_u32_e32 v88, 30, v88
	v_lshlrev_b32_e32 v74, v89, v74
	v_lshlrev_b32_sdwa v89, v119, v9 dst_sel:DWORD dst_unused:UNUSED_PAD src0_sel:DWORD src1_sel:BYTE_1
	v_cndmask_b32_e32 v88, v90, v88, vcc_lo
	v_and_b32_e32 v74, 3, v74
	v_lshl_add_u32 v88, v88, 23, 0x37800000
	v_cndmask_b32_e32 v74, v75, v74, vcc_lo
	v_and_b32_e32 v75, 0x80000000, v89
	v_lshlrev_b32_e32 v74, 21, v74
	v_or3_b32 v74, v75, v88, v74
.LBB6_5198:                             ;   in Loop: Header=BB6_3222 Depth=4
	s_or_b32 exec_lo, exec_lo, s72
	v_add_f32_e32 v74, v72, v74
	v_and_b32_e32 v72, 0x7f800000, v74
	v_cmp_ne_u32_e32 vcc_lo, 0x7f800000, v72
	v_mov_b32_e32 v72, 0x8000
	s_and_saveexec_b32 s72, vcc_lo
	s_cbranch_execz .LBB6_5206
; %bb.5199:                             ;   in Loop: Header=BB6_3222 Depth=4
	v_mov_b32_e32 v72, 0
	s_mov_b32 s73, exec_lo
	v_cmpx_ne_u32_e32 0, v74
	s_cbranch_execz .LBB6_5205
; %bb.5200:                             ;   in Loop: Header=BB6_3222 Depth=4
	v_bfe_u32 v75, v74, 23, 8
	v_and_b32_e32 v72, 0x7fffff, v74
	v_cmp_gt_u32_e64 s16, 0x71, v75
	v_sub_nc_u32_e32 v88, 0x70, v75
	v_cmp_eq_u32_e32 vcc_lo, 0, v75
	v_or_b32_e32 v89, 0x800000, v72
	v_cndmask_b32_e64 v88, 0, v88, s16
	v_cndmask_b32_e32 v72, v89, v72, vcc_lo
	v_cndmask_b32_e64 v88, v88, 0x6f, vcc_lo
	v_lshl_add_u32 v89, 0x200000, v88, -1
	v_lshlrev_b32_e64 v90, v88, 0x100000
	v_and_b32_e32 v89, v89, v72
	v_cmp_eq_u32_e64 s16, v89, v90
	v_lshrrev_b32_e32 v89, v88, v72
	v_add_nc_u32_e32 v72, 0xffffff91, v75
	v_lshrrev_b32_e32 v75, 23, v89
	v_cndmask_b32_e64 v72, v72, 0xffffff92, vcc_lo
	v_xor_b32_e32 v75, 1, v75
	v_add_nc_u32_e32 v72, v88, v72
	v_bfe_u32 v88, v89, 21, 1
	v_add_nc_u32_e32 v88, -1, v88
	v_cndmask_b32_e64 v88, 0, v88, s16
	s_mov_b32 s16, exec_lo
	v_add_nc_u32_e32 v88, v88, v89
	v_and_b32_e32 v88, 0x1fffff, v88
	v_add_nc_u32_e32 v88, v88, v89
                                        ; implicit-def: $vgpr89
	v_cmpx_ne_u32_e64 v72, v75
	s_xor_b32 s16, exec_lo, s16
; %bb.5201:                             ;   in Loop: Header=BB6_3222 Depth=4
	v_cmp_lt_u32_e32 vcc_lo, 0xffffff, v88
	v_sub_nc_u32_e32 v72, v72, v75
	v_cndmask_b32_e64 v75, 0, 1, vcc_lo
	v_add_co_ci_u32_e64 v89, null, 0, v72, vcc_lo
	v_lshrrev_b32_e32 v88, v75, v88
; %bb.5202:                             ;   in Loop: Header=BB6_3222 Depth=4
	s_andn2_saveexec_b32 s16, s16
; %bb.5203:                             ;   in Loop: Header=BB6_3222 Depth=4
	v_bfe_u32 v89, v88, 23, 1
; %bb.5204:                             ;   in Loop: Header=BB6_3222 Depth=4
	s_or_b32 exec_lo, exec_lo, s16
	v_and_b32_sdwa v72, v74, v117 dst_sel:DWORD dst_unused:UNUSED_PAD src0_sel:BYTE_3 src1_sel:DWORD
	v_lshrrev_b32_e32 v74, 21, v88
	v_min_i32_e32 v75, 31, v89
	v_cmp_gt_i32_e32 vcc_lo, 32, v89
	v_lshlrev_b32_e32 v75, 2, v75
	v_cndmask_b32_e32 v74, 3, v74, vcc_lo
	v_and_b32_e32 v75, 0xfc, v75
	v_or_b32_e32 v88, v89, v74
	v_and_b32_e32 v74, 3, v74
	v_cmp_ne_u32_e32 vcc_lo, 0, v88
	v_or3_b32 v72, v72, v75, v74
	v_lshlrev_b32_e32 v72, 8, v72
	v_cndmask_b32_e32 v72, 0, v72, vcc_lo
.LBB6_5205:                             ;   in Loop: Header=BB6_3222 Depth=4
	s_or_b32 exec_lo, exec_lo, s73
.LBB6_5206:                             ;   in Loop: Header=BB6_3222 Depth=4
	s_or_b32 exec_lo, exec_lo, s72
	v_or_b32_e32 v74, v4, v78
	s_mov_b32 s72, 0
	v_cmp_gt_i16_sdwa s16, v74, v116 src0_sel:BYTE_0 src1_sel:DWORD
	s_and_saveexec_b32 s73, s16
	s_xor_b32 s16, exec_lo, s73
	s_cbranch_execz .LBB6_5748
; %bb.5207:                             ;   in Loop: Header=BB6_3222 Depth=4
	v_cmp_eq_u16_sdwa s74, v74, v117 src0_sel:BYTE_0 src1_sel:DWORD
	s_mov_b32 s72, -1
	s_and_saveexec_b32 s73, s74
; %bb.5208:                             ;   in Loop: Header=BB6_3222 Depth=4
	s_xor_b32 s72, exec_lo, -1
; %bb.5209:                             ;   in Loop: Header=BB6_3222 Depth=4
	s_or_b32 exec_lo, exec_lo, s73
	s_and_b32 s72, s72, exec_lo
	s_or_saveexec_b32 s16, s16
	v_mov_b32_e32 v4, 0x7f800001
	s_xor_b32 exec_lo, exec_lo, s16
	s_cbranch_execnz .LBB6_5749
.LBB6_5210:                             ;   in Loop: Header=BB6_3222 Depth=4
	s_or_b32 exec_lo, exec_lo, s16
	v_lshl_or_b32 v73, v74, 16, v73
	s_and_saveexec_b32 s16, s72
	s_cbranch_execz .LBB6_5212
.LBB6_5211:                             ;   in Loop: Header=BB6_3222 Depth=4
	v_bfe_u32 v4, v73, 16, 2
	v_bfe_u32 v74, v73, 18, 5
	v_ffbh_u32_e32 v75, v4
	v_cmp_eq_u32_e32 vcc_lo, 0, v74
	v_min_u32_e32 v75, 32, v75
	v_subrev_nc_u32_e32 v78, 29, v75
	v_sub_nc_u32_e32 v75, 30, v75
	v_lshlrev_b32_sdwa v78, v78, v73 dst_sel:DWORD dst_unused:UNUSED_PAD src0_sel:DWORD src1_sel:WORD_1
	v_cndmask_b32_e32 v74, v74, v75, vcc_lo
	v_lshlrev_b32_e32 v75, 8, v73
	v_and_b32_e32 v78, 3, v78
	v_lshl_add_u32 v74, v74, 23, 0x37800000
	v_and_b32_e32 v75, 0x80000000, v75
	v_cndmask_b32_e32 v4, v4, v78, vcc_lo
	v_lshlrev_b32_e32 v4, 21, v4
	v_or3_b32 v4, v75, v74, v4
.LBB6_5212:                             ;   in Loop: Header=BB6_3222 Depth=4
	s_or_b32 exec_lo, exec_lo, s16
	v_and_b32_sdwa v75, v9, v40 dst_sel:DWORD dst_unused:UNUSED_PAD src0_sel:WORD_1 src1_sel:DWORD
	s_mov_b32 s72, 0
	s_mov_b32 s16, exec_lo
	v_cmpx_lt_i16_e32 0x7f, v75
	s_xor_b32 s16, exec_lo, s16
	s_cbranch_execz .LBB6_5750
; %bb.5213:                             ;   in Loop: Header=BB6_3222 Depth=4
	s_mov_b32 s72, -1
	s_mov_b32 s73, exec_lo
	v_cmpx_eq_u16_e32 0x80, v75
; %bb.5214:                             ;   in Loop: Header=BB6_3222 Depth=4
	s_xor_b32 s72, exec_lo, -1
; %bb.5215:                             ;   in Loop: Header=BB6_3222 Depth=4
	s_or_b32 exec_lo, exec_lo, s73
	s_and_b32 s72, s72, exec_lo
                                        ; implicit-def: $vgpr75
	s_or_saveexec_b32 s16, s16
	v_mov_b32_e32 v74, 0x7f800001
	s_xor_b32 exec_lo, exec_lo, s16
	s_cbranch_execnz .LBB6_5751
.LBB6_5216:                             ;   in Loop: Header=BB6_3222 Depth=4
	s_or_b32 exec_lo, exec_lo, s16
	s_and_saveexec_b32 s16, s72
	s_cbranch_execz .LBB6_5218
.LBB6_5217:                             ;   in Loop: Header=BB6_3222 Depth=4
	v_bfe_u32 v74, v9, 16, 2
	v_bfe_u32 v75, v9, 18, 5
	v_ffbh_u32_e32 v78, v74
	v_cmp_eq_u32_e32 vcc_lo, 0, v75
	v_min_u32_e32 v78, 32, v78
	v_subrev_nc_u32_e32 v88, 29, v78
	v_sub_nc_u32_e32 v78, 30, v78
	v_lshlrev_b32_sdwa v88, v88, v9 dst_sel:DWORD dst_unused:UNUSED_PAD src0_sel:DWORD src1_sel:WORD_1
	v_cndmask_b32_e32 v75, v75, v78, vcc_lo
	v_lshlrev_b32_e32 v78, 8, v9
	v_and_b32_e32 v88, 3, v88
	v_lshl_add_u32 v75, v75, 23, 0x37800000
	v_and_b32_e32 v78, 0x80000000, v78
	v_cndmask_b32_e32 v74, v74, v88, vcc_lo
	v_lshlrev_b32_e32 v74, 21, v74
	v_or3_b32 v74, v78, v75, v74
.LBB6_5218:                             ;   in Loop: Header=BB6_3222 Depth=4
	s_or_b32 exec_lo, exec_lo, s16
	v_add_f32_e32 v74, v4, v74
	v_and_b32_e32 v4, 0x7f800000, v74
	v_cmp_ne_u32_e32 vcc_lo, 0x7f800000, v4
	v_mov_b32_e32 v4, 0x80
	s_and_saveexec_b32 s72, vcc_lo
	s_cbranch_execz .LBB6_5226
; %bb.5219:                             ;   in Loop: Header=BB6_3222 Depth=4
	v_mov_b32_e32 v4, 0
	s_mov_b32 s73, exec_lo
	v_cmpx_ne_u32_e32 0, v74
	s_cbranch_execz .LBB6_5225
; %bb.5220:                             ;   in Loop: Header=BB6_3222 Depth=4
	v_bfe_u32 v75, v74, 23, 8
	v_and_b32_e32 v4, 0x7fffff, v74
	v_cmp_gt_u32_e64 s16, 0x71, v75
	v_sub_nc_u32_e32 v78, 0x70, v75
	v_cmp_eq_u32_e32 vcc_lo, 0, v75
	v_or_b32_e32 v88, 0x800000, v4
	v_cndmask_b32_e64 v78, 0, v78, s16
	v_cndmask_b32_e32 v4, v88, v4, vcc_lo
	v_cndmask_b32_e64 v78, v78, 0x6f, vcc_lo
	v_lshl_add_u32 v88, 0x200000, v78, -1
	v_lshlrev_b32_e64 v89, v78, 0x100000
	v_and_b32_e32 v88, v88, v4
	v_cmp_eq_u32_e64 s16, v88, v89
	v_lshrrev_b32_e32 v88, v78, v4
	v_add_nc_u32_e32 v4, 0xffffff91, v75
	v_lshrrev_b32_e32 v75, 23, v88
	v_cndmask_b32_e64 v4, v4, 0xffffff92, vcc_lo
	v_xor_b32_e32 v75, 1, v75
	v_add_nc_u32_e32 v4, v78, v4
	v_bfe_u32 v78, v88, 21, 1
	v_add_nc_u32_e32 v78, -1, v78
	v_cndmask_b32_e64 v78, 0, v78, s16
	s_mov_b32 s16, exec_lo
	v_add_nc_u32_e32 v78, v78, v88
	v_and_b32_e32 v78, 0x1fffff, v78
	v_add_nc_u32_e32 v78, v78, v88
                                        ; implicit-def: $vgpr88
	v_cmpx_ne_u32_e64 v4, v75
	s_xor_b32 s16, exec_lo, s16
; %bb.5221:                             ;   in Loop: Header=BB6_3222 Depth=4
	v_cmp_lt_u32_e32 vcc_lo, 0xffffff, v78
	v_sub_nc_u32_e32 v4, v4, v75
	v_cndmask_b32_e64 v75, 0, 1, vcc_lo
	v_add_co_ci_u32_e64 v88, null, 0, v4, vcc_lo
	v_lshrrev_b32_e32 v78, v75, v78
; %bb.5222:                             ;   in Loop: Header=BB6_3222 Depth=4
	s_andn2_saveexec_b32 s16, s16
; %bb.5223:                             ;   in Loop: Header=BB6_3222 Depth=4
	v_bfe_u32 v88, v78, 23, 1
; %bb.5224:                             ;   in Loop: Header=BB6_3222 Depth=4
	s_or_b32 exec_lo, exec_lo, s16
	v_and_b32_sdwa v4, v74, v117 dst_sel:DWORD dst_unused:UNUSED_PAD src0_sel:BYTE_3 src1_sel:DWORD
	v_lshrrev_b32_e32 v74, 21, v78
	v_min_i32_e32 v75, 31, v88
	v_cmp_gt_i32_e32 vcc_lo, 32, v88
	v_lshlrev_b32_e32 v75, 2, v75
	v_cndmask_b32_e32 v74, 3, v74, vcc_lo
	v_and_b32_e32 v75, 0xfc, v75
	v_or_b32_e32 v78, v88, v74
	v_and_b32_e32 v74, 3, v74
	v_cmp_ne_u32_e32 vcc_lo, 0, v78
	v_or3_b32 v4, v75, v4, v74
	v_cndmask_b32_e32 v4, 0, v4, vcc_lo
.LBB6_5225:                             ;   in Loop: Header=BB6_3222 Depth=4
	s_or_b32 exec_lo, exec_lo, s73
.LBB6_5226:                             ;   in Loop: Header=BB6_3222 Depth=4
	s_or_b32 exec_lo, exec_lo, s72
	v_cmp_gt_i16_sdwa s72, v73, v116 src0_sel:BYTE_3 src1_sel:DWORD
	s_mov_b32 s16, 0
	s_and_saveexec_b32 s73, s72
	s_xor_b32 s72, exec_lo, s73
	s_cbranch_execz .LBB6_5752
; %bb.5227:                             ;   in Loop: Header=BB6_3222 Depth=4
	v_cmp_eq_u16_sdwa s74, v73, v117 src0_sel:BYTE_3 src1_sel:DWORD
	s_mov_b32 s16, -1
	s_and_saveexec_b32 s73, s74
; %bb.5228:                             ;   in Loop: Header=BB6_3222 Depth=4
	s_xor_b32 s16, exec_lo, -1
; %bb.5229:                             ;   in Loop: Header=BB6_3222 Depth=4
	s_or_b32 exec_lo, exec_lo, s73
	s_and_b32 s16, s16, exec_lo
	s_or_saveexec_b32 s72, s72
	v_mov_b32_e32 v74, 0x7f800001
	s_xor_b32 exec_lo, exec_lo, s72
	s_cbranch_execnz .LBB6_5753
.LBB6_5230:                             ;   in Loop: Header=BB6_3222 Depth=4
	s_or_b32 exec_lo, exec_lo, s72
	s_and_saveexec_b32 s72, s16
	s_cbranch_execz .LBB6_5232
.LBB6_5231:                             ;   in Loop: Header=BB6_3222 Depth=4
	v_bfe_u32 v74, v73, 24, 2
	v_bfe_u32 v88, v73, 26, 5
	v_ffbh_u32_e32 v75, v74
	v_cmp_eq_u32_e32 vcc_lo, 0, v88
	v_min_u32_e32 v75, 32, v75
	v_subrev_nc_u32_e32 v78, 29, v75
	v_sub_nc_u32_e32 v75, 30, v75
	v_lshlrev_b32_sdwa v78, v78, v73 dst_sel:DWORD dst_unused:UNUSED_PAD src0_sel:DWORD src1_sel:BYTE_3
	v_cndmask_b32_e32 v75, v88, v75, vcc_lo
	v_and_b32_e32 v73, 0x80000000, v73
	v_and_b32_e32 v78, 3, v78
	v_lshl_add_u32 v75, v75, 23, 0x37800000
	v_cndmask_b32_e32 v74, v74, v78, vcc_lo
	v_lshlrev_b32_e32 v74, 21, v74
	v_or3_b32 v74, v73, v75, v74
.LBB6_5232:                             ;   in Loop: Header=BB6_3222 Depth=4
	s_or_b32 exec_lo, exec_lo, s72
	v_cmp_gt_i16_sdwa s72, v9, v116 src0_sel:BYTE_3 src1_sel:DWORD
	s_mov_b32 s16, 0
	s_and_saveexec_b32 s73, s72
	s_xor_b32 s72, exec_lo, s73
	s_cbranch_execz .LBB6_5754
; %bb.5233:                             ;   in Loop: Header=BB6_3222 Depth=4
	v_cmp_eq_u16_sdwa s74, v9, v117 src0_sel:BYTE_3 src1_sel:DWORD
	s_mov_b32 s16, -1
	s_and_saveexec_b32 s73, s74
; %bb.5234:                             ;   in Loop: Header=BB6_3222 Depth=4
	s_xor_b32 s16, exec_lo, -1
; %bb.5235:                             ;   in Loop: Header=BB6_3222 Depth=4
	s_or_b32 exec_lo, exec_lo, s73
	s_and_b32 s16, s16, exec_lo
	s_or_saveexec_b32 s72, s72
	v_mov_b32_e32 v73, 0x7f800001
	s_xor_b32 exec_lo, exec_lo, s72
	s_cbranch_execnz .LBB6_5755
.LBB6_5236:                             ;   in Loop: Header=BB6_3222 Depth=4
	s_or_b32 exec_lo, exec_lo, s72
	s_and_saveexec_b32 s72, s16
	s_cbranch_execz .LBB6_5238
.LBB6_5237:                             ;   in Loop: Header=BB6_3222 Depth=4
	v_bfe_u32 v73, v9, 24, 2
	v_bfe_u32 v88, v9, 26, 5
	v_ffbh_u32_e32 v75, v73
	v_cmp_eq_u32_e32 vcc_lo, 0, v88
	v_min_u32_e32 v75, 32, v75
	v_subrev_nc_u32_e32 v78, 29, v75
	v_sub_nc_u32_e32 v75, 30, v75
	v_lshlrev_b32_sdwa v78, v78, v9 dst_sel:DWORD dst_unused:UNUSED_PAD src0_sel:DWORD src1_sel:BYTE_3
	v_cndmask_b32_e32 v75, v88, v75, vcc_lo
	v_and_b32_e32 v9, 0x80000000, v9
	v_and_b32_e32 v78, 3, v78
	v_lshl_add_u32 v75, v75, 23, 0x37800000
	v_cndmask_b32_e32 v73, v73, v78, vcc_lo
	v_lshlrev_b32_e32 v73, 21, v73
	v_or3_b32 v73, v9, v75, v73
.LBB6_5238:                             ;   in Loop: Header=BB6_3222 Depth=4
	s_or_b32 exec_lo, exec_lo, s72
	v_add_f32_e32 v73, v74, v73
	v_and_b32_e32 v9, 0x7f800000, v73
	v_cmp_ne_u32_e32 vcc_lo, 0x7f800000, v9
	v_mov_b32_e32 v9, 0x8000
	s_and_saveexec_b32 s72, vcc_lo
	s_cbranch_execz .LBB6_5246
; %bb.5239:                             ;   in Loop: Header=BB6_3222 Depth=4
	v_mov_b32_e32 v9, 0
	s_mov_b32 s73, exec_lo
	v_cmpx_ne_u32_e32 0, v73
	s_cbranch_execz .LBB6_5245
; %bb.5240:                             ;   in Loop: Header=BB6_3222 Depth=4
	v_bfe_u32 v74, v73, 23, 8
	v_and_b32_e32 v9, 0x7fffff, v73
	v_cmp_gt_u32_e64 s16, 0x71, v74
	v_sub_nc_u32_e32 v75, 0x70, v74
	v_cmp_eq_u32_e32 vcc_lo, 0, v74
	v_or_b32_e32 v78, 0x800000, v9
	v_cndmask_b32_e64 v75, 0, v75, s16
	v_cndmask_b32_e32 v9, v78, v9, vcc_lo
	v_cndmask_b32_e64 v75, v75, 0x6f, vcc_lo
	v_lshl_add_u32 v78, 0x200000, v75, -1
	v_lshlrev_b32_e64 v88, v75, 0x100000
	v_and_b32_e32 v78, v78, v9
	v_cmp_eq_u32_e64 s16, v78, v88
	v_lshrrev_b32_e32 v78, v75, v9
	v_add_nc_u32_e32 v9, 0xffffff91, v74
	v_lshrrev_b32_e32 v74, 23, v78
	v_cndmask_b32_e64 v9, v9, 0xffffff92, vcc_lo
	v_xor_b32_e32 v74, 1, v74
	v_add_nc_u32_e32 v9, v75, v9
	v_bfe_u32 v75, v78, 21, 1
	v_add_nc_u32_e32 v75, -1, v75
	v_cndmask_b32_e64 v75, 0, v75, s16
	s_mov_b32 s16, exec_lo
	v_add_nc_u32_e32 v75, v75, v78
	v_and_b32_e32 v75, 0x1fffff, v75
	v_add_nc_u32_e32 v75, v75, v78
                                        ; implicit-def: $vgpr78
	v_cmpx_ne_u32_e64 v9, v74
	s_xor_b32 s16, exec_lo, s16
; %bb.5241:                             ;   in Loop: Header=BB6_3222 Depth=4
	v_cmp_lt_u32_e32 vcc_lo, 0xffffff, v75
	v_sub_nc_u32_e32 v9, v9, v74
	v_cndmask_b32_e64 v74, 0, 1, vcc_lo
	v_add_co_ci_u32_e64 v78, null, 0, v9, vcc_lo
	v_lshrrev_b32_e32 v75, v74, v75
; %bb.5242:                             ;   in Loop: Header=BB6_3222 Depth=4
	s_andn2_saveexec_b32 s16, s16
; %bb.5243:                             ;   in Loop: Header=BB6_3222 Depth=4
	v_bfe_u32 v78, v75, 23, 1
; %bb.5244:                             ;   in Loop: Header=BB6_3222 Depth=4
	s_or_b32 exec_lo, exec_lo, s16
	v_and_b32_sdwa v9, v73, v117 dst_sel:DWORD dst_unused:UNUSED_PAD src0_sel:BYTE_3 src1_sel:DWORD
	v_lshrrev_b32_e32 v73, 21, v75
	v_min_i32_e32 v74, 31, v78
	v_cmp_gt_i32_e32 vcc_lo, 32, v78
	v_lshlrev_b32_e32 v74, 2, v74
	v_cndmask_b32_e32 v73, 3, v73, vcc_lo
	v_and_b32_e32 v74, 0xfc, v74
	v_or_b32_e32 v75, v78, v73
	v_and_b32_e32 v73, 3, v73
	v_cmp_ne_u32_e32 vcc_lo, 0, v75
	v_or3_b32 v9, v9, v74, v73
	v_lshlrev_b32_e32 v9, 8, v9
	v_cndmask_b32_e32 v9, 0, v9, vcc_lo
.LBB6_5245:                             ;   in Loop: Header=BB6_3222 Depth=4
	s_or_b32 exec_lo, exec_lo, s73
.LBB6_5246:                             ;   in Loop: Header=BB6_3222 Depth=4
	s_or_b32 exec_lo, exec_lo, s72
	v_or_b32_e32 v74, v79, v52
	s_mov_b32 s72, 0
	v_cmp_gt_i16_sdwa s16, v74, v116 src0_sel:BYTE_0 src1_sel:DWORD
	s_and_saveexec_b32 s73, s16
	s_xor_b32 s16, exec_lo, s73
	s_cbranch_execz .LBB6_5756
; %bb.5247:                             ;   in Loop: Header=BB6_3222 Depth=4
	v_cmp_eq_u16_sdwa s74, v74, v117 src0_sel:BYTE_0 src1_sel:DWORD
	s_mov_b32 s72, -1
	s_and_saveexec_b32 s73, s74
; %bb.5248:                             ;   in Loop: Header=BB6_3222 Depth=4
	s_xor_b32 s72, exec_lo, -1
; %bb.5249:                             ;   in Loop: Header=BB6_3222 Depth=4
	s_or_b32 exec_lo, exec_lo, s73
	s_and_b32 s72, s72, exec_lo
	s_or_saveexec_b32 s16, s16
	v_mov_b32_e32 v52, 0x7f800001
	s_xor_b32 exec_lo, exec_lo, s16
	s_cbranch_execnz .LBB6_5757
.LBB6_5250:                             ;   in Loop: Header=BB6_3222 Depth=4
	s_or_b32 exec_lo, exec_lo, s16
	s_and_saveexec_b32 s16, s72
	s_cbranch_execz .LBB6_5252
.LBB6_5251:                             ;   in Loop: Header=BB6_3222 Depth=4
	v_and_b32_e32 v52, 3, v74
	v_bfe_u32 v73, v74, 2, 5
	v_ffbh_u32_e32 v75, v52
	v_cmp_eq_u32_e32 vcc_lo, 0, v73
	v_min_u32_e32 v75, 32, v75
	v_subrev_nc_u32_e32 v78, 29, v75
	v_sub_nc_u32_e32 v75, 30, v75
	v_lshlrev_b32_e32 v78, v78, v74
	v_cndmask_b32_e32 v73, v73, v75, vcc_lo
	v_lshlrev_b32_e32 v75, 24, v74
	v_and_b32_e32 v78, 3, v78
	v_lshl_add_u32 v73, v73, 23, 0x37800000
	v_and_b32_e32 v75, 0x80000000, v75
	v_cndmask_b32_e32 v52, v52, v78, vcc_lo
	v_lshlrev_b32_e32 v52, 21, v52
	v_or3_b32 v52, v75, v73, v52
.LBB6_5252:                             ;   in Loop: Header=BB6_3222 Depth=4
	s_or_b32 exec_lo, exec_lo, s16
	v_cmp_gt_i16_sdwa s16, v10, v116 src0_sel:BYTE_0 src1_sel:DWORD
	s_mov_b32 s72, 0
	s_and_saveexec_b32 s73, s16
	s_xor_b32 s16, exec_lo, s73
	s_cbranch_execz .LBB6_5758
; %bb.5253:                             ;   in Loop: Header=BB6_3222 Depth=4
	v_cmp_eq_u16_sdwa s74, v10, v117 src0_sel:BYTE_0 src1_sel:DWORD
	s_mov_b32 s72, -1
	s_and_saveexec_b32 s73, s74
; %bb.5254:                             ;   in Loop: Header=BB6_3222 Depth=4
	s_xor_b32 s72, exec_lo, -1
; %bb.5255:                             ;   in Loop: Header=BB6_3222 Depth=4
	s_or_b32 exec_lo, exec_lo, s73
	s_and_b32 s72, s72, exec_lo
	s_or_saveexec_b32 s16, s16
	v_mov_b32_e32 v73, 0x7f800001
	s_xor_b32 exec_lo, exec_lo, s16
	s_cbranch_execnz .LBB6_5759
.LBB6_5256:                             ;   in Loop: Header=BB6_3222 Depth=4
	s_or_b32 exec_lo, exec_lo, s16
	s_and_saveexec_b32 s16, s72
	s_cbranch_execz .LBB6_5258
.LBB6_5257:                             ;   in Loop: Header=BB6_3222 Depth=4
	v_and_b32_e32 v73, 3, v10
	v_bfe_u32 v75, v10, 2, 5
	v_ffbh_u32_e32 v78, v73
	v_cmp_eq_u32_e32 vcc_lo, 0, v75
	v_min_u32_e32 v78, 32, v78
	v_subrev_nc_u32_e32 v79, 29, v78
	v_sub_nc_u32_e32 v78, 30, v78
	v_lshlrev_b32_e32 v79, v79, v10
	v_cndmask_b32_e32 v75, v75, v78, vcc_lo
	v_lshlrev_b32_e32 v78, 24, v10
	v_and_b32_e32 v79, 3, v79
	v_lshl_add_u32 v75, v75, 23, 0x37800000
	v_and_b32_e32 v78, 0x80000000, v78
	v_cndmask_b32_e32 v73, v73, v79, vcc_lo
	v_lshlrev_b32_e32 v73, 21, v73
	v_or3_b32 v73, v78, v75, v73
.LBB6_5258:                             ;   in Loop: Header=BB6_3222 Depth=4
	s_or_b32 exec_lo, exec_lo, s16
	v_add_f32_e32 v73, v52, v73
	v_and_b32_e32 v52, 0x7f800000, v73
	v_cmp_ne_u32_e32 vcc_lo, 0x7f800000, v52
	v_mov_b32_e32 v52, 0x80
	s_and_saveexec_b32 s72, vcc_lo
	s_cbranch_execz .LBB6_5266
; %bb.5259:                             ;   in Loop: Header=BB6_3222 Depth=4
	v_mov_b32_e32 v52, 0
	s_mov_b32 s73, exec_lo
	v_cmpx_ne_u32_e32 0, v73
	s_cbranch_execz .LBB6_5265
; %bb.5260:                             ;   in Loop: Header=BB6_3222 Depth=4
	v_bfe_u32 v75, v73, 23, 8
	v_and_b32_e32 v52, 0x7fffff, v73
	v_cmp_gt_u32_e64 s16, 0x71, v75
	v_sub_nc_u32_e32 v78, 0x70, v75
	v_cmp_eq_u32_e32 vcc_lo, 0, v75
	v_or_b32_e32 v79, 0x800000, v52
	v_cndmask_b32_e64 v78, 0, v78, s16
	v_cndmask_b32_e32 v52, v79, v52, vcc_lo
	v_cndmask_b32_e64 v78, v78, 0x6f, vcc_lo
	v_lshl_add_u32 v79, 0x200000, v78, -1
	v_lshlrev_b32_e64 v88, v78, 0x100000
	v_and_b32_e32 v79, v79, v52
	v_cmp_eq_u32_e64 s16, v79, v88
	v_lshrrev_b32_e32 v79, v78, v52
	v_add_nc_u32_e32 v52, 0xffffff91, v75
	v_lshrrev_b32_e32 v75, 23, v79
	v_cndmask_b32_e64 v52, v52, 0xffffff92, vcc_lo
	v_xor_b32_e32 v75, 1, v75
	v_add_nc_u32_e32 v52, v78, v52
	v_bfe_u32 v78, v79, 21, 1
	v_add_nc_u32_e32 v78, -1, v78
	v_cndmask_b32_e64 v78, 0, v78, s16
	s_mov_b32 s16, exec_lo
	v_add_nc_u32_e32 v78, v78, v79
	v_and_b32_e32 v78, 0x1fffff, v78
	v_add_nc_u32_e32 v78, v78, v79
                                        ; implicit-def: $vgpr79
	v_cmpx_ne_u32_e64 v52, v75
	s_xor_b32 s16, exec_lo, s16
; %bb.5261:                             ;   in Loop: Header=BB6_3222 Depth=4
	v_cmp_lt_u32_e32 vcc_lo, 0xffffff, v78
	v_sub_nc_u32_e32 v52, v52, v75
	v_cndmask_b32_e64 v75, 0, 1, vcc_lo
	v_add_co_ci_u32_e64 v79, null, 0, v52, vcc_lo
	v_lshrrev_b32_e32 v78, v75, v78
; %bb.5262:                             ;   in Loop: Header=BB6_3222 Depth=4
	s_andn2_saveexec_b32 s16, s16
; %bb.5263:                             ;   in Loop: Header=BB6_3222 Depth=4
	v_bfe_u32 v79, v78, 23, 1
; %bb.5264:                             ;   in Loop: Header=BB6_3222 Depth=4
	s_or_b32 exec_lo, exec_lo, s16
	v_and_b32_sdwa v52, v73, v117 dst_sel:DWORD dst_unused:UNUSED_PAD src0_sel:BYTE_3 src1_sel:DWORD
	v_lshrrev_b32_e32 v73, 21, v78
	v_min_i32_e32 v75, 31, v79
	v_cmp_gt_i32_e32 vcc_lo, 32, v79
	v_lshlrev_b32_e32 v75, 2, v75
	v_cndmask_b32_e32 v73, 3, v73, vcc_lo
	v_and_b32_e32 v75, 0xfc, v75
	v_or_b32_e32 v78, v79, v73
	v_and_b32_e32 v73, 3, v73
	v_cmp_ne_u32_e32 vcc_lo, 0, v78
	v_or3_b32 v52, v75, v52, v73
	v_cndmask_b32_e32 v52, 0, v52, vcc_lo
.LBB6_5265:                             ;   in Loop: Header=BB6_3222 Depth=4
	s_or_b32 exec_lo, exec_lo, s73
.LBB6_5266:                             ;   in Loop: Header=BB6_3222 Depth=4
	s_or_b32 exec_lo, exec_lo, s72
	v_cmp_gt_i16_sdwa s72, v74, v116 src0_sel:BYTE_1 src1_sel:DWORD
	s_mov_b32 s16, 0
	s_and_saveexec_b32 s73, s72
	s_xor_b32 s72, exec_lo, s73
	s_cbranch_execz .LBB6_5760
; %bb.5267:                             ;   in Loop: Header=BB6_3222 Depth=4
	v_cmp_eq_u16_sdwa s74, v74, v117 src0_sel:BYTE_1 src1_sel:DWORD
	s_mov_b32 s16, -1
	s_and_saveexec_b32 s73, s74
; %bb.5268:                             ;   in Loop: Header=BB6_3222 Depth=4
	s_xor_b32 s16, exec_lo, -1
; %bb.5269:                             ;   in Loop: Header=BB6_3222 Depth=4
	s_or_b32 exec_lo, exec_lo, s73
	s_and_b32 s16, s16, exec_lo
	s_or_saveexec_b32 s72, s72
	v_mov_b32_e32 v73, 0x7f800001
	s_xor_b32 exec_lo, exec_lo, s72
	s_cbranch_execnz .LBB6_5761
.LBB6_5270:                             ;   in Loop: Header=BB6_3222 Depth=4
	s_or_b32 exec_lo, exec_lo, s72
	s_and_saveexec_b32 s72, s16
	s_cbranch_execz .LBB6_5272
.LBB6_5271:                             ;   in Loop: Header=BB6_3222 Depth=4
	v_and_b32_sdwa v73, v118, v74 dst_sel:DWORD dst_unused:UNUSED_PAD src0_sel:DWORD src1_sel:BYTE_1
	v_and_b32_e32 v75, 3, v73
	v_bfe_u32 v88, v73, 2, 5
	v_ffbh_u32_e32 v78, v75
	v_cmp_eq_u32_e32 vcc_lo, 0, v88
	v_min_u32_e32 v78, 32, v78
	v_subrev_nc_u32_e32 v79, 29, v78
	v_sub_nc_u32_e32 v78, 30, v78
	v_lshlrev_b32_e32 v73, v79, v73
	v_lshlrev_b32_sdwa v79, v119, v74 dst_sel:DWORD dst_unused:UNUSED_PAD src0_sel:DWORD src1_sel:BYTE_1
	v_cndmask_b32_e32 v78, v88, v78, vcc_lo
	v_and_b32_e32 v73, 3, v73
	v_lshl_add_u32 v78, v78, 23, 0x37800000
	v_cndmask_b32_e32 v73, v75, v73, vcc_lo
	v_and_b32_e32 v75, 0x80000000, v79
	v_lshlrev_b32_e32 v73, 21, v73
	v_or3_b32 v73, v75, v78, v73
.LBB6_5272:                             ;   in Loop: Header=BB6_3222 Depth=4
	s_or_b32 exec_lo, exec_lo, s72
	v_cmp_gt_i16_sdwa s72, v10, v116 src0_sel:BYTE_1 src1_sel:DWORD
	s_mov_b32 s16, 0
	s_and_saveexec_b32 s73, s72
	s_xor_b32 s72, exec_lo, s73
	s_cbranch_execz .LBB6_5762
; %bb.5273:                             ;   in Loop: Header=BB6_3222 Depth=4
	v_cmp_eq_u16_sdwa s74, v10, v117 src0_sel:BYTE_1 src1_sel:DWORD
	s_mov_b32 s16, -1
	s_and_saveexec_b32 s73, s74
; %bb.5274:                             ;   in Loop: Header=BB6_3222 Depth=4
	s_xor_b32 s16, exec_lo, -1
; %bb.5275:                             ;   in Loop: Header=BB6_3222 Depth=4
	s_or_b32 exec_lo, exec_lo, s73
	s_and_b32 s16, s16, exec_lo
	s_or_saveexec_b32 s72, s72
	v_mov_b32_e32 v75, 0x7f800001
	s_xor_b32 exec_lo, exec_lo, s72
	s_cbranch_execnz .LBB6_5763
.LBB6_5276:                             ;   in Loop: Header=BB6_3222 Depth=4
	s_or_b32 exec_lo, exec_lo, s72
	s_and_saveexec_b32 s72, s16
	s_cbranch_execz .LBB6_5278
.LBB6_5277:                             ;   in Loop: Header=BB6_3222 Depth=4
	v_and_b32_sdwa v75, v118, v10 dst_sel:DWORD dst_unused:UNUSED_PAD src0_sel:DWORD src1_sel:BYTE_1
	v_and_b32_e32 v78, 3, v75
	v_bfe_u32 v89, v75, 2, 5
	v_ffbh_u32_e32 v79, v78
	v_cmp_eq_u32_e32 vcc_lo, 0, v89
	v_min_u32_e32 v79, 32, v79
	v_subrev_nc_u32_e32 v88, 29, v79
	v_sub_nc_u32_e32 v79, 30, v79
	v_lshlrev_b32_e32 v75, v88, v75
	v_lshlrev_b32_sdwa v88, v119, v10 dst_sel:DWORD dst_unused:UNUSED_PAD src0_sel:DWORD src1_sel:BYTE_1
	v_cndmask_b32_e32 v79, v89, v79, vcc_lo
	v_and_b32_e32 v75, 3, v75
	v_lshl_add_u32 v79, v79, 23, 0x37800000
	v_cndmask_b32_e32 v75, v78, v75, vcc_lo
	v_and_b32_e32 v78, 0x80000000, v88
	v_lshlrev_b32_e32 v75, 21, v75
	v_or3_b32 v75, v78, v79, v75
.LBB6_5278:                             ;   in Loop: Header=BB6_3222 Depth=4
	s_or_b32 exec_lo, exec_lo, s72
	v_add_f32_e32 v75, v73, v75
	v_and_b32_e32 v73, 0x7f800000, v75
	v_cmp_ne_u32_e32 vcc_lo, 0x7f800000, v73
	v_mov_b32_e32 v73, 0x8000
	s_and_saveexec_b32 s72, vcc_lo
	s_cbranch_execz .LBB6_5286
; %bb.5279:                             ;   in Loop: Header=BB6_3222 Depth=4
	v_mov_b32_e32 v73, 0
	s_mov_b32 s73, exec_lo
	v_cmpx_ne_u32_e32 0, v75
	s_cbranch_execz .LBB6_5285
; %bb.5280:                             ;   in Loop: Header=BB6_3222 Depth=4
	v_bfe_u32 v78, v75, 23, 8
	v_and_b32_e32 v73, 0x7fffff, v75
	v_cmp_gt_u32_e64 s16, 0x71, v78
	v_sub_nc_u32_e32 v79, 0x70, v78
	v_cmp_eq_u32_e32 vcc_lo, 0, v78
	v_or_b32_e32 v88, 0x800000, v73
	v_cndmask_b32_e64 v79, 0, v79, s16
	v_cndmask_b32_e32 v73, v88, v73, vcc_lo
	v_cndmask_b32_e64 v79, v79, 0x6f, vcc_lo
	v_lshl_add_u32 v88, 0x200000, v79, -1
	v_lshlrev_b32_e64 v89, v79, 0x100000
	v_and_b32_e32 v88, v88, v73
	v_cmp_eq_u32_e64 s16, v88, v89
	v_lshrrev_b32_e32 v88, v79, v73
	v_add_nc_u32_e32 v73, 0xffffff91, v78
	v_lshrrev_b32_e32 v78, 23, v88
	v_cndmask_b32_e64 v73, v73, 0xffffff92, vcc_lo
	v_xor_b32_e32 v78, 1, v78
	v_add_nc_u32_e32 v73, v79, v73
	v_bfe_u32 v79, v88, 21, 1
	v_add_nc_u32_e32 v79, -1, v79
	v_cndmask_b32_e64 v79, 0, v79, s16
	s_mov_b32 s16, exec_lo
	v_add_nc_u32_e32 v79, v79, v88
	v_and_b32_e32 v79, 0x1fffff, v79
	v_add_nc_u32_e32 v79, v79, v88
                                        ; implicit-def: $vgpr88
	v_cmpx_ne_u32_e64 v73, v78
	s_xor_b32 s16, exec_lo, s16
; %bb.5281:                             ;   in Loop: Header=BB6_3222 Depth=4
	v_cmp_lt_u32_e32 vcc_lo, 0xffffff, v79
	v_sub_nc_u32_e32 v73, v73, v78
	v_cndmask_b32_e64 v78, 0, 1, vcc_lo
	v_add_co_ci_u32_e64 v88, null, 0, v73, vcc_lo
	v_lshrrev_b32_e32 v79, v78, v79
; %bb.5282:                             ;   in Loop: Header=BB6_3222 Depth=4
	s_andn2_saveexec_b32 s16, s16
; %bb.5283:                             ;   in Loop: Header=BB6_3222 Depth=4
	v_bfe_u32 v88, v79, 23, 1
; %bb.5284:                             ;   in Loop: Header=BB6_3222 Depth=4
	s_or_b32 exec_lo, exec_lo, s16
	v_and_b32_sdwa v73, v75, v117 dst_sel:DWORD dst_unused:UNUSED_PAD src0_sel:BYTE_3 src1_sel:DWORD
	v_lshrrev_b32_e32 v75, 21, v79
	v_min_i32_e32 v78, 31, v88
	v_cmp_gt_i32_e32 vcc_lo, 32, v88
	v_lshlrev_b32_e32 v78, 2, v78
	v_cndmask_b32_e32 v75, 3, v75, vcc_lo
	v_and_b32_e32 v78, 0xfc, v78
	v_or_b32_e32 v79, v88, v75
	v_and_b32_e32 v75, 3, v75
	v_cmp_ne_u32_e32 vcc_lo, 0, v79
	v_or3_b32 v73, v73, v78, v75
	v_lshlrev_b32_e32 v73, 8, v73
	v_cndmask_b32_e32 v73, 0, v73, vcc_lo
.LBB6_5285:                             ;   in Loop: Header=BB6_3222 Depth=4
	s_or_b32 exec_lo, exec_lo, s73
.LBB6_5286:                             ;   in Loop: Header=BB6_3222 Depth=4
	s_or_b32 exec_lo, exec_lo, s72
	v_or_b32_e32 v75, v77, v29
	s_mov_b32 s72, 0
	v_cmp_gt_i16_sdwa s16, v75, v116 src0_sel:BYTE_0 src1_sel:DWORD
	s_and_saveexec_b32 s73, s16
	s_xor_b32 s16, exec_lo, s73
	s_cbranch_execz .LBB6_5764
; %bb.5287:                             ;   in Loop: Header=BB6_3222 Depth=4
	v_cmp_eq_u16_sdwa s74, v75, v117 src0_sel:BYTE_0 src1_sel:DWORD
	s_mov_b32 s72, -1
	s_and_saveexec_b32 s73, s74
; %bb.5288:                             ;   in Loop: Header=BB6_3222 Depth=4
	s_xor_b32 s72, exec_lo, -1
; %bb.5289:                             ;   in Loop: Header=BB6_3222 Depth=4
	s_or_b32 exec_lo, exec_lo, s73
	s_and_b32 s72, s72, exec_lo
	s_or_saveexec_b32 s16, s16
	v_mov_b32_e32 v29, 0x7f800001
	s_xor_b32 exec_lo, exec_lo, s16
	s_cbranch_execnz .LBB6_5765
.LBB6_5290:                             ;   in Loop: Header=BB6_3222 Depth=4
	s_or_b32 exec_lo, exec_lo, s16
	v_lshl_or_b32 v74, v75, 16, v74
	s_and_saveexec_b32 s16, s72
	s_cbranch_execz .LBB6_5292
.LBB6_5291:                             ;   in Loop: Header=BB6_3222 Depth=4
	v_bfe_u32 v29, v74, 16, 2
	v_bfe_u32 v75, v74, 18, 5
	v_ffbh_u32_e32 v77, v29
	v_cmp_eq_u32_e32 vcc_lo, 0, v75
	v_min_u32_e32 v77, 32, v77
	v_subrev_nc_u32_e32 v78, 29, v77
	v_sub_nc_u32_e32 v77, 30, v77
	v_lshlrev_b32_sdwa v78, v78, v74 dst_sel:DWORD dst_unused:UNUSED_PAD src0_sel:DWORD src1_sel:WORD_1
	v_cndmask_b32_e32 v75, v75, v77, vcc_lo
	v_lshlrev_b32_e32 v77, 8, v74
	v_and_b32_e32 v78, 3, v78
	v_lshl_add_u32 v75, v75, 23, 0x37800000
	v_and_b32_e32 v77, 0x80000000, v77
	v_cndmask_b32_e32 v29, v29, v78, vcc_lo
	v_lshlrev_b32_e32 v29, 21, v29
	v_or3_b32 v29, v77, v75, v29
.LBB6_5292:                             ;   in Loop: Header=BB6_3222 Depth=4
	s_or_b32 exec_lo, exec_lo, s16
	v_and_b32_sdwa v77, v10, v40 dst_sel:DWORD dst_unused:UNUSED_PAD src0_sel:WORD_1 src1_sel:DWORD
	s_mov_b32 s72, 0
	s_mov_b32 s16, exec_lo
	v_cmpx_lt_i16_e32 0x7f, v77
	s_xor_b32 s16, exec_lo, s16
	s_cbranch_execz .LBB6_5766
; %bb.5293:                             ;   in Loop: Header=BB6_3222 Depth=4
	s_mov_b32 s72, -1
	s_mov_b32 s73, exec_lo
	v_cmpx_eq_u16_e32 0x80, v77
; %bb.5294:                             ;   in Loop: Header=BB6_3222 Depth=4
	s_xor_b32 s72, exec_lo, -1
; %bb.5295:                             ;   in Loop: Header=BB6_3222 Depth=4
	s_or_b32 exec_lo, exec_lo, s73
	s_and_b32 s72, s72, exec_lo
                                        ; implicit-def: $vgpr77
	s_or_saveexec_b32 s16, s16
	v_mov_b32_e32 v75, 0x7f800001
	s_xor_b32 exec_lo, exec_lo, s16
	s_cbranch_execnz .LBB6_5767
.LBB6_5296:                             ;   in Loop: Header=BB6_3222 Depth=4
	s_or_b32 exec_lo, exec_lo, s16
	s_and_saveexec_b32 s16, s72
	s_cbranch_execz .LBB6_5298
.LBB6_5297:                             ;   in Loop: Header=BB6_3222 Depth=4
	v_bfe_u32 v75, v10, 16, 2
	v_bfe_u32 v77, v10, 18, 5
	v_ffbh_u32_e32 v78, v75
	v_cmp_eq_u32_e32 vcc_lo, 0, v77
	v_min_u32_e32 v78, 32, v78
	v_subrev_nc_u32_e32 v79, 29, v78
	v_sub_nc_u32_e32 v78, 30, v78
	v_lshlrev_b32_sdwa v79, v79, v10 dst_sel:DWORD dst_unused:UNUSED_PAD src0_sel:DWORD src1_sel:WORD_1
	v_cndmask_b32_e32 v77, v77, v78, vcc_lo
	v_lshlrev_b32_e32 v78, 8, v10
	v_and_b32_e32 v79, 3, v79
	v_lshl_add_u32 v77, v77, 23, 0x37800000
	v_and_b32_e32 v78, 0x80000000, v78
	v_cndmask_b32_e32 v75, v75, v79, vcc_lo
	v_lshlrev_b32_e32 v75, 21, v75
	v_or3_b32 v75, v78, v77, v75
.LBB6_5298:                             ;   in Loop: Header=BB6_3222 Depth=4
	s_or_b32 exec_lo, exec_lo, s16
	v_add_f32_e32 v75, v29, v75
	v_and_b32_e32 v29, 0x7f800000, v75
	v_cmp_ne_u32_e32 vcc_lo, 0x7f800000, v29
	v_mov_b32_e32 v29, 0x80
	s_and_saveexec_b32 s72, vcc_lo
	s_cbranch_execz .LBB6_5306
; %bb.5299:                             ;   in Loop: Header=BB6_3222 Depth=4
	v_mov_b32_e32 v29, 0
	s_mov_b32 s73, exec_lo
	v_cmpx_ne_u32_e32 0, v75
	s_cbranch_execz .LBB6_5305
; %bb.5300:                             ;   in Loop: Header=BB6_3222 Depth=4
	v_bfe_u32 v77, v75, 23, 8
	v_and_b32_e32 v29, 0x7fffff, v75
	v_cmp_gt_u32_e64 s16, 0x71, v77
	v_sub_nc_u32_e32 v78, 0x70, v77
	v_cmp_eq_u32_e32 vcc_lo, 0, v77
	v_or_b32_e32 v79, 0x800000, v29
	v_cndmask_b32_e64 v78, 0, v78, s16
	v_cndmask_b32_e32 v29, v79, v29, vcc_lo
	v_cndmask_b32_e64 v78, v78, 0x6f, vcc_lo
	v_lshl_add_u32 v79, 0x200000, v78, -1
	v_lshlrev_b32_e64 v88, v78, 0x100000
	v_and_b32_e32 v79, v79, v29
	v_cmp_eq_u32_e64 s16, v79, v88
	v_lshrrev_b32_e32 v79, v78, v29
	v_add_nc_u32_e32 v29, 0xffffff91, v77
	v_lshrrev_b32_e32 v77, 23, v79
	v_cndmask_b32_e64 v29, v29, 0xffffff92, vcc_lo
	v_xor_b32_e32 v77, 1, v77
	v_add_nc_u32_e32 v29, v78, v29
	v_bfe_u32 v78, v79, 21, 1
	v_add_nc_u32_e32 v78, -1, v78
	v_cndmask_b32_e64 v78, 0, v78, s16
	s_mov_b32 s16, exec_lo
	v_add_nc_u32_e32 v78, v78, v79
	v_and_b32_e32 v78, 0x1fffff, v78
	v_add_nc_u32_e32 v78, v78, v79
                                        ; implicit-def: $vgpr79
	v_cmpx_ne_u32_e64 v29, v77
	s_xor_b32 s16, exec_lo, s16
; %bb.5301:                             ;   in Loop: Header=BB6_3222 Depth=4
	v_cmp_lt_u32_e32 vcc_lo, 0xffffff, v78
	v_sub_nc_u32_e32 v29, v29, v77
	v_cndmask_b32_e64 v77, 0, 1, vcc_lo
	v_add_co_ci_u32_e64 v79, null, 0, v29, vcc_lo
	v_lshrrev_b32_e32 v78, v77, v78
; %bb.5302:                             ;   in Loop: Header=BB6_3222 Depth=4
	s_andn2_saveexec_b32 s16, s16
; %bb.5303:                             ;   in Loop: Header=BB6_3222 Depth=4
	v_bfe_u32 v79, v78, 23, 1
; %bb.5304:                             ;   in Loop: Header=BB6_3222 Depth=4
	s_or_b32 exec_lo, exec_lo, s16
	v_and_b32_sdwa v29, v75, v117 dst_sel:DWORD dst_unused:UNUSED_PAD src0_sel:BYTE_3 src1_sel:DWORD
	v_lshrrev_b32_e32 v75, 21, v78
	v_min_i32_e32 v77, 31, v79
	v_cmp_gt_i32_e32 vcc_lo, 32, v79
	v_lshlrev_b32_e32 v77, 2, v77
	v_cndmask_b32_e32 v75, 3, v75, vcc_lo
	v_and_b32_e32 v77, 0xfc, v77
	v_or_b32_e32 v78, v79, v75
	v_and_b32_e32 v75, 3, v75
	v_cmp_ne_u32_e32 vcc_lo, 0, v78
	v_or3_b32 v29, v77, v29, v75
	v_cndmask_b32_e32 v29, 0, v29, vcc_lo
.LBB6_5305:                             ;   in Loop: Header=BB6_3222 Depth=4
	s_or_b32 exec_lo, exec_lo, s73
.LBB6_5306:                             ;   in Loop: Header=BB6_3222 Depth=4
	s_or_b32 exec_lo, exec_lo, s72
	v_cmp_gt_i16_sdwa s72, v74, v116 src0_sel:BYTE_3 src1_sel:DWORD
	s_mov_b32 s16, 0
	s_and_saveexec_b32 s73, s72
	s_xor_b32 s72, exec_lo, s73
	s_cbranch_execz .LBB6_5768
; %bb.5307:                             ;   in Loop: Header=BB6_3222 Depth=4
	v_cmp_eq_u16_sdwa s74, v74, v117 src0_sel:BYTE_3 src1_sel:DWORD
	s_mov_b32 s16, -1
	s_and_saveexec_b32 s73, s74
; %bb.5308:                             ;   in Loop: Header=BB6_3222 Depth=4
	s_xor_b32 s16, exec_lo, -1
; %bb.5309:                             ;   in Loop: Header=BB6_3222 Depth=4
	s_or_b32 exec_lo, exec_lo, s73
	s_and_b32 s16, s16, exec_lo
	s_or_saveexec_b32 s72, s72
	v_mov_b32_e32 v75, 0x7f800001
	s_xor_b32 exec_lo, exec_lo, s72
	s_cbranch_execnz .LBB6_5769
.LBB6_5310:                             ;   in Loop: Header=BB6_3222 Depth=4
	s_or_b32 exec_lo, exec_lo, s72
	s_and_saveexec_b32 s72, s16
	s_cbranch_execz .LBB6_5312
.LBB6_5311:                             ;   in Loop: Header=BB6_3222 Depth=4
	v_bfe_u32 v75, v74, 24, 2
	v_bfe_u32 v79, v74, 26, 5
	v_ffbh_u32_e32 v77, v75
	v_cmp_eq_u32_e32 vcc_lo, 0, v79
	v_min_u32_e32 v77, 32, v77
	v_subrev_nc_u32_e32 v78, 29, v77
	v_sub_nc_u32_e32 v77, 30, v77
	v_lshlrev_b32_sdwa v78, v78, v74 dst_sel:DWORD dst_unused:UNUSED_PAD src0_sel:DWORD src1_sel:BYTE_3
	v_cndmask_b32_e32 v77, v79, v77, vcc_lo
	v_and_b32_e32 v74, 0x80000000, v74
	v_and_b32_e32 v78, 3, v78
	v_lshl_add_u32 v77, v77, 23, 0x37800000
	v_cndmask_b32_e32 v75, v75, v78, vcc_lo
	v_lshlrev_b32_e32 v75, 21, v75
	v_or3_b32 v75, v74, v77, v75
.LBB6_5312:                             ;   in Loop: Header=BB6_3222 Depth=4
	s_or_b32 exec_lo, exec_lo, s72
	v_cmp_gt_i16_sdwa s72, v10, v116 src0_sel:BYTE_3 src1_sel:DWORD
	s_mov_b32 s16, 0
	s_and_saveexec_b32 s73, s72
	s_xor_b32 s72, exec_lo, s73
	s_cbranch_execz .LBB6_5770
; %bb.5313:                             ;   in Loop: Header=BB6_3222 Depth=4
	v_cmp_eq_u16_sdwa s74, v10, v117 src0_sel:BYTE_3 src1_sel:DWORD
	s_mov_b32 s16, -1
	s_and_saveexec_b32 s73, s74
; %bb.5314:                             ;   in Loop: Header=BB6_3222 Depth=4
	s_xor_b32 s16, exec_lo, -1
; %bb.5315:                             ;   in Loop: Header=BB6_3222 Depth=4
	s_or_b32 exec_lo, exec_lo, s73
	s_and_b32 s16, s16, exec_lo
	s_or_saveexec_b32 s72, s72
	v_mov_b32_e32 v74, 0x7f800001
	s_xor_b32 exec_lo, exec_lo, s72
	s_cbranch_execnz .LBB6_5771
.LBB6_5316:                             ;   in Loop: Header=BB6_3222 Depth=4
	s_or_b32 exec_lo, exec_lo, s72
	s_and_saveexec_b32 s72, s16
	s_cbranch_execz .LBB6_5318
.LBB6_5317:                             ;   in Loop: Header=BB6_3222 Depth=4
	v_bfe_u32 v74, v10, 24, 2
	v_bfe_u32 v79, v10, 26, 5
	v_ffbh_u32_e32 v77, v74
	v_cmp_eq_u32_e32 vcc_lo, 0, v79
	v_min_u32_e32 v77, 32, v77
	v_subrev_nc_u32_e32 v78, 29, v77
	v_sub_nc_u32_e32 v77, 30, v77
	v_lshlrev_b32_sdwa v78, v78, v10 dst_sel:DWORD dst_unused:UNUSED_PAD src0_sel:DWORD src1_sel:BYTE_3
	v_cndmask_b32_e32 v77, v79, v77, vcc_lo
	v_and_b32_e32 v10, 0x80000000, v10
	v_and_b32_e32 v78, 3, v78
	v_lshl_add_u32 v77, v77, 23, 0x37800000
	v_cndmask_b32_e32 v74, v74, v78, vcc_lo
	v_lshlrev_b32_e32 v74, 21, v74
	v_or3_b32 v74, v10, v77, v74
.LBB6_5318:                             ;   in Loop: Header=BB6_3222 Depth=4
	s_or_b32 exec_lo, exec_lo, s72
	v_add_f32_e32 v74, v75, v74
	v_and_b32_e32 v10, 0x7f800000, v74
	v_cmp_ne_u32_e32 vcc_lo, 0x7f800000, v10
	v_mov_b32_e32 v10, 0x8000
	s_and_saveexec_b32 s72, vcc_lo
	s_cbranch_execz .LBB6_5326
; %bb.5319:                             ;   in Loop: Header=BB6_3222 Depth=4
	v_mov_b32_e32 v10, 0
	s_mov_b32 s73, exec_lo
	v_cmpx_ne_u32_e32 0, v74
	s_cbranch_execz .LBB6_5325
; %bb.5320:                             ;   in Loop: Header=BB6_3222 Depth=4
	v_bfe_u32 v75, v74, 23, 8
	v_and_b32_e32 v10, 0x7fffff, v74
	v_cmp_gt_u32_e64 s16, 0x71, v75
	v_sub_nc_u32_e32 v77, 0x70, v75
	v_cmp_eq_u32_e32 vcc_lo, 0, v75
	v_or_b32_e32 v78, 0x800000, v10
	v_cndmask_b32_e64 v77, 0, v77, s16
	v_cndmask_b32_e32 v10, v78, v10, vcc_lo
	v_cndmask_b32_e64 v77, v77, 0x6f, vcc_lo
	v_lshl_add_u32 v78, 0x200000, v77, -1
	v_lshlrev_b32_e64 v79, v77, 0x100000
	v_and_b32_e32 v78, v78, v10
	v_cmp_eq_u32_e64 s16, v78, v79
	v_lshrrev_b32_e32 v78, v77, v10
	v_add_nc_u32_e32 v10, 0xffffff91, v75
	v_lshrrev_b32_e32 v75, 23, v78
	v_cndmask_b32_e64 v10, v10, 0xffffff92, vcc_lo
	v_xor_b32_e32 v75, 1, v75
	v_add_nc_u32_e32 v10, v77, v10
	v_bfe_u32 v77, v78, 21, 1
	v_add_nc_u32_e32 v77, -1, v77
	v_cndmask_b32_e64 v77, 0, v77, s16
	s_mov_b32 s16, exec_lo
	v_add_nc_u32_e32 v77, v77, v78
	v_and_b32_e32 v77, 0x1fffff, v77
	v_add_nc_u32_e32 v77, v77, v78
                                        ; implicit-def: $vgpr78
	v_cmpx_ne_u32_e64 v10, v75
	s_xor_b32 s16, exec_lo, s16
; %bb.5321:                             ;   in Loop: Header=BB6_3222 Depth=4
	v_cmp_lt_u32_e32 vcc_lo, 0xffffff, v77
	v_sub_nc_u32_e32 v10, v10, v75
	v_cndmask_b32_e64 v75, 0, 1, vcc_lo
	v_add_co_ci_u32_e64 v78, null, 0, v10, vcc_lo
	v_lshrrev_b32_e32 v77, v75, v77
; %bb.5322:                             ;   in Loop: Header=BB6_3222 Depth=4
	s_andn2_saveexec_b32 s16, s16
; %bb.5323:                             ;   in Loop: Header=BB6_3222 Depth=4
	v_bfe_u32 v78, v77, 23, 1
; %bb.5324:                             ;   in Loop: Header=BB6_3222 Depth=4
	s_or_b32 exec_lo, exec_lo, s16
	v_and_b32_sdwa v10, v74, v117 dst_sel:DWORD dst_unused:UNUSED_PAD src0_sel:BYTE_3 src1_sel:DWORD
	v_lshrrev_b32_e32 v74, 21, v77
	v_min_i32_e32 v75, 31, v78
	v_cmp_gt_i32_e32 vcc_lo, 32, v78
	v_lshlrev_b32_e32 v75, 2, v75
	v_cndmask_b32_e32 v74, 3, v74, vcc_lo
	v_and_b32_e32 v75, 0xfc, v75
	v_or_b32_e32 v77, v78, v74
	v_and_b32_e32 v74, 3, v74
	v_cmp_ne_u32_e32 vcc_lo, 0, v77
	v_or3_b32 v10, v10, v75, v74
	v_lshlrev_b32_e32 v10, 8, v10
	v_cndmask_b32_e32 v10, 0, v10, vcc_lo
.LBB6_5325:                             ;   in Loop: Header=BB6_3222 Depth=4
	s_or_b32 exec_lo, exec_lo, s73
.LBB6_5326:                             ;   in Loop: Header=BB6_3222 Depth=4
	s_or_b32 exec_lo, exec_lo, s72
	v_or_b32_e32 v74, v30, v25
	s_mov_b32 s72, 0
	v_cmp_gt_i16_sdwa s16, v74, v116 src0_sel:BYTE_0 src1_sel:DWORD
	s_and_saveexec_b32 s73, s16
	s_xor_b32 s16, exec_lo, s73
	s_cbranch_execz .LBB6_5772
; %bb.5327:                             ;   in Loop: Header=BB6_3222 Depth=4
	v_cmp_eq_u16_sdwa s74, v74, v117 src0_sel:BYTE_0 src1_sel:DWORD
	s_mov_b32 s72, -1
	s_and_saveexec_b32 s73, s74
; %bb.5328:                             ;   in Loop: Header=BB6_3222 Depth=4
	s_xor_b32 s72, exec_lo, -1
; %bb.5329:                             ;   in Loop: Header=BB6_3222 Depth=4
	s_or_b32 exec_lo, exec_lo, s73
	s_and_b32 s72, s72, exec_lo
	s_or_saveexec_b32 s16, s16
	v_mov_b32_e32 v25, 0x7f800001
	s_xor_b32 exec_lo, exec_lo, s16
	s_cbranch_execnz .LBB6_5773
.LBB6_5330:                             ;   in Loop: Header=BB6_3222 Depth=4
	s_or_b32 exec_lo, exec_lo, s16
	s_and_saveexec_b32 s16, s72
	s_cbranch_execz .LBB6_5332
.LBB6_5331:                             ;   in Loop: Header=BB6_3222 Depth=4
	v_and_b32_e32 v25, 3, v74
	v_bfe_u32 v30, v74, 2, 5
	v_ffbh_u32_e32 v75, v25
	v_cmp_eq_u32_e32 vcc_lo, 0, v30
	v_min_u32_e32 v75, 32, v75
	v_subrev_nc_u32_e32 v77, 29, v75
	v_sub_nc_u32_e32 v75, 30, v75
	v_lshlrev_b32_e32 v77, v77, v74
	v_cndmask_b32_e32 v30, v30, v75, vcc_lo
	v_lshlrev_b32_e32 v75, 24, v74
	v_and_b32_e32 v77, 3, v77
	v_lshl_add_u32 v30, v30, 23, 0x37800000
	v_and_b32_e32 v75, 0x80000000, v75
	v_cndmask_b32_e32 v25, v25, v77, vcc_lo
	v_lshlrev_b32_e32 v25, 21, v25
	v_or3_b32 v25, v75, v30, v25
.LBB6_5332:                             ;   in Loop: Header=BB6_3222 Depth=4
	s_or_b32 exec_lo, exec_lo, s16
	v_cmp_gt_i16_sdwa s16, v11, v116 src0_sel:BYTE_0 src1_sel:DWORD
	s_mov_b32 s72, 0
	s_and_saveexec_b32 s73, s16
	s_xor_b32 s16, exec_lo, s73
	s_cbranch_execz .LBB6_5774
; %bb.5333:                             ;   in Loop: Header=BB6_3222 Depth=4
	v_cmp_eq_u16_sdwa s74, v11, v117 src0_sel:BYTE_0 src1_sel:DWORD
	s_mov_b32 s72, -1
	s_and_saveexec_b32 s73, s74
; %bb.5334:                             ;   in Loop: Header=BB6_3222 Depth=4
	s_xor_b32 s72, exec_lo, -1
; %bb.5335:                             ;   in Loop: Header=BB6_3222 Depth=4
	s_or_b32 exec_lo, exec_lo, s73
	s_and_b32 s72, s72, exec_lo
	s_or_saveexec_b32 s16, s16
	v_mov_b32_e32 v30, 0x7f800001
	s_xor_b32 exec_lo, exec_lo, s16
	s_cbranch_execnz .LBB6_5775
.LBB6_5336:                             ;   in Loop: Header=BB6_3222 Depth=4
	s_or_b32 exec_lo, exec_lo, s16
	s_and_saveexec_b32 s16, s72
	s_cbranch_execz .LBB6_5338
.LBB6_5337:                             ;   in Loop: Header=BB6_3222 Depth=4
	v_and_b32_e32 v30, 3, v11
	v_bfe_u32 v75, v11, 2, 5
	v_ffbh_u32_e32 v77, v30
	v_cmp_eq_u32_e32 vcc_lo, 0, v75
	v_min_u32_e32 v77, 32, v77
	v_subrev_nc_u32_e32 v78, 29, v77
	v_sub_nc_u32_e32 v77, 30, v77
	v_lshlrev_b32_e32 v78, v78, v11
	v_cndmask_b32_e32 v75, v75, v77, vcc_lo
	v_lshlrev_b32_e32 v77, 24, v11
	v_and_b32_e32 v78, 3, v78
	v_lshl_add_u32 v75, v75, 23, 0x37800000
	v_and_b32_e32 v77, 0x80000000, v77
	v_cndmask_b32_e32 v30, v30, v78, vcc_lo
	v_lshlrev_b32_e32 v30, 21, v30
	v_or3_b32 v30, v77, v75, v30
.LBB6_5338:                             ;   in Loop: Header=BB6_3222 Depth=4
	s_or_b32 exec_lo, exec_lo, s16
	v_add_f32_e32 v30, v25, v30
	v_and_b32_e32 v25, 0x7f800000, v30
	v_cmp_ne_u32_e32 vcc_lo, 0x7f800000, v25
	v_mov_b32_e32 v25, 0x80
	s_and_saveexec_b32 s72, vcc_lo
	s_cbranch_execz .LBB6_5346
; %bb.5339:                             ;   in Loop: Header=BB6_3222 Depth=4
	v_mov_b32_e32 v25, 0
	s_mov_b32 s73, exec_lo
	v_cmpx_ne_u32_e32 0, v30
	s_cbranch_execz .LBB6_5345
; %bb.5340:                             ;   in Loop: Header=BB6_3222 Depth=4
	v_bfe_u32 v75, v30, 23, 8
	v_and_b32_e32 v25, 0x7fffff, v30
	v_cmp_gt_u32_e64 s16, 0x71, v75
	v_sub_nc_u32_e32 v77, 0x70, v75
	v_cmp_eq_u32_e32 vcc_lo, 0, v75
	v_or_b32_e32 v78, 0x800000, v25
	v_cndmask_b32_e64 v77, 0, v77, s16
	v_cndmask_b32_e32 v25, v78, v25, vcc_lo
	v_cndmask_b32_e64 v77, v77, 0x6f, vcc_lo
	v_lshl_add_u32 v78, 0x200000, v77, -1
	v_lshlrev_b32_e64 v79, v77, 0x100000
	v_and_b32_e32 v78, v78, v25
	v_cmp_eq_u32_e64 s16, v78, v79
	v_lshrrev_b32_e32 v78, v77, v25
	v_add_nc_u32_e32 v25, 0xffffff91, v75
	v_lshrrev_b32_e32 v75, 23, v78
	v_cndmask_b32_e64 v25, v25, 0xffffff92, vcc_lo
	v_xor_b32_e32 v75, 1, v75
	v_add_nc_u32_e32 v25, v77, v25
	v_bfe_u32 v77, v78, 21, 1
	v_add_nc_u32_e32 v77, -1, v77
	v_cndmask_b32_e64 v77, 0, v77, s16
	s_mov_b32 s16, exec_lo
	v_add_nc_u32_e32 v77, v77, v78
	v_and_b32_e32 v77, 0x1fffff, v77
	v_add_nc_u32_e32 v77, v77, v78
                                        ; implicit-def: $vgpr78
	v_cmpx_ne_u32_e64 v25, v75
	s_xor_b32 s16, exec_lo, s16
; %bb.5341:                             ;   in Loop: Header=BB6_3222 Depth=4
	v_cmp_lt_u32_e32 vcc_lo, 0xffffff, v77
	v_sub_nc_u32_e32 v25, v25, v75
	v_cndmask_b32_e64 v75, 0, 1, vcc_lo
	v_add_co_ci_u32_e64 v78, null, 0, v25, vcc_lo
	v_lshrrev_b32_e32 v77, v75, v77
; %bb.5342:                             ;   in Loop: Header=BB6_3222 Depth=4
	s_andn2_saveexec_b32 s16, s16
; %bb.5343:                             ;   in Loop: Header=BB6_3222 Depth=4
	v_bfe_u32 v78, v77, 23, 1
; %bb.5344:                             ;   in Loop: Header=BB6_3222 Depth=4
	s_or_b32 exec_lo, exec_lo, s16
	v_and_b32_sdwa v25, v30, v117 dst_sel:DWORD dst_unused:UNUSED_PAD src0_sel:BYTE_3 src1_sel:DWORD
	v_lshrrev_b32_e32 v30, 21, v77
	v_min_i32_e32 v75, 31, v78
	v_cmp_gt_i32_e32 vcc_lo, 32, v78
	v_lshlrev_b32_e32 v75, 2, v75
	v_cndmask_b32_e32 v30, 3, v30, vcc_lo
	v_and_b32_e32 v75, 0xfc, v75
	v_or_b32_e32 v77, v78, v30
	v_and_b32_e32 v30, 3, v30
	v_cmp_ne_u32_e32 vcc_lo, 0, v77
	v_or3_b32 v25, v75, v25, v30
	v_cndmask_b32_e32 v25, 0, v25, vcc_lo
.LBB6_5345:                             ;   in Loop: Header=BB6_3222 Depth=4
	s_or_b32 exec_lo, exec_lo, s73
.LBB6_5346:                             ;   in Loop: Header=BB6_3222 Depth=4
	s_or_b32 exec_lo, exec_lo, s72
	v_cmp_gt_i16_sdwa s72, v74, v116 src0_sel:BYTE_1 src1_sel:DWORD
	s_mov_b32 s16, 0
	s_and_saveexec_b32 s73, s72
	s_xor_b32 s72, exec_lo, s73
	s_cbranch_execz .LBB6_5776
; %bb.5347:                             ;   in Loop: Header=BB6_3222 Depth=4
	v_cmp_eq_u16_sdwa s74, v74, v117 src0_sel:BYTE_1 src1_sel:DWORD
	s_mov_b32 s16, -1
	s_and_saveexec_b32 s73, s74
; %bb.5348:                             ;   in Loop: Header=BB6_3222 Depth=4
	s_xor_b32 s16, exec_lo, -1
; %bb.5349:                             ;   in Loop: Header=BB6_3222 Depth=4
	s_or_b32 exec_lo, exec_lo, s73
	s_and_b32 s16, s16, exec_lo
	s_or_saveexec_b32 s72, s72
	v_mov_b32_e32 v30, 0x7f800001
	s_xor_b32 exec_lo, exec_lo, s72
	s_cbranch_execnz .LBB6_5777
.LBB6_5350:                             ;   in Loop: Header=BB6_3222 Depth=4
	s_or_b32 exec_lo, exec_lo, s72
	s_and_saveexec_b32 s72, s16
	s_cbranch_execz .LBB6_5352
.LBB6_5351:                             ;   in Loop: Header=BB6_3222 Depth=4
	v_and_b32_sdwa v30, v118, v74 dst_sel:DWORD dst_unused:UNUSED_PAD src0_sel:DWORD src1_sel:BYTE_1
	v_and_b32_e32 v75, 3, v30
	v_bfe_u32 v79, v30, 2, 5
	v_ffbh_u32_e32 v77, v75
	v_cmp_eq_u32_e32 vcc_lo, 0, v79
	v_min_u32_e32 v77, 32, v77
	v_subrev_nc_u32_e32 v78, 29, v77
	v_sub_nc_u32_e32 v77, 30, v77
	v_lshlrev_b32_e32 v30, v78, v30
	v_lshlrev_b32_sdwa v78, v119, v74 dst_sel:DWORD dst_unused:UNUSED_PAD src0_sel:DWORD src1_sel:BYTE_1
	v_cndmask_b32_e32 v77, v79, v77, vcc_lo
	v_and_b32_e32 v30, 3, v30
	v_lshl_add_u32 v77, v77, 23, 0x37800000
	v_cndmask_b32_e32 v30, v75, v30, vcc_lo
	v_and_b32_e32 v75, 0x80000000, v78
	v_lshlrev_b32_e32 v30, 21, v30
	v_or3_b32 v30, v75, v77, v30
.LBB6_5352:                             ;   in Loop: Header=BB6_3222 Depth=4
	s_or_b32 exec_lo, exec_lo, s72
	v_cmp_gt_i16_sdwa s72, v11, v116 src0_sel:BYTE_1 src1_sel:DWORD
	s_mov_b32 s16, 0
	s_and_saveexec_b32 s73, s72
	s_xor_b32 s72, exec_lo, s73
	s_cbranch_execz .LBB6_5778
; %bb.5353:                             ;   in Loop: Header=BB6_3222 Depth=4
	v_cmp_eq_u16_sdwa s74, v11, v117 src0_sel:BYTE_1 src1_sel:DWORD
	s_mov_b32 s16, -1
	s_and_saveexec_b32 s73, s74
; %bb.5354:                             ;   in Loop: Header=BB6_3222 Depth=4
	s_xor_b32 s16, exec_lo, -1
; %bb.5355:                             ;   in Loop: Header=BB6_3222 Depth=4
	s_or_b32 exec_lo, exec_lo, s73
	s_and_b32 s16, s16, exec_lo
	s_or_saveexec_b32 s72, s72
	v_mov_b32_e32 v75, 0x7f800001
	s_xor_b32 exec_lo, exec_lo, s72
	s_cbranch_execnz .LBB6_5779
.LBB6_5356:                             ;   in Loop: Header=BB6_3222 Depth=4
	s_or_b32 exec_lo, exec_lo, s72
	s_and_saveexec_b32 s72, s16
	s_cbranch_execz .LBB6_5358
.LBB6_5357:                             ;   in Loop: Header=BB6_3222 Depth=4
	v_and_b32_sdwa v75, v118, v11 dst_sel:DWORD dst_unused:UNUSED_PAD src0_sel:DWORD src1_sel:BYTE_1
	v_and_b32_e32 v77, 3, v75
	v_bfe_u32 v88, v75, 2, 5
	v_ffbh_u32_e32 v78, v77
	v_cmp_eq_u32_e32 vcc_lo, 0, v88
	v_min_u32_e32 v78, 32, v78
	v_subrev_nc_u32_e32 v79, 29, v78
	v_sub_nc_u32_e32 v78, 30, v78
	v_lshlrev_b32_e32 v75, v79, v75
	v_lshlrev_b32_sdwa v79, v119, v11 dst_sel:DWORD dst_unused:UNUSED_PAD src0_sel:DWORD src1_sel:BYTE_1
	v_cndmask_b32_e32 v78, v88, v78, vcc_lo
	v_and_b32_e32 v75, 3, v75
	v_lshl_add_u32 v78, v78, 23, 0x37800000
	v_cndmask_b32_e32 v75, v77, v75, vcc_lo
	v_and_b32_e32 v77, 0x80000000, v79
	v_lshlrev_b32_e32 v75, 21, v75
	v_or3_b32 v75, v77, v78, v75
.LBB6_5358:                             ;   in Loop: Header=BB6_3222 Depth=4
	s_or_b32 exec_lo, exec_lo, s72
	v_add_f32_e32 v75, v30, v75
	v_and_b32_e32 v30, 0x7f800000, v75
	v_cmp_ne_u32_e32 vcc_lo, 0x7f800000, v30
	v_mov_b32_e32 v30, 0x8000
	s_and_saveexec_b32 s72, vcc_lo
	s_cbranch_execz .LBB6_5366
; %bb.5359:                             ;   in Loop: Header=BB6_3222 Depth=4
	v_mov_b32_e32 v30, 0
	s_mov_b32 s73, exec_lo
	v_cmpx_ne_u32_e32 0, v75
	s_cbranch_execz .LBB6_5365
; %bb.5360:                             ;   in Loop: Header=BB6_3222 Depth=4
	v_bfe_u32 v77, v75, 23, 8
	v_and_b32_e32 v30, 0x7fffff, v75
	v_cmp_gt_u32_e64 s16, 0x71, v77
	v_sub_nc_u32_e32 v78, 0x70, v77
	v_cmp_eq_u32_e32 vcc_lo, 0, v77
	v_or_b32_e32 v79, 0x800000, v30
	v_cndmask_b32_e64 v78, 0, v78, s16
	v_cndmask_b32_e32 v30, v79, v30, vcc_lo
	v_cndmask_b32_e64 v78, v78, 0x6f, vcc_lo
	v_lshl_add_u32 v79, 0x200000, v78, -1
	v_lshlrev_b32_e64 v88, v78, 0x100000
	v_and_b32_e32 v79, v79, v30
	v_cmp_eq_u32_e64 s16, v79, v88
	v_lshrrev_b32_e32 v79, v78, v30
	v_add_nc_u32_e32 v30, 0xffffff91, v77
	v_lshrrev_b32_e32 v77, 23, v79
	v_cndmask_b32_e64 v30, v30, 0xffffff92, vcc_lo
	v_xor_b32_e32 v77, 1, v77
	v_add_nc_u32_e32 v30, v78, v30
	v_bfe_u32 v78, v79, 21, 1
	v_add_nc_u32_e32 v78, -1, v78
	v_cndmask_b32_e64 v78, 0, v78, s16
	s_mov_b32 s16, exec_lo
	v_add_nc_u32_e32 v78, v78, v79
	v_and_b32_e32 v78, 0x1fffff, v78
	v_add_nc_u32_e32 v78, v78, v79
                                        ; implicit-def: $vgpr79
	v_cmpx_ne_u32_e64 v30, v77
	s_xor_b32 s16, exec_lo, s16
; %bb.5361:                             ;   in Loop: Header=BB6_3222 Depth=4
	v_cmp_lt_u32_e32 vcc_lo, 0xffffff, v78
	v_sub_nc_u32_e32 v30, v30, v77
	v_cndmask_b32_e64 v77, 0, 1, vcc_lo
	v_add_co_ci_u32_e64 v79, null, 0, v30, vcc_lo
	v_lshrrev_b32_e32 v78, v77, v78
; %bb.5362:                             ;   in Loop: Header=BB6_3222 Depth=4
	s_andn2_saveexec_b32 s16, s16
; %bb.5363:                             ;   in Loop: Header=BB6_3222 Depth=4
	v_bfe_u32 v79, v78, 23, 1
; %bb.5364:                             ;   in Loop: Header=BB6_3222 Depth=4
	s_or_b32 exec_lo, exec_lo, s16
	v_and_b32_sdwa v30, v75, v117 dst_sel:DWORD dst_unused:UNUSED_PAD src0_sel:BYTE_3 src1_sel:DWORD
	v_lshrrev_b32_e32 v75, 21, v78
	v_min_i32_e32 v77, 31, v79
	v_cmp_gt_i32_e32 vcc_lo, 32, v79
	v_lshlrev_b32_e32 v77, 2, v77
	v_cndmask_b32_e32 v75, 3, v75, vcc_lo
	v_and_b32_e32 v77, 0xfc, v77
	v_or_b32_e32 v78, v79, v75
	v_and_b32_e32 v75, 3, v75
	v_cmp_ne_u32_e32 vcc_lo, 0, v78
	v_or3_b32 v30, v30, v77, v75
	v_lshlrev_b32_e32 v30, 8, v30
	v_cndmask_b32_e32 v30, 0, v30, vcc_lo
.LBB6_5365:                             ;   in Loop: Header=BB6_3222 Depth=4
	s_or_b32 exec_lo, exec_lo, s73
.LBB6_5366:                             ;   in Loop: Header=BB6_3222 Depth=4
	s_or_b32 exec_lo, exec_lo, s72
	v_or_b32_e32 v28, v28, v24
	s_mov_b32 s72, 0
	v_cmp_gt_i16_sdwa s16, v28, v116 src0_sel:BYTE_0 src1_sel:DWORD
	s_and_saveexec_b32 s73, s16
	s_xor_b32 s16, exec_lo, s73
	s_cbranch_execz .LBB6_5780
; %bb.5367:                             ;   in Loop: Header=BB6_3222 Depth=4
	v_cmp_eq_u16_sdwa s74, v28, v117 src0_sel:BYTE_0 src1_sel:DWORD
	s_mov_b32 s72, -1
	s_and_saveexec_b32 s73, s74
; %bb.5368:                             ;   in Loop: Header=BB6_3222 Depth=4
	s_xor_b32 s72, exec_lo, -1
; %bb.5369:                             ;   in Loop: Header=BB6_3222 Depth=4
	s_or_b32 exec_lo, exec_lo, s73
	s_and_b32 s72, s72, exec_lo
	s_or_saveexec_b32 s16, s16
	v_mov_b32_e32 v24, 0x7f800001
	s_xor_b32 exec_lo, exec_lo, s16
	s_cbranch_execnz .LBB6_5781
.LBB6_5370:                             ;   in Loop: Header=BB6_3222 Depth=4
	s_or_b32 exec_lo, exec_lo, s16
	v_lshl_or_b32 v28, v28, 16, v74
	s_and_saveexec_b32 s16, s72
	s_cbranch_execz .LBB6_5372
.LBB6_5371:                             ;   in Loop: Header=BB6_3222 Depth=4
	v_bfe_u32 v24, v28, 16, 2
	v_bfe_u32 v74, v28, 18, 5
	v_ffbh_u32_e32 v75, v24
	v_cmp_eq_u32_e32 vcc_lo, 0, v74
	v_min_u32_e32 v75, 32, v75
	v_subrev_nc_u32_e32 v77, 29, v75
	v_sub_nc_u32_e32 v75, 30, v75
	v_lshlrev_b32_sdwa v77, v77, v28 dst_sel:DWORD dst_unused:UNUSED_PAD src0_sel:DWORD src1_sel:WORD_1
	v_cndmask_b32_e32 v74, v74, v75, vcc_lo
	v_lshlrev_b32_e32 v75, 8, v28
	v_and_b32_e32 v77, 3, v77
	v_lshl_add_u32 v74, v74, 23, 0x37800000
	v_and_b32_e32 v75, 0x80000000, v75
	v_cndmask_b32_e32 v24, v24, v77, vcc_lo
	v_lshlrev_b32_e32 v24, 21, v24
	v_or3_b32 v24, v75, v74, v24
.LBB6_5372:                             ;   in Loop: Header=BB6_3222 Depth=4
	s_or_b32 exec_lo, exec_lo, s16
	v_and_b32_sdwa v75, v11, v40 dst_sel:DWORD dst_unused:UNUSED_PAD src0_sel:WORD_1 src1_sel:DWORD
	s_mov_b32 s72, 0
	s_mov_b32 s16, exec_lo
	v_cmpx_lt_i16_e32 0x7f, v75
	s_xor_b32 s16, exec_lo, s16
	s_cbranch_execz .LBB6_5782
; %bb.5373:                             ;   in Loop: Header=BB6_3222 Depth=4
	s_mov_b32 s72, -1
	s_mov_b32 s73, exec_lo
	v_cmpx_eq_u16_e32 0x80, v75
; %bb.5374:                             ;   in Loop: Header=BB6_3222 Depth=4
	s_xor_b32 s72, exec_lo, -1
; %bb.5375:                             ;   in Loop: Header=BB6_3222 Depth=4
	s_or_b32 exec_lo, exec_lo, s73
	s_and_b32 s72, s72, exec_lo
                                        ; implicit-def: $vgpr75
	s_or_saveexec_b32 s16, s16
	v_mov_b32_e32 v74, 0x7f800001
	s_xor_b32 exec_lo, exec_lo, s16
	s_cbranch_execnz .LBB6_5783
.LBB6_5376:                             ;   in Loop: Header=BB6_3222 Depth=4
	s_or_b32 exec_lo, exec_lo, s16
	s_and_saveexec_b32 s16, s72
	s_cbranch_execz .LBB6_5378
.LBB6_5377:                             ;   in Loop: Header=BB6_3222 Depth=4
	v_bfe_u32 v74, v11, 16, 2
	v_bfe_u32 v75, v11, 18, 5
	v_ffbh_u32_e32 v77, v74
	v_cmp_eq_u32_e32 vcc_lo, 0, v75
	v_min_u32_e32 v77, 32, v77
	v_subrev_nc_u32_e32 v78, 29, v77
	v_sub_nc_u32_e32 v77, 30, v77
	v_lshlrev_b32_sdwa v78, v78, v11 dst_sel:DWORD dst_unused:UNUSED_PAD src0_sel:DWORD src1_sel:WORD_1
	v_cndmask_b32_e32 v75, v75, v77, vcc_lo
	v_lshlrev_b32_e32 v77, 8, v11
	v_and_b32_e32 v78, 3, v78
	v_lshl_add_u32 v75, v75, 23, 0x37800000
	v_and_b32_e32 v77, 0x80000000, v77
	v_cndmask_b32_e32 v74, v74, v78, vcc_lo
	v_lshlrev_b32_e32 v74, 21, v74
	v_or3_b32 v74, v77, v75, v74
.LBB6_5378:                             ;   in Loop: Header=BB6_3222 Depth=4
	s_or_b32 exec_lo, exec_lo, s16
	v_add_f32_e32 v74, v24, v74
	v_and_b32_e32 v24, 0x7f800000, v74
	v_cmp_ne_u32_e32 vcc_lo, 0x7f800000, v24
	v_mov_b32_e32 v24, 0x80
	s_and_saveexec_b32 s72, vcc_lo
	s_cbranch_execz .LBB6_5386
; %bb.5379:                             ;   in Loop: Header=BB6_3222 Depth=4
	v_mov_b32_e32 v24, 0
	s_mov_b32 s73, exec_lo
	v_cmpx_ne_u32_e32 0, v74
	s_cbranch_execz .LBB6_5385
; %bb.5380:                             ;   in Loop: Header=BB6_3222 Depth=4
	v_bfe_u32 v75, v74, 23, 8
	v_and_b32_e32 v24, 0x7fffff, v74
	v_cmp_gt_u32_e64 s16, 0x71, v75
	v_sub_nc_u32_e32 v77, 0x70, v75
	v_cmp_eq_u32_e32 vcc_lo, 0, v75
	v_or_b32_e32 v78, 0x800000, v24
	v_cndmask_b32_e64 v77, 0, v77, s16
	v_cndmask_b32_e32 v24, v78, v24, vcc_lo
	v_cndmask_b32_e64 v77, v77, 0x6f, vcc_lo
	v_lshl_add_u32 v78, 0x200000, v77, -1
	v_lshlrev_b32_e64 v79, v77, 0x100000
	v_and_b32_e32 v78, v78, v24
	v_cmp_eq_u32_e64 s16, v78, v79
	v_lshrrev_b32_e32 v78, v77, v24
	v_add_nc_u32_e32 v24, 0xffffff91, v75
	v_lshrrev_b32_e32 v75, 23, v78
	v_cndmask_b32_e64 v24, v24, 0xffffff92, vcc_lo
	v_xor_b32_e32 v75, 1, v75
	v_add_nc_u32_e32 v24, v77, v24
	v_bfe_u32 v77, v78, 21, 1
	v_add_nc_u32_e32 v77, -1, v77
	v_cndmask_b32_e64 v77, 0, v77, s16
	s_mov_b32 s16, exec_lo
	v_add_nc_u32_e32 v77, v77, v78
	v_and_b32_e32 v77, 0x1fffff, v77
	v_add_nc_u32_e32 v77, v77, v78
                                        ; implicit-def: $vgpr78
	v_cmpx_ne_u32_e64 v24, v75
	s_xor_b32 s16, exec_lo, s16
; %bb.5381:                             ;   in Loop: Header=BB6_3222 Depth=4
	v_cmp_lt_u32_e32 vcc_lo, 0xffffff, v77
	v_sub_nc_u32_e32 v24, v24, v75
	v_cndmask_b32_e64 v75, 0, 1, vcc_lo
	v_add_co_ci_u32_e64 v78, null, 0, v24, vcc_lo
	v_lshrrev_b32_e32 v77, v75, v77
; %bb.5382:                             ;   in Loop: Header=BB6_3222 Depth=4
	s_andn2_saveexec_b32 s16, s16
; %bb.5383:                             ;   in Loop: Header=BB6_3222 Depth=4
	v_bfe_u32 v78, v77, 23, 1
; %bb.5384:                             ;   in Loop: Header=BB6_3222 Depth=4
	s_or_b32 exec_lo, exec_lo, s16
	v_and_b32_sdwa v24, v74, v117 dst_sel:DWORD dst_unused:UNUSED_PAD src0_sel:BYTE_3 src1_sel:DWORD
	v_lshrrev_b32_e32 v74, 21, v77
	v_min_i32_e32 v75, 31, v78
	v_cmp_gt_i32_e32 vcc_lo, 32, v78
	v_lshlrev_b32_e32 v75, 2, v75
	v_cndmask_b32_e32 v74, 3, v74, vcc_lo
	v_and_b32_e32 v75, 0xfc, v75
	v_or_b32_e32 v77, v78, v74
	v_and_b32_e32 v74, 3, v74
	v_cmp_ne_u32_e32 vcc_lo, 0, v77
	v_or3_b32 v24, v75, v24, v74
	v_cndmask_b32_e32 v24, 0, v24, vcc_lo
.LBB6_5385:                             ;   in Loop: Header=BB6_3222 Depth=4
	s_or_b32 exec_lo, exec_lo, s73
.LBB6_5386:                             ;   in Loop: Header=BB6_3222 Depth=4
	s_or_b32 exec_lo, exec_lo, s72
	v_cmp_gt_i16_sdwa s72, v28, v116 src0_sel:BYTE_3 src1_sel:DWORD
	s_mov_b32 s16, 0
	s_and_saveexec_b32 s73, s72
	s_xor_b32 s72, exec_lo, s73
	s_cbranch_execz .LBB6_5784
; %bb.5387:                             ;   in Loop: Header=BB6_3222 Depth=4
	v_cmp_eq_u16_sdwa s74, v28, v117 src0_sel:BYTE_3 src1_sel:DWORD
	s_mov_b32 s16, -1
	s_and_saveexec_b32 s73, s74
; %bb.5388:                             ;   in Loop: Header=BB6_3222 Depth=4
	s_xor_b32 s16, exec_lo, -1
; %bb.5389:                             ;   in Loop: Header=BB6_3222 Depth=4
	s_or_b32 exec_lo, exec_lo, s73
	s_and_b32 s16, s16, exec_lo
	s_or_saveexec_b32 s72, s72
	v_mov_b32_e32 v74, 0x7f800001
	s_xor_b32 exec_lo, exec_lo, s72
	s_cbranch_execnz .LBB6_5785
.LBB6_5390:                             ;   in Loop: Header=BB6_3222 Depth=4
	s_or_b32 exec_lo, exec_lo, s72
	s_and_saveexec_b32 s72, s16
	s_cbranch_execz .LBB6_5392
.LBB6_5391:                             ;   in Loop: Header=BB6_3222 Depth=4
	v_bfe_u32 v74, v28, 24, 2
	v_bfe_u32 v78, v28, 26, 5
	v_ffbh_u32_e32 v75, v74
	v_cmp_eq_u32_e32 vcc_lo, 0, v78
	v_min_u32_e32 v75, 32, v75
	v_subrev_nc_u32_e32 v77, 29, v75
	v_sub_nc_u32_e32 v75, 30, v75
	v_lshlrev_b32_sdwa v77, v77, v28 dst_sel:DWORD dst_unused:UNUSED_PAD src0_sel:DWORD src1_sel:BYTE_3
	v_cndmask_b32_e32 v75, v78, v75, vcc_lo
	v_and_b32_e32 v28, 0x80000000, v28
	v_and_b32_e32 v77, 3, v77
	v_lshl_add_u32 v75, v75, 23, 0x37800000
	v_cndmask_b32_e32 v74, v74, v77, vcc_lo
	v_lshlrev_b32_e32 v74, 21, v74
	v_or3_b32 v74, v28, v75, v74
.LBB6_5392:                             ;   in Loop: Header=BB6_3222 Depth=4
	s_or_b32 exec_lo, exec_lo, s72
	v_cmp_gt_i16_sdwa s72, v11, v116 src0_sel:BYTE_3 src1_sel:DWORD
	s_mov_b32 s16, 0
	s_and_saveexec_b32 s73, s72
	s_xor_b32 s72, exec_lo, s73
	s_cbranch_execz .LBB6_5786
; %bb.5393:                             ;   in Loop: Header=BB6_3222 Depth=4
	v_cmp_eq_u16_sdwa s74, v11, v117 src0_sel:BYTE_3 src1_sel:DWORD
	s_mov_b32 s16, -1
	s_and_saveexec_b32 s73, s74
; %bb.5394:                             ;   in Loop: Header=BB6_3222 Depth=4
	s_xor_b32 s16, exec_lo, -1
; %bb.5395:                             ;   in Loop: Header=BB6_3222 Depth=4
	s_or_b32 exec_lo, exec_lo, s73
	s_and_b32 s16, s16, exec_lo
	s_or_saveexec_b32 s72, s72
	v_mov_b32_e32 v28, 0x7f800001
	s_xor_b32 exec_lo, exec_lo, s72
	s_cbranch_execnz .LBB6_5787
.LBB6_5396:                             ;   in Loop: Header=BB6_3222 Depth=4
	s_or_b32 exec_lo, exec_lo, s72
	s_and_saveexec_b32 s72, s16
	s_cbranch_execz .LBB6_5398
.LBB6_5397:                             ;   in Loop: Header=BB6_3222 Depth=4
	v_bfe_u32 v28, v11, 24, 2
	v_bfe_u32 v78, v11, 26, 5
	v_ffbh_u32_e32 v75, v28
	v_cmp_eq_u32_e32 vcc_lo, 0, v78
	v_min_u32_e32 v75, 32, v75
	v_subrev_nc_u32_e32 v77, 29, v75
	v_sub_nc_u32_e32 v75, 30, v75
	v_lshlrev_b32_sdwa v77, v77, v11 dst_sel:DWORD dst_unused:UNUSED_PAD src0_sel:DWORD src1_sel:BYTE_3
	v_cndmask_b32_e32 v75, v78, v75, vcc_lo
	v_and_b32_e32 v11, 0x80000000, v11
	v_and_b32_e32 v77, 3, v77
	v_lshl_add_u32 v75, v75, 23, 0x37800000
	v_cndmask_b32_e32 v28, v28, v77, vcc_lo
	v_lshlrev_b32_e32 v28, 21, v28
	v_or3_b32 v28, v11, v75, v28
.LBB6_5398:                             ;   in Loop: Header=BB6_3222 Depth=4
	s_or_b32 exec_lo, exec_lo, s72
	v_add_f32_e32 v11, v74, v28
	v_and_b32_e32 v28, 0x7f800000, v11
	v_cmp_ne_u32_e32 vcc_lo, 0x7f800000, v28
	v_mov_b32_e32 v28, 0x8000
	s_and_saveexec_b32 s72, vcc_lo
	s_cbranch_execz .LBB6_3221
; %bb.5399:                             ;   in Loop: Header=BB6_3222 Depth=4
	v_mov_b32_e32 v28, 0
	s_mov_b32 s73, exec_lo
	v_cmpx_ne_u32_e32 0, v11
	s_cbranch_execz .LBB6_3220
; %bb.5400:                             ;   in Loop: Header=BB6_3222 Depth=4
	v_bfe_u32 v74, v11, 23, 8
	v_and_b32_e32 v28, 0x7fffff, v11
	v_cmp_gt_u32_e64 s16, 0x71, v74
	v_sub_nc_u32_e32 v75, 0x70, v74
	v_cmp_eq_u32_e32 vcc_lo, 0, v74
	v_or_b32_e32 v77, 0x800000, v28
	v_cndmask_b32_e64 v75, 0, v75, s16
	v_cndmask_b32_e32 v28, v77, v28, vcc_lo
	v_cndmask_b32_e64 v75, v75, 0x6f, vcc_lo
	v_lshl_add_u32 v77, 0x200000, v75, -1
	v_lshlrev_b32_e64 v78, v75, 0x100000
	v_and_b32_e32 v77, v77, v28
	v_cmp_eq_u32_e64 s16, v77, v78
	v_lshrrev_b32_e32 v77, v75, v28
	v_add_nc_u32_e32 v28, 0xffffff91, v74
	v_lshrrev_b32_e32 v74, 23, v77
	v_cndmask_b32_e64 v28, v28, 0xffffff92, vcc_lo
	v_xor_b32_e32 v74, 1, v74
	v_add_nc_u32_e32 v28, v75, v28
	v_bfe_u32 v75, v77, 21, 1
	v_add_nc_u32_e32 v75, -1, v75
	v_cndmask_b32_e64 v75, 0, v75, s16
	s_mov_b32 s16, exec_lo
	v_add_nc_u32_e32 v75, v75, v77
	v_and_b32_e32 v75, 0x1fffff, v75
	v_add_nc_u32_e32 v75, v75, v77
                                        ; implicit-def: $vgpr77
	v_cmpx_ne_u32_e64 v28, v74
	s_xor_b32 s16, exec_lo, s16
; %bb.5401:                             ;   in Loop: Header=BB6_3222 Depth=4
	v_cmp_lt_u32_e32 vcc_lo, 0xffffff, v75
	v_sub_nc_u32_e32 v28, v28, v74
	v_cndmask_b32_e64 v74, 0, 1, vcc_lo
	v_add_co_ci_u32_e64 v77, null, 0, v28, vcc_lo
	v_lshrrev_b32_e32 v75, v74, v75
; %bb.5402:                             ;   in Loop: Header=BB6_3222 Depth=4
	s_andn2_saveexec_b32 s16, s16
	s_cbranch_execz .LBB6_3219
; %bb.5403:                             ;   in Loop: Header=BB6_3222 Depth=4
	v_bfe_u32 v77, v75, 23, 1
	s_branch .LBB6_3219
.LBB6_5404:                             ;   in Loop: Header=BB6_3222 Depth=4
	s_or_saveexec_b32 s73, s73
	v_mov_b32_e32 v0, 0x7f800001
	s_xor_b32 exec_lo, exec_lo, s73
	s_cbranch_execz .LBB6_3234
.LBB6_5405:                             ;   in Loop: Header=BB6_3222 Depth=4
	v_cmp_ne_u16_sdwa s74, v8, v2 src0_sel:BYTE_0 src1_sel:DWORD
	v_mov_b32_e32 v0, 0
	s_andn2_b32 s16, s16, exec_lo
	s_and_b32 s74, s74, exec_lo
	s_or_b32 s16, s16, s74
	s_or_b32 exec_lo, exec_lo, s73
	s_and_saveexec_b32 s73, s16
	s_cbranch_execnz .LBB6_3235
	s_branch .LBB6_3236
.LBB6_5406:                             ;   in Loop: Header=BB6_3222 Depth=4
	s_or_saveexec_b32 s73, s73
	v_mov_b32_e32 v0, 0x7f800001
	s_xor_b32 exec_lo, exec_lo, s73
	s_cbranch_execz .LBB6_3248
.LBB6_5407:                             ;   in Loop: Header=BB6_3222 Depth=4
	v_cmp_ne_u16_sdwa s74, v8, v2 src0_sel:BYTE_1 src1_sel:DWORD
	v_mov_b32_e32 v0, 0
	s_andn2_b32 s16, s16, exec_lo
	s_and_b32 s74, s74, exec_lo
	s_or_b32 s16, s16, s74
	s_or_b32 exec_lo, exec_lo, s73
	s_and_saveexec_b32 s73, s16
	s_cbranch_execnz .LBB6_3249
	s_branch .LBB6_3250
.LBB6_5408:                             ;   in Loop: Header=BB6_3222 Depth=4
	s_or_saveexec_b32 s73, s73
	v_mov_b32_e32 v0, 0x7f800001
	s_xor_b32 exec_lo, exec_lo, s73
	s_cbranch_execz .LBB6_3262
.LBB6_5409:                             ;   in Loop: Header=BB6_3222 Depth=4
	v_cmp_ne_u16_e32 vcc_lo, 0, v1
	v_mov_b32_e32 v0, 0
	s_andn2_b32 s16, s16, exec_lo
	s_and_b32 s74, vcc_lo, exec_lo
	s_or_b32 s16, s16, s74
	s_or_b32 exec_lo, exec_lo, s73
	s_and_saveexec_b32 s73, s16
	s_cbranch_execnz .LBB6_3263
	s_branch .LBB6_3264
.LBB6_5410:                             ;   in Loop: Header=BB6_3222 Depth=4
	s_or_saveexec_b32 s73, s73
	v_mov_b32_e32 v0, 0x7f800001
	s_xor_b32 exec_lo, exec_lo, s73
	s_cbranch_execz .LBB6_3276
.LBB6_5411:                             ;   in Loop: Header=BB6_3222 Depth=4
	v_cmp_ne_u16_sdwa s74, v8, v2 src0_sel:BYTE_3 src1_sel:DWORD
	v_mov_b32_e32 v0, 0
	s_andn2_b32 s16, s16, exec_lo
	s_and_b32 s74, s74, exec_lo
	s_or_b32 s16, s16, s74
	s_or_b32 exec_lo, exec_lo, s73
	s_and_saveexec_b32 s73, s16
	s_cbranch_execnz .LBB6_3277
	s_branch .LBB6_3278
.LBB6_5412:                             ;   in Loop: Header=BB6_3222 Depth=4
	s_or_saveexec_b32 s73, s73
	v_mov_b32_e32 v0, 0x7f800001
	s_xor_b32 exec_lo, exec_lo, s73
	s_cbranch_execz .LBB6_3290
.LBB6_5413:                             ;   in Loop: Header=BB6_3222 Depth=4
	v_cmp_ne_u16_sdwa s74, v9, v2 src0_sel:BYTE_0 src1_sel:DWORD
	v_mov_b32_e32 v0, 0
	s_andn2_b32 s16, s16, exec_lo
	s_and_b32 s74, s74, exec_lo
	s_or_b32 s16, s16, s74
	s_or_b32 exec_lo, exec_lo, s73
	s_and_saveexec_b32 s73, s16
	s_cbranch_execnz .LBB6_3291
	s_branch .LBB6_3292
.LBB6_5414:                             ;   in Loop: Header=BB6_3222 Depth=4
	s_or_saveexec_b32 s73, s73
	v_mov_b32_e32 v0, 0x7f800001
	s_xor_b32 exec_lo, exec_lo, s73
	s_cbranch_execz .LBB6_3304
.LBB6_5415:                             ;   in Loop: Header=BB6_3222 Depth=4
	v_cmp_ne_u16_sdwa s74, v9, v2 src0_sel:BYTE_1 src1_sel:DWORD
	v_mov_b32_e32 v0, 0
	s_andn2_b32 s16, s16, exec_lo
	s_and_b32 s74, s74, exec_lo
	s_or_b32 s16, s16, s74
	s_or_b32 exec_lo, exec_lo, s73
	s_and_saveexec_b32 s73, s16
	s_cbranch_execnz .LBB6_3305
	s_branch .LBB6_3306
.LBB6_5416:                             ;   in Loop: Header=BB6_3222 Depth=4
	s_or_saveexec_b32 s73, s73
	v_mov_b32_e32 v0, 0x7f800001
	s_xor_b32 exec_lo, exec_lo, s73
	s_cbranch_execz .LBB6_3318
.LBB6_5417:                             ;   in Loop: Header=BB6_3222 Depth=4
	v_cmp_ne_u16_e32 vcc_lo, 0, v1
	v_mov_b32_e32 v0, 0
	s_andn2_b32 s16, s16, exec_lo
	s_and_b32 s74, vcc_lo, exec_lo
	s_or_b32 s16, s16, s74
	s_or_b32 exec_lo, exec_lo, s73
	s_and_saveexec_b32 s73, s16
	s_cbranch_execnz .LBB6_3319
	s_branch .LBB6_3320
.LBB6_5418:                             ;   in Loop: Header=BB6_3222 Depth=4
	s_or_saveexec_b32 s73, s73
	v_mov_b32_e32 v0, 0x7f800001
	s_xor_b32 exec_lo, exec_lo, s73
	s_cbranch_execz .LBB6_3332
.LBB6_5419:                             ;   in Loop: Header=BB6_3222 Depth=4
	v_cmp_ne_u16_sdwa s74, v9, v2 src0_sel:BYTE_3 src1_sel:DWORD
	v_mov_b32_e32 v0, 0
	s_andn2_b32 s16, s16, exec_lo
	s_and_b32 s74, s74, exec_lo
	s_or_b32 s16, s16, s74
	s_or_b32 exec_lo, exec_lo, s73
	s_and_saveexec_b32 s73, s16
	s_cbranch_execnz .LBB6_3333
	s_branch .LBB6_3334
.LBB6_5420:                             ;   in Loop: Header=BB6_3222 Depth=4
	s_or_saveexec_b32 s73, s73
	v_mov_b32_e32 v0, 0x7f800001
	s_xor_b32 exec_lo, exec_lo, s73
	s_cbranch_execz .LBB6_3346
.LBB6_5421:                             ;   in Loop: Header=BB6_3222 Depth=4
	v_cmp_ne_u16_sdwa s74, v10, v2 src0_sel:BYTE_0 src1_sel:DWORD
	v_mov_b32_e32 v0, 0
	s_andn2_b32 s16, s16, exec_lo
	s_and_b32 s74, s74, exec_lo
	s_or_b32 s16, s16, s74
	s_or_b32 exec_lo, exec_lo, s73
	s_and_saveexec_b32 s73, s16
	s_cbranch_execnz .LBB6_3347
	s_branch .LBB6_3348
.LBB6_5422:                             ;   in Loop: Header=BB6_3222 Depth=4
	s_or_saveexec_b32 s73, s73
	v_mov_b32_e32 v0, 0x7f800001
	s_xor_b32 exec_lo, exec_lo, s73
	s_cbranch_execz .LBB6_3360
.LBB6_5423:                             ;   in Loop: Header=BB6_3222 Depth=4
	v_cmp_ne_u16_sdwa s74, v10, v2 src0_sel:BYTE_1 src1_sel:DWORD
	v_mov_b32_e32 v0, 0
	s_andn2_b32 s16, s16, exec_lo
	s_and_b32 s74, s74, exec_lo
	s_or_b32 s16, s16, s74
	s_or_b32 exec_lo, exec_lo, s73
	s_and_saveexec_b32 s73, s16
	s_cbranch_execnz .LBB6_3361
	s_branch .LBB6_3362
.LBB6_5424:                             ;   in Loop: Header=BB6_3222 Depth=4
	s_or_saveexec_b32 s73, s73
	v_mov_b32_e32 v0, 0x7f800001
	s_xor_b32 exec_lo, exec_lo, s73
	s_cbranch_execz .LBB6_3374
.LBB6_5425:                             ;   in Loop: Header=BB6_3222 Depth=4
	v_cmp_ne_u16_e32 vcc_lo, 0, v1
	v_mov_b32_e32 v0, 0
	s_andn2_b32 s16, s16, exec_lo
	s_and_b32 s74, vcc_lo, exec_lo
	s_or_b32 s16, s16, s74
	s_or_b32 exec_lo, exec_lo, s73
	s_and_saveexec_b32 s73, s16
	s_cbranch_execnz .LBB6_3375
	s_branch .LBB6_3376
.LBB6_5426:                             ;   in Loop: Header=BB6_3222 Depth=4
	s_or_saveexec_b32 s73, s73
	v_mov_b32_e32 v0, 0x7f800001
	s_xor_b32 exec_lo, exec_lo, s73
	s_cbranch_execz .LBB6_3388
.LBB6_5427:                             ;   in Loop: Header=BB6_3222 Depth=4
	v_cmp_ne_u16_sdwa s74, v10, v2 src0_sel:BYTE_3 src1_sel:DWORD
	v_mov_b32_e32 v0, 0
	s_andn2_b32 s16, s16, exec_lo
	s_and_b32 s74, s74, exec_lo
	s_or_b32 s16, s16, s74
	s_or_b32 exec_lo, exec_lo, s73
	s_and_saveexec_b32 s73, s16
	s_cbranch_execnz .LBB6_3389
	s_branch .LBB6_3390
.LBB6_5428:                             ;   in Loop: Header=BB6_3222 Depth=4
	s_or_saveexec_b32 s73, s73
	v_mov_b32_e32 v0, 0x7f800001
	s_xor_b32 exec_lo, exec_lo, s73
	s_cbranch_execz .LBB6_3402
.LBB6_5429:                             ;   in Loop: Header=BB6_3222 Depth=4
	v_cmp_ne_u16_sdwa s74, v11, v2 src0_sel:BYTE_0 src1_sel:DWORD
	v_mov_b32_e32 v0, 0
	s_andn2_b32 s16, s16, exec_lo
	s_and_b32 s74, s74, exec_lo
	s_or_b32 s16, s16, s74
	s_or_b32 exec_lo, exec_lo, s73
	s_and_saveexec_b32 s73, s16
	s_cbranch_execnz .LBB6_3403
	s_branch .LBB6_3404
.LBB6_5430:                             ;   in Loop: Header=BB6_3222 Depth=4
	s_or_saveexec_b32 s73, s73
	v_mov_b32_e32 v0, 0x7f800001
	s_xor_b32 exec_lo, exec_lo, s73
	s_cbranch_execz .LBB6_3416
.LBB6_5431:                             ;   in Loop: Header=BB6_3222 Depth=4
	v_cmp_ne_u16_sdwa s74, v11, v2 src0_sel:BYTE_1 src1_sel:DWORD
	v_mov_b32_e32 v0, 0
	s_andn2_b32 s16, s16, exec_lo
	s_and_b32 s74, s74, exec_lo
	s_or_b32 s16, s16, s74
	s_or_b32 exec_lo, exec_lo, s73
	s_and_saveexec_b32 s73, s16
	s_cbranch_execnz .LBB6_3417
	s_branch .LBB6_3418
.LBB6_5432:                             ;   in Loop: Header=BB6_3222 Depth=4
	s_or_saveexec_b32 s73, s73
	v_mov_b32_e32 v0, 0x7f800001
	s_xor_b32 exec_lo, exec_lo, s73
	s_cbranch_execz .LBB6_3430
.LBB6_5433:                             ;   in Loop: Header=BB6_3222 Depth=4
	v_cmp_ne_u16_e32 vcc_lo, 0, v1
	v_mov_b32_e32 v0, 0
	s_andn2_b32 s16, s16, exec_lo
	s_and_b32 s74, vcc_lo, exec_lo
	s_or_b32 s16, s16, s74
	s_or_b32 exec_lo, exec_lo, s73
	s_and_saveexec_b32 s73, s16
	s_cbranch_execnz .LBB6_3431
	s_branch .LBB6_3432
.LBB6_5434:                             ;   in Loop: Header=BB6_3222 Depth=4
	s_or_saveexec_b32 s73, s73
	v_mov_b32_e32 v0, 0x7f800001
	s_xor_b32 exec_lo, exec_lo, s73
	s_cbranch_execz .LBB6_3444
.LBB6_5435:                             ;   in Loop: Header=BB6_3222 Depth=4
	v_cmp_ne_u16_sdwa s74, v11, v2 src0_sel:BYTE_3 src1_sel:DWORD
	v_mov_b32_e32 v0, 0
	s_andn2_b32 s16, s16, exec_lo
	s_and_b32 s74, s74, exec_lo
	s_or_b32 s16, s16, s74
	s_or_b32 exec_lo, exec_lo, s73
	s_and_saveexec_b32 s73, s16
	s_cbranch_execnz .LBB6_3445
	s_branch .LBB6_3446
.LBB6_5436:                             ;   in Loop: Header=BB6_3222 Depth=4
	s_or_saveexec_b32 s73, s73
	v_mov_b32_e32 v0, 0x7f800001
	s_xor_b32 exec_lo, exec_lo, s73
	s_cbranch_execz .LBB6_3458
.LBB6_5437:                             ;   in Loop: Header=BB6_3222 Depth=4
	v_cmp_ne_u16_sdwa s74, v8, v2 src0_sel:BYTE_0 src1_sel:DWORD
	v_mov_b32_e32 v0, 0
	s_andn2_b32 s16, s16, exec_lo
	s_and_b32 s74, s74, exec_lo
	s_or_b32 s16, s16, s74
	s_or_b32 exec_lo, exec_lo, s73
	s_and_saveexec_b32 s73, s16
	s_cbranch_execnz .LBB6_3459
	s_branch .LBB6_3460
.LBB6_5438:                             ;   in Loop: Header=BB6_3222 Depth=4
	s_or_saveexec_b32 s73, s73
	v_mov_b32_e32 v1, 0x7f800001
	s_xor_b32 exec_lo, exec_lo, s73
	s_cbranch_execz .LBB6_3472
.LBB6_5439:                             ;   in Loop: Header=BB6_3222 Depth=4
	v_cmp_ne_u16_sdwa s74, v8, v2 src0_sel:BYTE_1 src1_sel:DWORD
	v_mov_b32_e32 v1, 0
	s_andn2_b32 s16, s16, exec_lo
	s_and_b32 s74, s74, exec_lo
	s_or_b32 s16, s16, s74
	s_or_b32 exec_lo, exec_lo, s73
	s_and_saveexec_b32 s73, s16
	s_cbranch_execnz .LBB6_3473
	s_branch .LBB6_3474
.LBB6_5440:                             ;   in Loop: Header=BB6_3222 Depth=4
	s_or_saveexec_b32 s73, s73
	v_mov_b32_e32 v1, 0x7f800001
	s_xor_b32 exec_lo, exec_lo, s73
	s_cbranch_execz .LBB6_3486
.LBB6_5441:                             ;   in Loop: Header=BB6_3222 Depth=4
	v_cmp_ne_u16_e32 vcc_lo, 0, v4
	v_mov_b32_e32 v1, 0
	s_andn2_b32 s16, s16, exec_lo
	s_and_b32 s74, vcc_lo, exec_lo
	s_or_b32 s16, s16, s74
	s_or_b32 exec_lo, exec_lo, s73
	s_and_saveexec_b32 s73, s16
	s_cbranch_execnz .LBB6_3487
	s_branch .LBB6_3488
.LBB6_5442:                             ;   in Loop: Header=BB6_3222 Depth=4
	s_or_saveexec_b32 s73, s73
	v_mov_b32_e32 v1, 0x7f800001
	s_xor_b32 exec_lo, exec_lo, s73
	s_cbranch_execz .LBB6_3500
.LBB6_5443:                             ;   in Loop: Header=BB6_3222 Depth=4
	v_cmp_ne_u16_sdwa s74, v8, v2 src0_sel:BYTE_3 src1_sel:DWORD
	v_mov_b32_e32 v1, 0
	s_andn2_b32 s16, s16, exec_lo
	s_and_b32 s74, s74, exec_lo
	s_or_b32 s16, s16, s74
	s_or_b32 exec_lo, exec_lo, s73
	s_and_saveexec_b32 s73, s16
	s_cbranch_execnz .LBB6_3501
	s_branch .LBB6_3502
.LBB6_5444:                             ;   in Loop: Header=BB6_3222 Depth=4
	s_or_saveexec_b32 s73, s73
	v_mov_b32_e32 v1, 0x7f800001
	s_xor_b32 exec_lo, exec_lo, s73
	s_cbranch_execz .LBB6_3514
.LBB6_5445:                             ;   in Loop: Header=BB6_3222 Depth=4
	v_cmp_ne_u16_sdwa s74, v9, v2 src0_sel:BYTE_0 src1_sel:DWORD
	v_mov_b32_e32 v1, 0
	s_andn2_b32 s16, s16, exec_lo
	s_and_b32 s74, s74, exec_lo
	s_or_b32 s16, s16, s74
	s_or_b32 exec_lo, exec_lo, s73
	s_and_saveexec_b32 s73, s16
	s_cbranch_execnz .LBB6_3515
	s_branch .LBB6_3516
.LBB6_5446:                             ;   in Loop: Header=BB6_3222 Depth=4
	s_or_saveexec_b32 s73, s73
	v_mov_b32_e32 v1, 0x7f800001
	s_xor_b32 exec_lo, exec_lo, s73
	s_cbranch_execz .LBB6_3528
.LBB6_5447:                             ;   in Loop: Header=BB6_3222 Depth=4
	v_cmp_ne_u16_sdwa s74, v9, v2 src0_sel:BYTE_1 src1_sel:DWORD
	v_mov_b32_e32 v1, 0
	s_andn2_b32 s16, s16, exec_lo
	s_and_b32 s74, s74, exec_lo
	s_or_b32 s16, s16, s74
	s_or_b32 exec_lo, exec_lo, s73
	s_and_saveexec_b32 s73, s16
	s_cbranch_execnz .LBB6_3529
	s_branch .LBB6_3530
.LBB6_5448:                             ;   in Loop: Header=BB6_3222 Depth=4
	s_or_saveexec_b32 s73, s73
	v_mov_b32_e32 v1, 0x7f800001
	s_xor_b32 exec_lo, exec_lo, s73
	s_cbranch_execz .LBB6_3542
.LBB6_5449:                             ;   in Loop: Header=BB6_3222 Depth=4
	v_cmp_ne_u16_e32 vcc_lo, 0, v4
	v_mov_b32_e32 v1, 0
	s_andn2_b32 s16, s16, exec_lo
	s_and_b32 s74, vcc_lo, exec_lo
	s_or_b32 s16, s16, s74
	s_or_b32 exec_lo, exec_lo, s73
	s_and_saveexec_b32 s73, s16
	s_cbranch_execnz .LBB6_3543
	s_branch .LBB6_3544
.LBB6_5450:                             ;   in Loop: Header=BB6_3222 Depth=4
	s_or_saveexec_b32 s73, s73
	v_mov_b32_e32 v1, 0x7f800001
	s_xor_b32 exec_lo, exec_lo, s73
	s_cbranch_execz .LBB6_3556
.LBB6_5451:                             ;   in Loop: Header=BB6_3222 Depth=4
	v_cmp_ne_u16_sdwa s74, v9, v2 src0_sel:BYTE_3 src1_sel:DWORD
	v_mov_b32_e32 v1, 0
	s_andn2_b32 s16, s16, exec_lo
	s_and_b32 s74, s74, exec_lo
	s_or_b32 s16, s16, s74
	s_or_b32 exec_lo, exec_lo, s73
	s_and_saveexec_b32 s73, s16
	s_cbranch_execnz .LBB6_3557
	s_branch .LBB6_3558
.LBB6_5452:                             ;   in Loop: Header=BB6_3222 Depth=4
	s_or_saveexec_b32 s73, s73
	v_mov_b32_e32 v1, 0x7f800001
	s_xor_b32 exec_lo, exec_lo, s73
	s_cbranch_execz .LBB6_3570
.LBB6_5453:                             ;   in Loop: Header=BB6_3222 Depth=4
	v_cmp_ne_u16_sdwa s74, v10, v2 src0_sel:BYTE_0 src1_sel:DWORD
	v_mov_b32_e32 v1, 0
	s_andn2_b32 s16, s16, exec_lo
	s_and_b32 s74, s74, exec_lo
	s_or_b32 s16, s16, s74
	s_or_b32 exec_lo, exec_lo, s73
	s_and_saveexec_b32 s73, s16
	s_cbranch_execnz .LBB6_3571
	s_branch .LBB6_3572
.LBB6_5454:                             ;   in Loop: Header=BB6_3222 Depth=4
	s_or_saveexec_b32 s73, s73
	v_mov_b32_e32 v1, 0x7f800001
	s_xor_b32 exec_lo, exec_lo, s73
	s_cbranch_execz .LBB6_3584
.LBB6_5455:                             ;   in Loop: Header=BB6_3222 Depth=4
	v_cmp_ne_u16_sdwa s74, v10, v2 src0_sel:BYTE_1 src1_sel:DWORD
	v_mov_b32_e32 v1, 0
	s_andn2_b32 s16, s16, exec_lo
	s_and_b32 s74, s74, exec_lo
	s_or_b32 s16, s16, s74
	s_or_b32 exec_lo, exec_lo, s73
	s_and_saveexec_b32 s73, s16
	s_cbranch_execnz .LBB6_3585
	s_branch .LBB6_3586
.LBB6_5456:                             ;   in Loop: Header=BB6_3222 Depth=4
	s_or_saveexec_b32 s73, s73
	v_mov_b32_e32 v1, 0x7f800001
	s_xor_b32 exec_lo, exec_lo, s73
	s_cbranch_execz .LBB6_3598
.LBB6_5457:                             ;   in Loop: Header=BB6_3222 Depth=4
	v_cmp_ne_u16_e32 vcc_lo, 0, v4
	v_mov_b32_e32 v1, 0
	s_andn2_b32 s16, s16, exec_lo
	s_and_b32 s74, vcc_lo, exec_lo
	s_or_b32 s16, s16, s74
	s_or_b32 exec_lo, exec_lo, s73
	s_and_saveexec_b32 s73, s16
	s_cbranch_execnz .LBB6_3599
	s_branch .LBB6_3600
.LBB6_5458:                             ;   in Loop: Header=BB6_3222 Depth=4
	s_or_saveexec_b32 s73, s73
	v_mov_b32_e32 v1, 0x7f800001
	s_xor_b32 exec_lo, exec_lo, s73
	s_cbranch_execz .LBB6_3612
.LBB6_5459:                             ;   in Loop: Header=BB6_3222 Depth=4
	v_cmp_ne_u16_sdwa s74, v10, v2 src0_sel:BYTE_3 src1_sel:DWORD
	v_mov_b32_e32 v1, 0
	s_andn2_b32 s16, s16, exec_lo
	s_and_b32 s74, s74, exec_lo
	s_or_b32 s16, s16, s74
	s_or_b32 exec_lo, exec_lo, s73
	s_and_saveexec_b32 s73, s16
	s_cbranch_execnz .LBB6_3613
	s_branch .LBB6_3614
.LBB6_5460:                             ;   in Loop: Header=BB6_3222 Depth=4
	s_or_saveexec_b32 s73, s73
	v_mov_b32_e32 v1, 0x7f800001
	s_xor_b32 exec_lo, exec_lo, s73
	s_cbranch_execz .LBB6_3626
.LBB6_5461:                             ;   in Loop: Header=BB6_3222 Depth=4
	v_cmp_ne_u16_sdwa s74, v11, v2 src0_sel:BYTE_0 src1_sel:DWORD
	v_mov_b32_e32 v1, 0
	s_andn2_b32 s16, s16, exec_lo
	s_and_b32 s74, s74, exec_lo
	s_or_b32 s16, s16, s74
	s_or_b32 exec_lo, exec_lo, s73
	s_and_saveexec_b32 s73, s16
	s_cbranch_execnz .LBB6_3627
	s_branch .LBB6_3628
.LBB6_5462:                             ;   in Loop: Header=BB6_3222 Depth=4
	s_or_saveexec_b32 s73, s73
	v_mov_b32_e32 v1, 0x7f800001
	s_xor_b32 exec_lo, exec_lo, s73
	s_cbranch_execz .LBB6_3640
.LBB6_5463:                             ;   in Loop: Header=BB6_3222 Depth=4
	v_cmp_ne_u16_sdwa s74, v11, v2 src0_sel:BYTE_1 src1_sel:DWORD
	v_mov_b32_e32 v1, 0
	s_andn2_b32 s16, s16, exec_lo
	s_and_b32 s74, s74, exec_lo
	s_or_b32 s16, s16, s74
	s_or_b32 exec_lo, exec_lo, s73
	s_and_saveexec_b32 s73, s16
	s_cbranch_execnz .LBB6_3641
	s_branch .LBB6_3642
.LBB6_5464:                             ;   in Loop: Header=BB6_3222 Depth=4
	s_or_saveexec_b32 s73, s73
	v_mov_b32_e32 v1, 0x7f800001
	s_xor_b32 exec_lo, exec_lo, s73
	s_cbranch_execz .LBB6_3654
.LBB6_5465:                             ;   in Loop: Header=BB6_3222 Depth=4
	v_cmp_ne_u16_e32 vcc_lo, 0, v4
	v_mov_b32_e32 v1, 0
	s_andn2_b32 s16, s16, exec_lo
	s_and_b32 s74, vcc_lo, exec_lo
	s_or_b32 s16, s16, s74
	s_or_b32 exec_lo, exec_lo, s73
	s_and_saveexec_b32 s73, s16
	s_cbranch_execnz .LBB6_3655
	s_branch .LBB6_3656
.LBB6_5466:                             ;   in Loop: Header=BB6_3222 Depth=4
	s_or_saveexec_b32 s73, s73
	v_mov_b32_e32 v1, 0x7f800001
	s_xor_b32 exec_lo, exec_lo, s73
	s_cbranch_execz .LBB6_3668
.LBB6_5467:                             ;   in Loop: Header=BB6_3222 Depth=4
	v_cmp_ne_u16_sdwa s74, v11, v2 src0_sel:BYTE_3 src1_sel:DWORD
	v_mov_b32_e32 v1, 0
	s_andn2_b32 s16, s16, exec_lo
	s_and_b32 s74, s74, exec_lo
	s_or_b32 s16, s16, s74
	s_or_b32 exec_lo, exec_lo, s73
	s_and_saveexec_b32 s73, s16
	s_cbranch_execnz .LBB6_3669
	s_branch .LBB6_3670
.LBB6_5468:                             ;   in Loop: Header=BB6_3222 Depth=4
	s_or_saveexec_b32 s73, s73
	v_mov_b32_e32 v1, 0x7f800001
	s_xor_b32 exec_lo, exec_lo, s73
	s_cbranch_execz .LBB6_3682
.LBB6_5469:                             ;   in Loop: Header=BB6_3222 Depth=4
	v_cmp_ne_u16_sdwa s74, v8, v2 src0_sel:BYTE_0 src1_sel:DWORD
	v_mov_b32_e32 v1, 0
	s_andn2_b32 s16, s16, exec_lo
	s_and_b32 s74, s74, exec_lo
	s_or_b32 s16, s16, s74
	s_or_b32 exec_lo, exec_lo, s73
	s_and_saveexec_b32 s73, s16
	s_cbranch_execnz .LBB6_3683
	s_branch .LBB6_3684
.LBB6_5470:                             ;   in Loop: Header=BB6_3222 Depth=4
	s_or_saveexec_b32 s73, s73
	v_mov_b32_e32 v1, 0x7f800001
	s_xor_b32 exec_lo, exec_lo, s73
	s_cbranch_execz .LBB6_3696
.LBB6_5471:                             ;   in Loop: Header=BB6_3222 Depth=4
	v_cmp_ne_u16_sdwa s74, v8, v2 src0_sel:BYTE_1 src1_sel:DWORD
	v_mov_b32_e32 v1, 0
	s_andn2_b32 s16, s16, exec_lo
	s_and_b32 s74, s74, exec_lo
	s_or_b32 s16, s16, s74
	s_or_b32 exec_lo, exec_lo, s73
	s_and_saveexec_b32 s73, s16
	s_cbranch_execnz .LBB6_3697
	s_branch .LBB6_3698
.LBB6_5472:                             ;   in Loop: Header=BB6_3222 Depth=4
	s_or_saveexec_b32 s16, s16
	v_mov_b32_e32 v1, 0x7f800001
	s_xor_b32 exec_lo, exec_lo, s16
	s_cbranch_execz .LBB6_3710
.LBB6_5473:                             ;   in Loop: Header=BB6_3222 Depth=4
	v_cmp_ne_u16_e32 vcc_lo, 0, v4
	v_mov_b32_e32 v1, 0
	s_andn2_b32 s73, s73, exec_lo
	s_and_b32 s74, vcc_lo, exec_lo
	s_or_b32 s73, s73, s74
	s_or_b32 exec_lo, exec_lo, s16
	s_and_saveexec_b32 s16, s73
	s_cbranch_execnz .LBB6_3711
	s_branch .LBB6_3712
.LBB6_5474:                             ;   in Loop: Header=BB6_3222 Depth=4
	s_or_saveexec_b32 s73, s73
	v_mov_b32_e32 v1, 0x7f800001
	s_xor_b32 exec_lo, exec_lo, s73
	s_cbranch_execz .LBB6_3724
.LBB6_5475:                             ;   in Loop: Header=BB6_3222 Depth=4
	v_cmp_ne_u16_sdwa s74, v8, v2 src0_sel:BYTE_3 src1_sel:DWORD
	v_mov_b32_e32 v1, 0
	s_andn2_b32 s16, s16, exec_lo
	s_and_b32 s74, s74, exec_lo
	s_or_b32 s16, s16, s74
	s_or_b32 exec_lo, exec_lo, s73
	s_and_saveexec_b32 s73, s16
	s_cbranch_execnz .LBB6_3725
	s_branch .LBB6_3726
.LBB6_5476:                             ;   in Loop: Header=BB6_3222 Depth=4
	s_or_saveexec_b32 s16, s16
	v_mov_b32_e32 v1, 0x7f800001
	s_xor_b32 exec_lo, exec_lo, s16
	s_cbranch_execz .LBB6_3738
.LBB6_5477:                             ;   in Loop: Header=BB6_3222 Depth=4
	v_cmp_ne_u16_sdwa s74, v9, v2 src0_sel:BYTE_0 src1_sel:DWORD
	v_mov_b32_e32 v1, 0
	s_andn2_b32 s73, s73, exec_lo
	s_and_b32 s74, s74, exec_lo
	s_or_b32 s73, s73, s74
	s_or_b32 exec_lo, exec_lo, s16
	s_and_saveexec_b32 s16, s73
	s_cbranch_execnz .LBB6_3739
	s_branch .LBB6_3740
.LBB6_5478:                             ;   in Loop: Header=BB6_3222 Depth=4
	s_or_saveexec_b32 s73, s73
	v_mov_b32_e32 v1, 0x7f800001
	s_xor_b32 exec_lo, exec_lo, s73
	s_cbranch_execz .LBB6_3752
.LBB6_5479:                             ;   in Loop: Header=BB6_3222 Depth=4
	v_cmp_ne_u16_sdwa s74, v9, v2 src0_sel:BYTE_1 src1_sel:DWORD
	v_mov_b32_e32 v1, 0
	s_andn2_b32 s16, s16, exec_lo
	s_and_b32 s74, s74, exec_lo
	s_or_b32 s16, s16, s74
	s_or_b32 exec_lo, exec_lo, s73
	s_and_saveexec_b32 s73, s16
	s_cbranch_execnz .LBB6_3753
	s_branch .LBB6_3754
.LBB6_5480:                             ;   in Loop: Header=BB6_3222 Depth=4
	s_or_saveexec_b32 s16, s16
	v_mov_b32_e32 v4, 0x7f800001
	s_xor_b32 exec_lo, exec_lo, s16
	s_cbranch_execz .LBB6_3766
.LBB6_5481:                             ;   in Loop: Header=BB6_3222 Depth=4
	v_cmp_ne_u16_e32 vcc_lo, 0, v5
	v_mov_b32_e32 v4, 0
	s_andn2_b32 s73, s73, exec_lo
	s_and_b32 s74, vcc_lo, exec_lo
	s_or_b32 s73, s73, s74
	s_or_b32 exec_lo, exec_lo, s16
	s_and_saveexec_b32 s16, s73
	s_cbranch_execnz .LBB6_3767
	s_branch .LBB6_3768
.LBB6_5482:                             ;   in Loop: Header=BB6_3222 Depth=4
	s_or_saveexec_b32 s73, s73
	v_mov_b32_e32 v4, 0x7f800001
	s_xor_b32 exec_lo, exec_lo, s73
	s_cbranch_execz .LBB6_3780
.LBB6_5483:                             ;   in Loop: Header=BB6_3222 Depth=4
	v_cmp_ne_u16_sdwa s74, v9, v2 src0_sel:BYTE_3 src1_sel:DWORD
	v_mov_b32_e32 v4, 0
	s_andn2_b32 s16, s16, exec_lo
	s_and_b32 s74, s74, exec_lo
	s_or_b32 s16, s16, s74
	s_or_b32 exec_lo, exec_lo, s73
	s_and_saveexec_b32 s73, s16
	s_cbranch_execnz .LBB6_3781
	s_branch .LBB6_3782
.LBB6_5484:                             ;   in Loop: Header=BB6_3222 Depth=4
	s_or_saveexec_b32 s16, s16
	v_mov_b32_e32 v4, 0x7f800001
	s_xor_b32 exec_lo, exec_lo, s16
	s_cbranch_execz .LBB6_3794
.LBB6_5485:                             ;   in Loop: Header=BB6_3222 Depth=4
	v_cmp_ne_u16_sdwa s74, v10, v2 src0_sel:BYTE_0 src1_sel:DWORD
	v_mov_b32_e32 v4, 0
	s_andn2_b32 s73, s73, exec_lo
	s_and_b32 s74, s74, exec_lo
	s_or_b32 s73, s73, s74
	s_or_b32 exec_lo, exec_lo, s16
	s_and_saveexec_b32 s16, s73
	s_cbranch_execnz .LBB6_3795
	s_branch .LBB6_3796
.LBB6_5486:                             ;   in Loop: Header=BB6_3222 Depth=4
	s_or_saveexec_b32 s73, s73
	v_mov_b32_e32 v4, 0x7f800001
	s_xor_b32 exec_lo, exec_lo, s73
	s_cbranch_execz .LBB6_3808
.LBB6_5487:                             ;   in Loop: Header=BB6_3222 Depth=4
	v_cmp_ne_u16_sdwa s74, v10, v2 src0_sel:BYTE_1 src1_sel:DWORD
	v_mov_b32_e32 v4, 0
	s_andn2_b32 s16, s16, exec_lo
	s_and_b32 s74, s74, exec_lo
	s_or_b32 s16, s16, s74
	s_or_b32 exec_lo, exec_lo, s73
	s_and_saveexec_b32 s73, s16
	s_cbranch_execnz .LBB6_3809
	s_branch .LBB6_3810
.LBB6_5488:                             ;   in Loop: Header=BB6_3222 Depth=4
	s_or_saveexec_b32 s16, s16
	v_mov_b32_e32 v4, 0x7f800001
	s_xor_b32 exec_lo, exec_lo, s16
	s_cbranch_execz .LBB6_3822
.LBB6_5489:                             ;   in Loop: Header=BB6_3222 Depth=4
	v_cmp_ne_u16_e32 vcc_lo, 0, v5
	v_mov_b32_e32 v4, 0
	s_andn2_b32 s73, s73, exec_lo
	s_and_b32 s74, vcc_lo, exec_lo
	s_or_b32 s73, s73, s74
	s_or_b32 exec_lo, exec_lo, s16
	s_and_saveexec_b32 s16, s73
	s_cbranch_execnz .LBB6_3823
	s_branch .LBB6_3824
.LBB6_5490:                             ;   in Loop: Header=BB6_3222 Depth=4
	s_or_saveexec_b32 s73, s73
	v_mov_b32_e32 v4, 0x7f800001
	s_xor_b32 exec_lo, exec_lo, s73
	s_cbranch_execz .LBB6_3836
.LBB6_5491:                             ;   in Loop: Header=BB6_3222 Depth=4
	v_cmp_ne_u16_sdwa s74, v10, v2 src0_sel:BYTE_3 src1_sel:DWORD
	v_mov_b32_e32 v4, 0
	s_andn2_b32 s16, s16, exec_lo
	s_and_b32 s74, s74, exec_lo
	s_or_b32 s16, s16, s74
	s_or_b32 exec_lo, exec_lo, s73
	s_and_saveexec_b32 s73, s16
	s_cbranch_execnz .LBB6_3837
	s_branch .LBB6_3838
.LBB6_5492:                             ;   in Loop: Header=BB6_3222 Depth=4
	s_or_saveexec_b32 s16, s16
	v_mov_b32_e32 v4, 0x7f800001
	s_xor_b32 exec_lo, exec_lo, s16
	s_cbranch_execz .LBB6_3850
.LBB6_5493:                             ;   in Loop: Header=BB6_3222 Depth=4
	v_cmp_ne_u16_sdwa s74, v11, v2 src0_sel:BYTE_0 src1_sel:DWORD
	v_mov_b32_e32 v4, 0
	s_andn2_b32 s73, s73, exec_lo
	s_and_b32 s74, s74, exec_lo
	s_or_b32 s73, s73, s74
	s_or_b32 exec_lo, exec_lo, s16
	s_and_saveexec_b32 s16, s73
	s_cbranch_execnz .LBB6_3851
	s_branch .LBB6_3852
.LBB6_5494:                             ;   in Loop: Header=BB6_3222 Depth=4
	s_or_saveexec_b32 s73, s73
	v_mov_b32_e32 v4, 0x7f800001
	s_xor_b32 exec_lo, exec_lo, s73
	s_cbranch_execz .LBB6_3864
.LBB6_5495:                             ;   in Loop: Header=BB6_3222 Depth=4
	v_cmp_ne_u16_sdwa s74, v11, v2 src0_sel:BYTE_1 src1_sel:DWORD
	v_mov_b32_e32 v4, 0
	s_andn2_b32 s16, s16, exec_lo
	s_and_b32 s74, s74, exec_lo
	s_or_b32 s16, s16, s74
	s_or_b32 exec_lo, exec_lo, s73
	s_and_saveexec_b32 s73, s16
	s_cbranch_execnz .LBB6_3865
	s_branch .LBB6_3866
.LBB6_5496:                             ;   in Loop: Header=BB6_3222 Depth=4
	s_or_saveexec_b32 s16, s16
	v_mov_b32_e32 v4, 0x7f800001
	s_xor_b32 exec_lo, exec_lo, s16
	s_cbranch_execz .LBB6_3878
.LBB6_5497:                             ;   in Loop: Header=BB6_3222 Depth=4
	v_cmp_ne_u16_e32 vcc_lo, 0, v5
	v_mov_b32_e32 v4, 0
	s_andn2_b32 s73, s73, exec_lo
	s_and_b32 s74, vcc_lo, exec_lo
	s_or_b32 s73, s73, s74
	s_or_b32 exec_lo, exec_lo, s16
	s_and_saveexec_b32 s16, s73
	s_cbranch_execnz .LBB6_3879
	s_branch .LBB6_3880
.LBB6_5498:                             ;   in Loop: Header=BB6_3222 Depth=4
	s_or_saveexec_b32 s73, s73
	v_mov_b32_e32 v4, 0x7f800001
	s_xor_b32 exec_lo, exec_lo, s73
	s_cbranch_execz .LBB6_3892
.LBB6_5499:                             ;   in Loop: Header=BB6_3222 Depth=4
	v_cmp_ne_u16_sdwa s74, v11, v2 src0_sel:BYTE_3 src1_sel:DWORD
	v_mov_b32_e32 v4, 0
	s_andn2_b32 s16, s16, exec_lo
	s_and_b32 s74, s74, exec_lo
	s_or_b32 s16, s16, s74
	s_or_b32 exec_lo, exec_lo, s73
	s_and_saveexec_b32 s73, s16
	s_cbranch_execnz .LBB6_3893
	s_branch .LBB6_3894
.LBB6_5500:                             ;   in Loop: Header=BB6_3222 Depth=4
	s_or_saveexec_b32 s16, s16
	v_mov_b32_e32 v4, 0x7f800001
	s_xor_b32 exec_lo, exec_lo, s16
	s_cbranch_execz .LBB6_3906
.LBB6_5501:                             ;   in Loop: Header=BB6_3222 Depth=4
	v_cmp_ne_u16_sdwa s74, v8, v2 src0_sel:BYTE_0 src1_sel:DWORD
	v_mov_b32_e32 v4, 0
	s_andn2_b32 s73, s73, exec_lo
	s_and_b32 s74, s74, exec_lo
	s_or_b32 s73, s73, s74
	s_or_b32 exec_lo, exec_lo, s16
	s_and_saveexec_b32 s16, s73
	s_cbranch_execnz .LBB6_3907
	s_branch .LBB6_3908
.LBB6_5502:                             ;   in Loop: Header=BB6_3222 Depth=4
	s_or_saveexec_b32 s73, s73
	v_mov_b32_e32 v4, 0x7f800001
	s_xor_b32 exec_lo, exec_lo, s73
	s_cbranch_execz .LBB6_3920
.LBB6_5503:                             ;   in Loop: Header=BB6_3222 Depth=4
	v_cmp_ne_u16_sdwa s74, v8, v2 src0_sel:BYTE_1 src1_sel:DWORD
	v_mov_b32_e32 v4, 0
	s_andn2_b32 s16, s16, exec_lo
	s_and_b32 s74, s74, exec_lo
	s_or_b32 s16, s16, s74
	s_or_b32 exec_lo, exec_lo, s73
	s_and_saveexec_b32 s73, s16
	s_cbranch_execnz .LBB6_3921
	s_branch .LBB6_3922
.LBB6_5504:                             ;   in Loop: Header=BB6_3222 Depth=4
	s_or_saveexec_b32 s16, s16
	v_mov_b32_e32 v4, 0x7f800001
	s_xor_b32 exec_lo, exec_lo, s16
	s_cbranch_execz .LBB6_3934
.LBB6_5505:                             ;   in Loop: Header=BB6_3222 Depth=4
	v_cmp_ne_u16_e32 vcc_lo, 0, v5
	v_mov_b32_e32 v4, 0
	s_andn2_b32 s73, s73, exec_lo
	s_and_b32 s74, vcc_lo, exec_lo
	s_or_b32 s73, s73, s74
	s_or_b32 exec_lo, exec_lo, s16
	s_and_saveexec_b32 s16, s73
	s_cbranch_execnz .LBB6_3935
	s_branch .LBB6_3936
.LBB6_5506:                             ;   in Loop: Header=BB6_3222 Depth=4
	s_or_saveexec_b32 s73, s73
	v_mov_b32_e32 v4, 0x7f800001
	s_xor_b32 exec_lo, exec_lo, s73
	s_cbranch_execz .LBB6_3948
.LBB6_5507:                             ;   in Loop: Header=BB6_3222 Depth=4
	v_cmp_ne_u16_sdwa s74, v8, v2 src0_sel:BYTE_3 src1_sel:DWORD
	v_mov_b32_e32 v4, 0
	s_andn2_b32 s16, s16, exec_lo
	s_and_b32 s74, s74, exec_lo
	s_or_b32 s16, s16, s74
	s_or_b32 exec_lo, exec_lo, s73
	s_and_saveexec_b32 s73, s16
	s_cbranch_execnz .LBB6_3949
	s_branch .LBB6_3950
.LBB6_5508:                             ;   in Loop: Header=BB6_3222 Depth=4
	s_or_saveexec_b32 s16, s16
	v_mov_b32_e32 v4, 0x7f800001
	s_xor_b32 exec_lo, exec_lo, s16
	s_cbranch_execz .LBB6_3962
.LBB6_5509:                             ;   in Loop: Header=BB6_3222 Depth=4
	v_cmp_ne_u16_sdwa s74, v9, v2 src0_sel:BYTE_0 src1_sel:DWORD
	v_mov_b32_e32 v4, 0
	s_andn2_b32 s73, s73, exec_lo
	s_and_b32 s74, s74, exec_lo
	s_or_b32 s73, s73, s74
	s_or_b32 exec_lo, exec_lo, s16
	s_and_saveexec_b32 s16, s73
	s_cbranch_execnz .LBB6_3963
	s_branch .LBB6_3964
.LBB6_5510:                             ;   in Loop: Header=BB6_3222 Depth=4
	s_or_saveexec_b32 s73, s73
	v_mov_b32_e32 v4, 0x7f800001
	s_xor_b32 exec_lo, exec_lo, s73
	s_cbranch_execz .LBB6_3976
.LBB6_5511:                             ;   in Loop: Header=BB6_3222 Depth=4
	v_cmp_ne_u16_sdwa s74, v9, v2 src0_sel:BYTE_1 src1_sel:DWORD
	v_mov_b32_e32 v4, 0
	s_andn2_b32 s16, s16, exec_lo
	s_and_b32 s74, s74, exec_lo
	s_or_b32 s16, s16, s74
	s_or_b32 exec_lo, exec_lo, s73
	s_and_saveexec_b32 s73, s16
	s_cbranch_execnz .LBB6_3977
	s_branch .LBB6_3978
.LBB6_5512:                             ;   in Loop: Header=BB6_3222 Depth=4
	s_or_saveexec_b32 s16, s16
	v_mov_b32_e32 v4, 0x7f800001
	s_xor_b32 exec_lo, exec_lo, s16
	s_cbranch_execz .LBB6_3990
.LBB6_5513:                             ;   in Loop: Header=BB6_3222 Depth=4
	v_cmp_ne_u16_e32 vcc_lo, 0, v6
	v_mov_b32_e32 v4, 0
	s_andn2_b32 s73, s73, exec_lo
	s_and_b32 s74, vcc_lo, exec_lo
	s_or_b32 s73, s73, s74
	s_or_b32 exec_lo, exec_lo, s16
	s_and_saveexec_b32 s16, s73
	s_cbranch_execnz .LBB6_3991
	s_branch .LBB6_3992
.LBB6_5514:                             ;   in Loop: Header=BB6_3222 Depth=4
	s_or_saveexec_b32 s73, s73
	v_mov_b32_e32 v4, 0x7f800001
	s_xor_b32 exec_lo, exec_lo, s73
	s_cbranch_execz .LBB6_4004
.LBB6_5515:                             ;   in Loop: Header=BB6_3222 Depth=4
	v_cmp_ne_u16_sdwa s74, v9, v2 src0_sel:BYTE_3 src1_sel:DWORD
	v_mov_b32_e32 v4, 0
	s_andn2_b32 s16, s16, exec_lo
	s_and_b32 s74, s74, exec_lo
	s_or_b32 s16, s16, s74
	s_or_b32 exec_lo, exec_lo, s73
	s_and_saveexec_b32 s73, s16
	s_cbranch_execnz .LBB6_4005
	s_branch .LBB6_4006
.LBB6_5516:                             ;   in Loop: Header=BB6_3222 Depth=4
	s_or_saveexec_b32 s16, s16
	v_mov_b32_e32 v6, 0x7f800001
	s_xor_b32 exec_lo, exec_lo, s16
	s_cbranch_execz .LBB6_4018
.LBB6_5517:                             ;   in Loop: Header=BB6_3222 Depth=4
	v_cmp_ne_u16_sdwa s74, v10, v2 src0_sel:BYTE_0 src1_sel:DWORD
	v_mov_b32_e32 v6, 0
	s_andn2_b32 s73, s73, exec_lo
	s_and_b32 s74, s74, exec_lo
	s_or_b32 s73, s73, s74
	s_or_b32 exec_lo, exec_lo, s16
	s_and_saveexec_b32 s16, s73
	s_cbranch_execnz .LBB6_4019
	s_branch .LBB6_4020
.LBB6_5518:                             ;   in Loop: Header=BB6_3222 Depth=4
	s_or_saveexec_b32 s73, s73
	v_mov_b32_e32 v6, 0x7f800001
	s_xor_b32 exec_lo, exec_lo, s73
	s_cbranch_execz .LBB6_4032
.LBB6_5519:                             ;   in Loop: Header=BB6_3222 Depth=4
	v_cmp_ne_u16_sdwa s74, v10, v2 src0_sel:BYTE_1 src1_sel:DWORD
	v_mov_b32_e32 v6, 0
	s_andn2_b32 s16, s16, exec_lo
	s_and_b32 s74, s74, exec_lo
	s_or_b32 s16, s16, s74
	s_or_b32 exec_lo, exec_lo, s73
	s_and_saveexec_b32 s73, s16
	s_cbranch_execnz .LBB6_4033
	s_branch .LBB6_4034
.LBB6_5520:                             ;   in Loop: Header=BB6_3222 Depth=4
	s_or_saveexec_b32 s16, s16
	v_mov_b32_e32 v6, 0x7f800001
	s_xor_b32 exec_lo, exec_lo, s16
	s_cbranch_execz .LBB6_4046
.LBB6_5521:                             ;   in Loop: Header=BB6_3222 Depth=4
	v_cmp_ne_u16_e32 vcc_lo, 0, v7
	v_mov_b32_e32 v6, 0
	s_andn2_b32 s73, s73, exec_lo
	s_and_b32 s74, vcc_lo, exec_lo
	s_or_b32 s73, s73, s74
	s_or_b32 exec_lo, exec_lo, s16
	s_and_saveexec_b32 s16, s73
	s_cbranch_execnz .LBB6_4047
	s_branch .LBB6_4048
.LBB6_5522:                             ;   in Loop: Header=BB6_3222 Depth=4
	s_or_saveexec_b32 s73, s73
	v_mov_b32_e32 v6, 0x7f800001
	s_xor_b32 exec_lo, exec_lo, s73
	s_cbranch_execz .LBB6_4060
.LBB6_5523:                             ;   in Loop: Header=BB6_3222 Depth=4
	v_cmp_ne_u16_sdwa s74, v10, v2 src0_sel:BYTE_3 src1_sel:DWORD
	v_mov_b32_e32 v6, 0
	s_andn2_b32 s16, s16, exec_lo
	s_and_b32 s74, s74, exec_lo
	s_or_b32 s16, s16, s74
	s_or_b32 exec_lo, exec_lo, s73
	s_and_saveexec_b32 s73, s16
	s_cbranch_execnz .LBB6_4061
	s_branch .LBB6_4062
.LBB6_5524:                             ;   in Loop: Header=BB6_3222 Depth=4
	s_or_saveexec_b32 s16, s16
	v_mov_b32_e32 v6, 0x7f800001
	s_xor_b32 exec_lo, exec_lo, s16
	s_cbranch_execz .LBB6_4074
.LBB6_5525:                             ;   in Loop: Header=BB6_3222 Depth=4
	v_cmp_ne_u16_sdwa s74, v11, v2 src0_sel:BYTE_0 src1_sel:DWORD
	v_mov_b32_e32 v6, 0
	s_andn2_b32 s73, s73, exec_lo
	s_and_b32 s74, s74, exec_lo
	s_or_b32 s73, s73, s74
	s_or_b32 exec_lo, exec_lo, s16
	s_and_saveexec_b32 s16, s73
	s_cbranch_execnz .LBB6_4075
	s_branch .LBB6_4076
.LBB6_5526:                             ;   in Loop: Header=BB6_3222 Depth=4
	s_or_saveexec_b32 s73, s73
	v_mov_b32_e32 v6, 0x7f800001
	s_xor_b32 exec_lo, exec_lo, s73
	s_cbranch_execz .LBB6_4088
.LBB6_5527:                             ;   in Loop: Header=BB6_3222 Depth=4
	v_cmp_ne_u16_sdwa s74, v11, v2 src0_sel:BYTE_1 src1_sel:DWORD
	v_mov_b32_e32 v6, 0
	s_andn2_b32 s16, s16, exec_lo
	s_and_b32 s74, s74, exec_lo
	s_or_b32 s16, s16, s74
	s_or_b32 exec_lo, exec_lo, s73
	s_and_saveexec_b32 s73, s16
	s_cbranch_execnz .LBB6_4089
	s_branch .LBB6_4090
.LBB6_5528:                             ;   in Loop: Header=BB6_3222 Depth=4
	s_or_saveexec_b32 s16, s16
	v_mov_b32_e32 v6, 0x7f800001
	s_xor_b32 exec_lo, exec_lo, s16
	s_cbranch_execz .LBB6_4102
.LBB6_5529:                             ;   in Loop: Header=BB6_3222 Depth=4
	v_cmp_ne_u16_e32 vcc_lo, 0, v7
	v_mov_b32_e32 v6, 0
	s_andn2_b32 s73, s73, exec_lo
	s_and_b32 s74, vcc_lo, exec_lo
	s_or_b32 s73, s73, s74
	s_or_b32 exec_lo, exec_lo, s16
	s_and_saveexec_b32 s16, s73
	s_cbranch_execnz .LBB6_4103
	s_branch .LBB6_4104
.LBB6_5530:                             ;   in Loop: Header=BB6_3222 Depth=4
	s_or_saveexec_b32 s73, s73
	v_mov_b32_e32 v6, 0x7f800001
	s_xor_b32 exec_lo, exec_lo, s73
	s_cbranch_execz .LBB6_4116
.LBB6_5531:                             ;   in Loop: Header=BB6_3222 Depth=4
	v_cmp_ne_u16_sdwa s74, v11, v2 src0_sel:BYTE_3 src1_sel:DWORD
	v_mov_b32_e32 v6, 0
	s_andn2_b32 s16, s16, exec_lo
	s_and_b32 s74, s74, exec_lo
	s_or_b32 s16, s16, s74
	s_or_b32 exec_lo, exec_lo, s73
	s_and_saveexec_b32 s73, s16
	s_cbranch_execnz .LBB6_4117
	s_branch .LBB6_4118
.LBB6_5532:                             ;   in Loop: Header=BB6_3222 Depth=4
	s_or_saveexec_b32 s16, s16
	v_mov_b32_e32 v7, 0x7f800001
	s_xor_b32 exec_lo, exec_lo, s16
	s_cbranch_execz .LBB6_4130
.LBB6_5533:                             ;   in Loop: Header=BB6_3222 Depth=4
	v_cmp_ne_u16_sdwa s73, v6, v2 src0_sel:BYTE_0 src1_sel:DWORD
	v_mov_b32_e32 v7, 0
	s_andn2_b32 s72, s72, exec_lo
	s_and_b32 s73, s73, exec_lo
	s_or_b32 s72, s72, s73
	s_or_b32 exec_lo, exec_lo, s16
	s_and_saveexec_b32 s16, s72
	s_cbranch_execnz .LBB6_4131
	s_branch .LBB6_4132
.LBB6_5534:                             ;   in Loop: Header=BB6_3222 Depth=4
	s_or_saveexec_b32 s16, s16
	v_mov_b32_e32 v26, 0x7f800001
	s_xor_b32 exec_lo, exec_lo, s16
	s_cbranch_execz .LBB6_4136
.LBB6_5535:                             ;   in Loop: Header=BB6_3222 Depth=4
	v_cmp_ne_u16_sdwa s73, v20, v2 src0_sel:BYTE_0 src1_sel:DWORD
	v_mov_b32_e32 v26, 0
	s_andn2_b32 s72, s72, exec_lo
	s_and_b32 s73, s73, exec_lo
	s_or_b32 s72, s72, s73
	s_or_b32 exec_lo, exec_lo, s16
	s_and_saveexec_b32 s16, s72
	s_cbranch_execnz .LBB6_4137
	s_branch .LBB6_4138
.LBB6_5536:                             ;   in Loop: Header=BB6_3222 Depth=4
	s_or_saveexec_b32 s16, s16
	v_mov_b32_e32 v7, 0x7f800001
	s_xor_b32 exec_lo, exec_lo, s16
	s_cbranch_execz .LBB6_4150
.LBB6_5537:                             ;   in Loop: Header=BB6_3222 Depth=4
	v_cmp_ne_u16_sdwa s73, v6, v2 src0_sel:BYTE_1 src1_sel:DWORD
	v_mov_b32_e32 v7, 0
	s_andn2_b32 s72, s72, exec_lo
	s_and_b32 s73, s73, exec_lo
	s_or_b32 s72, s72, s73
	s_or_b32 exec_lo, exec_lo, s16
	s_and_saveexec_b32 s16, s72
	s_cbranch_execnz .LBB6_4151
	s_branch .LBB6_4152
.LBB6_5538:                             ;   in Loop: Header=BB6_3222 Depth=4
	s_or_saveexec_b32 s16, s16
	v_mov_b32_e32 v27, 0x7f800001
	s_xor_b32 exec_lo, exec_lo, s16
	s_cbranch_execz .LBB6_4156
.LBB6_5539:                             ;   in Loop: Header=BB6_3222 Depth=4
	v_cmp_ne_u16_sdwa s73, v20, v2 src0_sel:BYTE_1 src1_sel:DWORD
	v_mov_b32_e32 v27, 0
	s_andn2_b32 s72, s72, exec_lo
	s_and_b32 s73, s73, exec_lo
	s_or_b32 s72, s72, s73
	s_or_b32 exec_lo, exec_lo, s16
	s_and_saveexec_b32 s16, s72
	s_cbranch_execnz .LBB6_4157
	s_branch .LBB6_4158
.LBB6_5540:                             ;   in Loop: Header=BB6_3222 Depth=4
	s_or_saveexec_b32 s16, s16
	v_mov_b32_e32 v7, 0x7f800001
	s_xor_b32 exec_lo, exec_lo, s16
	s_cbranch_execz .LBB6_4170
.LBB6_5541:                             ;   in Loop: Header=BB6_3222 Depth=4
	v_cmp_ne_u16_sdwa s73, v36, v2 src0_sel:BYTE_0 src1_sel:DWORD
	v_mov_b32_e32 v7, 0
	s_andn2_b32 s72, s72, exec_lo
	s_and_b32 s73, s73, exec_lo
	s_or_b32 s72, s72, s73
	s_or_b32 exec_lo, exec_lo, s16
	v_lshl_or_b32 v6, v36, 16, v6
	s_and_saveexec_b32 s16, s72
	s_cbranch_execnz .LBB6_4171
	s_branch .LBB6_4172
.LBB6_5542:                             ;   in Loop: Header=BB6_3222 Depth=4
	s_or_saveexec_b32 s16, s16
	v_mov_b32_e32 v36, 0x7f800001
	s_xor_b32 exec_lo, exec_lo, s16
	s_cbranch_execz .LBB6_4176
.LBB6_5543:                             ;   in Loop: Header=BB6_3222 Depth=4
	v_cmp_ne_u16_e32 vcc_lo, 0, v37
	v_mov_b32_e32 v36, 0
	s_andn2_b32 s72, s72, exec_lo
	s_and_b32 s73, vcc_lo, exec_lo
	s_or_b32 s72, s72, s73
	s_or_b32 exec_lo, exec_lo, s16
	s_and_saveexec_b32 s16, s72
	s_cbranch_execnz .LBB6_4177
	s_branch .LBB6_4178
.LBB6_5544:                             ;   in Loop: Header=BB6_3222 Depth=4
	s_or_saveexec_b32 s16, s16
	v_mov_b32_e32 v7, 0x7f800001
	s_xor_b32 exec_lo, exec_lo, s16
	s_cbranch_execz .LBB6_4190
.LBB6_5545:                             ;   in Loop: Header=BB6_3222 Depth=4
	v_cmp_ne_u16_sdwa s73, v6, v2 src0_sel:BYTE_3 src1_sel:DWORD
	v_mov_b32_e32 v7, 0
	s_andn2_b32 s72, s72, exec_lo
	s_and_b32 s73, s73, exec_lo
	s_or_b32 s72, s72, s73
	s_or_b32 exec_lo, exec_lo, s16
	s_and_saveexec_b32 s16, s72
	s_cbranch_execnz .LBB6_4191
	s_branch .LBB6_4192
.LBB6_5546:                             ;   in Loop: Header=BB6_3222 Depth=4
	s_or_saveexec_b32 s16, s16
	v_mov_b32_e32 v6, 0x7f800001
	s_xor_b32 exec_lo, exec_lo, s16
	s_cbranch_execz .LBB6_4196
.LBB6_5547:                             ;   in Loop: Header=BB6_3222 Depth=4
	v_cmp_ne_u16_sdwa s73, v20, v2 src0_sel:BYTE_3 src1_sel:DWORD
	v_mov_b32_e32 v6, 0
	s_andn2_b32 s72, s72, exec_lo
	s_and_b32 s73, s73, exec_lo
	s_or_b32 s72, s72, s73
	s_or_b32 exec_lo, exec_lo, s16
	s_and_saveexec_b32 s16, s72
	s_cbranch_execnz .LBB6_4197
	s_branch .LBB6_4198
.LBB6_5548:                             ;   in Loop: Header=BB6_3222 Depth=4
	s_or_saveexec_b32 s16, s16
	v_mov_b32_e32 v7, 0x7f800001
	s_xor_b32 exec_lo, exec_lo, s16
	s_cbranch_execz .LBB6_4210
.LBB6_5549:                             ;   in Loop: Header=BB6_3222 Depth=4
	v_cmp_ne_u16_sdwa s73, v6, v2 src0_sel:BYTE_0 src1_sel:DWORD
	v_mov_b32_e32 v7, 0
	s_andn2_b32 s72, s72, exec_lo
	s_and_b32 s73, s73, exec_lo
	s_or_b32 s72, s72, s73
	s_or_b32 exec_lo, exec_lo, s16
	s_and_saveexec_b32 s16, s72
	s_cbranch_execnz .LBB6_4211
	s_branch .LBB6_4212
.LBB6_5550:                             ;   in Loop: Header=BB6_3222 Depth=4
	s_or_saveexec_b32 s16, s16
	v_mov_b32_e32 v36, 0x7f800001
	s_xor_b32 exec_lo, exec_lo, s16
	s_cbranch_execz .LBB6_4216
.LBB6_5551:                             ;   in Loop: Header=BB6_3222 Depth=4
	v_cmp_ne_u16_sdwa s73, v21, v2 src0_sel:BYTE_0 src1_sel:DWORD
	v_mov_b32_e32 v36, 0
	s_andn2_b32 s72, s72, exec_lo
	s_and_b32 s73, s73, exec_lo
	s_or_b32 s72, s72, s73
	s_or_b32 exec_lo, exec_lo, s16
	s_and_saveexec_b32 s16, s72
	s_cbranch_execnz .LBB6_4217
	s_branch .LBB6_4218
.LBB6_5552:                             ;   in Loop: Header=BB6_3222 Depth=4
	s_or_saveexec_b32 s16, s16
	v_mov_b32_e32 v7, 0x7f800001
	s_xor_b32 exec_lo, exec_lo, s16
	s_cbranch_execz .LBB6_4230
.LBB6_5553:                             ;   in Loop: Header=BB6_3222 Depth=4
	v_cmp_ne_u16_sdwa s73, v6, v2 src0_sel:BYTE_1 src1_sel:DWORD
	v_mov_b32_e32 v7, 0
	s_andn2_b32 s72, s72, exec_lo
	s_and_b32 s73, s73, exec_lo
	s_or_b32 s72, s72, s73
	s_or_b32 exec_lo, exec_lo, s16
	s_and_saveexec_b32 s16, s72
	s_cbranch_execnz .LBB6_4231
	s_branch .LBB6_4232
.LBB6_5554:                             ;   in Loop: Header=BB6_3222 Depth=4
	s_or_saveexec_b32 s16, s16
	v_mov_b32_e32 v36, 0x7f800001
	s_xor_b32 exec_lo, exec_lo, s16
	s_cbranch_execz .LBB6_4236
.LBB6_5555:                             ;   in Loop: Header=BB6_3222 Depth=4
	v_cmp_ne_u16_sdwa s73, v21, v2 src0_sel:BYTE_1 src1_sel:DWORD
	v_mov_b32_e32 v36, 0
	s_andn2_b32 s72, s72, exec_lo
	s_and_b32 s73, s73, exec_lo
	s_or_b32 s72, s72, s73
	s_or_b32 exec_lo, exec_lo, s16
	s_and_saveexec_b32 s16, s72
	s_cbranch_execnz .LBB6_4237
	s_branch .LBB6_4238
.LBB6_5556:                             ;   in Loop: Header=BB6_3222 Depth=4
	s_or_saveexec_b32 s16, s16
	v_mov_b32_e32 v7, 0x7f800001
	s_xor_b32 exec_lo, exec_lo, s16
	s_cbranch_execz .LBB6_4250
.LBB6_5557:                             ;   in Loop: Header=BB6_3222 Depth=4
	v_cmp_ne_u16_sdwa s73, v36, v2 src0_sel:BYTE_0 src1_sel:DWORD
	v_mov_b32_e32 v7, 0
	s_andn2_b32 s72, s72, exec_lo
	s_and_b32 s73, s73, exec_lo
	s_or_b32 s72, s72, s73
	s_or_b32 exec_lo, exec_lo, s16
	v_lshl_or_b32 v6, v36, 16, v6
	s_and_saveexec_b32 s16, s72
	s_cbranch_execnz .LBB6_4251
	s_branch .LBB6_4252
.LBB6_5558:                             ;   in Loop: Header=BB6_3222 Depth=4
	s_or_saveexec_b32 s16, s16
	v_mov_b32_e32 v36, 0x7f800001
	s_xor_b32 exec_lo, exec_lo, s16
	s_cbranch_execz .LBB6_4256
.LBB6_5559:                             ;   in Loop: Header=BB6_3222 Depth=4
	v_cmp_ne_u16_e32 vcc_lo, 0, v37
	v_mov_b32_e32 v36, 0
	s_andn2_b32 s72, s72, exec_lo
	s_and_b32 s73, vcc_lo, exec_lo
	s_or_b32 s72, s72, s73
	s_or_b32 exec_lo, exec_lo, s16
	s_and_saveexec_b32 s16, s72
	s_cbranch_execnz .LBB6_4257
	s_branch .LBB6_4258
.LBB6_5560:                             ;   in Loop: Header=BB6_3222 Depth=4
	s_or_saveexec_b32 s16, s16
	v_mov_b32_e32 v7, 0x7f800001
	s_xor_b32 exec_lo, exec_lo, s16
	s_cbranch_execz .LBB6_4270
.LBB6_5561:                             ;   in Loop: Header=BB6_3222 Depth=4
	v_cmp_ne_u16_sdwa s73, v6, v2 src0_sel:BYTE_3 src1_sel:DWORD
	v_mov_b32_e32 v7, 0
	s_andn2_b32 s72, s72, exec_lo
	s_and_b32 s73, s73, exec_lo
	s_or_b32 s72, s72, s73
	s_or_b32 exec_lo, exec_lo, s16
	s_and_saveexec_b32 s16, s72
	s_cbranch_execnz .LBB6_4271
	s_branch .LBB6_4272
.LBB6_5562:                             ;   in Loop: Header=BB6_3222 Depth=4
	s_or_saveexec_b32 s16, s16
	v_mov_b32_e32 v6, 0x7f800001
	s_xor_b32 exec_lo, exec_lo, s16
	s_cbranch_execz .LBB6_4276
.LBB6_5563:                             ;   in Loop: Header=BB6_3222 Depth=4
	v_cmp_ne_u16_sdwa s73, v21, v2 src0_sel:BYTE_3 src1_sel:DWORD
	v_mov_b32_e32 v6, 0
	s_andn2_b32 s72, s72, exec_lo
	s_and_b32 s73, s73, exec_lo
	s_or_b32 s72, s72, s73
	s_or_b32 exec_lo, exec_lo, s16
	s_and_saveexec_b32 s16, s72
	s_cbranch_execnz .LBB6_4277
	s_branch .LBB6_4278
.LBB6_5564:                             ;   in Loop: Header=BB6_3222 Depth=4
	s_or_saveexec_b32 s16, s16
	v_mov_b32_e32 v7, 0x7f800001
	s_xor_b32 exec_lo, exec_lo, s16
	s_cbranch_execz .LBB6_4290
.LBB6_5565:                             ;   in Loop: Header=BB6_3222 Depth=4
	v_cmp_ne_u16_sdwa s73, v6, v2 src0_sel:BYTE_0 src1_sel:DWORD
	v_mov_b32_e32 v7, 0
	s_andn2_b32 s72, s72, exec_lo
	s_and_b32 s73, s73, exec_lo
	s_or_b32 s72, s72, s73
	s_or_b32 exec_lo, exec_lo, s16
	s_and_saveexec_b32 s16, s72
	s_cbranch_execnz .LBB6_4291
	s_branch .LBB6_4292
.LBB6_5566:                             ;   in Loop: Header=BB6_3222 Depth=4
	s_or_saveexec_b32 s16, s16
	v_mov_b32_e32 v36, 0x7f800001
	s_xor_b32 exec_lo, exec_lo, s16
	s_cbranch_execz .LBB6_4296
.LBB6_5567:                             ;   in Loop: Header=BB6_3222 Depth=4
	v_cmp_ne_u16_sdwa s73, v22, v2 src0_sel:BYTE_0 src1_sel:DWORD
	v_mov_b32_e32 v36, 0
	s_andn2_b32 s72, s72, exec_lo
	s_and_b32 s73, s73, exec_lo
	s_or_b32 s72, s72, s73
	s_or_b32 exec_lo, exec_lo, s16
	s_and_saveexec_b32 s16, s72
	s_cbranch_execnz .LBB6_4297
	s_branch .LBB6_4298
.LBB6_5568:                             ;   in Loop: Header=BB6_3222 Depth=4
	s_or_saveexec_b32 s16, s16
	v_mov_b32_e32 v7, 0x7f800001
	s_xor_b32 exec_lo, exec_lo, s16
	s_cbranch_execz .LBB6_4310
.LBB6_5569:                             ;   in Loop: Header=BB6_3222 Depth=4
	v_cmp_ne_u16_sdwa s73, v6, v2 src0_sel:BYTE_1 src1_sel:DWORD
	v_mov_b32_e32 v7, 0
	s_andn2_b32 s72, s72, exec_lo
	s_and_b32 s73, s73, exec_lo
	s_or_b32 s72, s72, s73
	s_or_b32 exec_lo, exec_lo, s16
	s_and_saveexec_b32 s16, s72
	s_cbranch_execnz .LBB6_4311
	s_branch .LBB6_4312
.LBB6_5570:                             ;   in Loop: Header=BB6_3222 Depth=4
	s_or_saveexec_b32 s16, s16
	v_mov_b32_e32 v36, 0x7f800001
	s_xor_b32 exec_lo, exec_lo, s16
	s_cbranch_execz .LBB6_4316
.LBB6_5571:                             ;   in Loop: Header=BB6_3222 Depth=4
	v_cmp_ne_u16_sdwa s73, v22, v2 src0_sel:BYTE_1 src1_sel:DWORD
	v_mov_b32_e32 v36, 0
	s_andn2_b32 s72, s72, exec_lo
	s_and_b32 s73, s73, exec_lo
	s_or_b32 s72, s72, s73
	s_or_b32 exec_lo, exec_lo, s16
	s_and_saveexec_b32 s16, s72
	s_cbranch_execnz .LBB6_4317
	s_branch .LBB6_4318
.LBB6_5572:                             ;   in Loop: Header=BB6_3222 Depth=4
	s_or_saveexec_b32 s16, s16
	v_mov_b32_e32 v7, 0x7f800001
	s_xor_b32 exec_lo, exec_lo, s16
	s_cbranch_execz .LBB6_4330
.LBB6_5573:                             ;   in Loop: Header=BB6_3222 Depth=4
	v_cmp_ne_u16_sdwa s73, v36, v2 src0_sel:BYTE_0 src1_sel:DWORD
	v_mov_b32_e32 v7, 0
	s_andn2_b32 s72, s72, exec_lo
	s_and_b32 s73, s73, exec_lo
	s_or_b32 s72, s72, s73
	s_or_b32 exec_lo, exec_lo, s16
	v_lshl_or_b32 v6, v36, 16, v6
	s_and_saveexec_b32 s16, s72
	s_cbranch_execnz .LBB6_4331
	s_branch .LBB6_4332
.LBB6_5574:                             ;   in Loop: Header=BB6_3222 Depth=4
	s_or_saveexec_b32 s16, s16
	v_mov_b32_e32 v36, 0x7f800001
	s_xor_b32 exec_lo, exec_lo, s16
	s_cbranch_execz .LBB6_4336
.LBB6_5575:                             ;   in Loop: Header=BB6_3222 Depth=4
	v_cmp_ne_u16_e32 vcc_lo, 0, v37
	v_mov_b32_e32 v36, 0
	s_andn2_b32 s72, s72, exec_lo
	s_and_b32 s73, vcc_lo, exec_lo
	s_or_b32 s72, s72, s73
	s_or_b32 exec_lo, exec_lo, s16
	s_and_saveexec_b32 s16, s72
	s_cbranch_execnz .LBB6_4337
	s_branch .LBB6_4338
.LBB6_5576:                             ;   in Loop: Header=BB6_3222 Depth=4
	s_or_saveexec_b32 s16, s16
	v_mov_b32_e32 v7, 0x7f800001
	s_xor_b32 exec_lo, exec_lo, s16
	s_cbranch_execz .LBB6_4350
.LBB6_5577:                             ;   in Loop: Header=BB6_3222 Depth=4
	v_cmp_ne_u16_sdwa s73, v6, v2 src0_sel:BYTE_3 src1_sel:DWORD
	v_mov_b32_e32 v7, 0
	s_andn2_b32 s72, s72, exec_lo
	s_and_b32 s73, s73, exec_lo
	s_or_b32 s72, s72, s73
	s_or_b32 exec_lo, exec_lo, s16
	s_and_saveexec_b32 s16, s72
	s_cbranch_execnz .LBB6_4351
	s_branch .LBB6_4352
.LBB6_5578:                             ;   in Loop: Header=BB6_3222 Depth=4
	s_or_saveexec_b32 s16, s16
	v_mov_b32_e32 v6, 0x7f800001
	s_xor_b32 exec_lo, exec_lo, s16
	s_cbranch_execz .LBB6_4356
.LBB6_5579:                             ;   in Loop: Header=BB6_3222 Depth=4
	v_cmp_ne_u16_sdwa s73, v22, v2 src0_sel:BYTE_3 src1_sel:DWORD
	v_mov_b32_e32 v6, 0
	s_andn2_b32 s72, s72, exec_lo
	s_and_b32 s73, s73, exec_lo
	s_or_b32 s72, s72, s73
	s_or_b32 exec_lo, exec_lo, s16
	s_and_saveexec_b32 s16, s72
	s_cbranch_execnz .LBB6_4357
	s_branch .LBB6_4358
.LBB6_5580:                             ;   in Loop: Header=BB6_3222 Depth=4
	s_or_saveexec_b32 s16, s16
	v_mov_b32_e32 v7, 0x7f800001
	s_xor_b32 exec_lo, exec_lo, s16
	s_cbranch_execz .LBB6_4370
.LBB6_5581:                             ;   in Loop: Header=BB6_3222 Depth=4
	v_cmp_ne_u16_sdwa s73, v6, v2 src0_sel:BYTE_0 src1_sel:DWORD
	v_mov_b32_e32 v7, 0
	s_andn2_b32 s72, s72, exec_lo
	s_and_b32 s73, s73, exec_lo
	s_or_b32 s72, s72, s73
	s_or_b32 exec_lo, exec_lo, s16
	s_and_saveexec_b32 s16, s72
	s_cbranch_execnz .LBB6_4371
	s_branch .LBB6_4372
.LBB6_5582:                             ;   in Loop: Header=BB6_3222 Depth=4
	s_or_saveexec_b32 s16, s16
	v_mov_b32_e32 v36, 0x7f800001
	s_xor_b32 exec_lo, exec_lo, s16
	s_cbranch_execz .LBB6_4376
.LBB6_5583:                             ;   in Loop: Header=BB6_3222 Depth=4
	v_cmp_ne_u16_sdwa s73, v23, v2 src0_sel:BYTE_0 src1_sel:DWORD
	v_mov_b32_e32 v36, 0
	s_andn2_b32 s72, s72, exec_lo
	s_and_b32 s73, s73, exec_lo
	s_or_b32 s72, s72, s73
	s_or_b32 exec_lo, exec_lo, s16
	s_and_saveexec_b32 s16, s72
	s_cbranch_execnz .LBB6_4377
	s_branch .LBB6_4378
.LBB6_5584:                             ;   in Loop: Header=BB6_3222 Depth=4
	s_or_saveexec_b32 s16, s16
	v_mov_b32_e32 v7, 0x7f800001
	s_xor_b32 exec_lo, exec_lo, s16
	s_cbranch_execz .LBB6_4390
.LBB6_5585:                             ;   in Loop: Header=BB6_3222 Depth=4
	v_cmp_ne_u16_sdwa s73, v6, v2 src0_sel:BYTE_1 src1_sel:DWORD
	v_mov_b32_e32 v7, 0
	s_andn2_b32 s72, s72, exec_lo
	s_and_b32 s73, s73, exec_lo
	s_or_b32 s72, s72, s73
	s_or_b32 exec_lo, exec_lo, s16
	s_and_saveexec_b32 s16, s72
	s_cbranch_execnz .LBB6_4391
	s_branch .LBB6_4392
.LBB6_5586:                             ;   in Loop: Header=BB6_3222 Depth=4
	s_or_saveexec_b32 s16, s16
	v_mov_b32_e32 v36, 0x7f800001
	s_xor_b32 exec_lo, exec_lo, s16
	s_cbranch_execz .LBB6_4396
.LBB6_5587:                             ;   in Loop: Header=BB6_3222 Depth=4
	v_cmp_ne_u16_sdwa s73, v23, v2 src0_sel:BYTE_1 src1_sel:DWORD
	v_mov_b32_e32 v36, 0
	s_andn2_b32 s72, s72, exec_lo
	s_and_b32 s73, s73, exec_lo
	s_or_b32 s72, s72, s73
	s_or_b32 exec_lo, exec_lo, s16
	s_and_saveexec_b32 s16, s72
	s_cbranch_execnz .LBB6_4397
	s_branch .LBB6_4398
.LBB6_5588:                             ;   in Loop: Header=BB6_3222 Depth=4
	s_or_saveexec_b32 s16, s16
	v_mov_b32_e32 v7, 0x7f800001
	s_xor_b32 exec_lo, exec_lo, s16
	s_cbranch_execz .LBB6_4410
.LBB6_5589:                             ;   in Loop: Header=BB6_3222 Depth=4
	v_cmp_ne_u16_sdwa s73, v36, v2 src0_sel:BYTE_0 src1_sel:DWORD
	v_mov_b32_e32 v7, 0
	s_andn2_b32 s72, s72, exec_lo
	s_and_b32 s73, s73, exec_lo
	s_or_b32 s72, s72, s73
	s_or_b32 exec_lo, exec_lo, s16
	v_lshl_or_b32 v6, v36, 16, v6
	s_and_saveexec_b32 s16, s72
	s_cbranch_execnz .LBB6_4411
	s_branch .LBB6_4412
.LBB6_5590:                             ;   in Loop: Header=BB6_3222 Depth=4
	s_or_saveexec_b32 s16, s16
	v_mov_b32_e32 v36, 0x7f800001
	s_xor_b32 exec_lo, exec_lo, s16
	s_cbranch_execz .LBB6_4416
.LBB6_5591:                             ;   in Loop: Header=BB6_3222 Depth=4
	v_cmp_ne_u16_e32 vcc_lo, 0, v37
	v_mov_b32_e32 v36, 0
	s_andn2_b32 s72, s72, exec_lo
	s_and_b32 s73, vcc_lo, exec_lo
	s_or_b32 s72, s72, s73
	s_or_b32 exec_lo, exec_lo, s16
	s_and_saveexec_b32 s16, s72
	s_cbranch_execnz .LBB6_4417
	s_branch .LBB6_4418
.LBB6_5592:                             ;   in Loop: Header=BB6_3222 Depth=4
	s_or_saveexec_b32 s16, s16
	v_mov_b32_e32 v7, 0x7f800001
	s_xor_b32 exec_lo, exec_lo, s16
	s_cbranch_execz .LBB6_4430
.LBB6_5593:                             ;   in Loop: Header=BB6_3222 Depth=4
	v_cmp_ne_u16_sdwa s73, v6, v2 src0_sel:BYTE_3 src1_sel:DWORD
	v_mov_b32_e32 v7, 0
	s_andn2_b32 s72, s72, exec_lo
	s_and_b32 s73, s73, exec_lo
	s_or_b32 s72, s72, s73
	s_or_b32 exec_lo, exec_lo, s16
	s_and_saveexec_b32 s16, s72
	s_cbranch_execnz .LBB6_4431
	s_branch .LBB6_4432
.LBB6_5594:                             ;   in Loop: Header=BB6_3222 Depth=4
	s_or_saveexec_b32 s16, s16
	v_mov_b32_e32 v6, 0x7f800001
	s_xor_b32 exec_lo, exec_lo, s16
	s_cbranch_execz .LBB6_4436
.LBB6_5595:                             ;   in Loop: Header=BB6_3222 Depth=4
	v_cmp_ne_u16_sdwa s73, v23, v2 src0_sel:BYTE_3 src1_sel:DWORD
	v_mov_b32_e32 v6, 0
	s_andn2_b32 s72, s72, exec_lo
	s_and_b32 s73, s73, exec_lo
	s_or_b32 s72, s72, s73
	s_or_b32 exec_lo, exec_lo, s16
	s_and_saveexec_b32 s16, s72
	s_cbranch_execnz .LBB6_4437
	s_branch .LBB6_4438
.LBB6_5596:                             ;   in Loop: Header=BB6_3222 Depth=4
	s_or_saveexec_b32 s16, s16
	v_mov_b32_e32 v0, 0x7f800001
	s_xor_b32 exec_lo, exec_lo, s16
	s_cbranch_execz .LBB6_4450
.LBB6_5597:                             ;   in Loop: Header=BB6_3222 Depth=4
	v_cmp_ne_u16_sdwa s73, v6, v2 src0_sel:BYTE_0 src1_sel:DWORD
	v_mov_b32_e32 v0, 0
	s_andn2_b32 s72, s72, exec_lo
	s_and_b32 s73, s73, exec_lo
	s_or_b32 s72, s72, s73
	s_or_b32 exec_lo, exec_lo, s16
	s_and_saveexec_b32 s16, s72
	s_cbranch_execnz .LBB6_4451
	s_branch .LBB6_4452
.LBB6_5598:                             ;   in Loop: Header=BB6_3222 Depth=4
	s_or_saveexec_b32 s16, s16
	v_mov_b32_e32 v7, 0x7f800001
	s_xor_b32 exec_lo, exec_lo, s16
	s_cbranch_execz .LBB6_4456
.LBB6_5599:                             ;   in Loop: Header=BB6_3222 Depth=4
	v_cmp_ne_u16_sdwa s73, v16, v2 src0_sel:BYTE_0 src1_sel:DWORD
	v_mov_b32_e32 v7, 0
	s_andn2_b32 s72, s72, exec_lo
	s_and_b32 s73, s73, exec_lo
	s_or_b32 s72, s72, s73
	s_or_b32 exec_lo, exec_lo, s16
	s_and_saveexec_b32 s16, s72
	s_cbranch_execnz .LBB6_4457
	s_branch .LBB6_4458
.LBB6_5600:                             ;   in Loop: Header=BB6_3222 Depth=4
	s_or_saveexec_b32 s72, s72
	v_mov_b32_e32 v7, 0x7f800001
	s_xor_b32 exec_lo, exec_lo, s72
	s_cbranch_execz .LBB6_4470
.LBB6_5601:                             ;   in Loop: Header=BB6_3222 Depth=4
	v_cmp_ne_u16_sdwa s73, v6, v2 src0_sel:BYTE_1 src1_sel:DWORD
	v_mov_b32_e32 v7, 0
	s_andn2_b32 s16, s16, exec_lo
	s_and_b32 s73, s73, exec_lo
	s_or_b32 s16, s16, s73
	s_or_b32 exec_lo, exec_lo, s72
	s_and_saveexec_b32 s72, s16
	s_cbranch_execnz .LBB6_4471
	s_branch .LBB6_4472
.LBB6_5602:                             ;   in Loop: Header=BB6_3222 Depth=4
	s_or_saveexec_b32 s72, s72
	v_mov_b32_e32 v36, 0x7f800001
	s_xor_b32 exec_lo, exec_lo, s72
	s_cbranch_execz .LBB6_4476
.LBB6_5603:                             ;   in Loop: Header=BB6_3222 Depth=4
	v_cmp_ne_u16_sdwa s73, v16, v2 src0_sel:BYTE_1 src1_sel:DWORD
	v_mov_b32_e32 v36, 0
	s_andn2_b32 s16, s16, exec_lo
	s_and_b32 s73, s73, exec_lo
	s_or_b32 s16, s16, s73
	s_or_b32 exec_lo, exec_lo, s72
	s_and_saveexec_b32 s72, s16
	s_cbranch_execnz .LBB6_4477
	s_branch .LBB6_4478
.LBB6_5604:                             ;   in Loop: Header=BB6_3222 Depth=4
	s_or_saveexec_b32 s16, s16
	v_mov_b32_e32 v7, 0x7f800001
	s_xor_b32 exec_lo, exec_lo, s16
	s_cbranch_execz .LBB6_4490
.LBB6_5605:                             ;   in Loop: Header=BB6_3222 Depth=4
	v_cmp_ne_u16_sdwa s73, v36, v2 src0_sel:BYTE_0 src1_sel:DWORD
	v_mov_b32_e32 v7, 0
	s_andn2_b32 s72, s72, exec_lo
	s_and_b32 s73, s73, exec_lo
	s_or_b32 s72, s72, s73
	s_or_b32 exec_lo, exec_lo, s16
	v_lshl_or_b32 v6, v36, 16, v6
	s_and_saveexec_b32 s16, s72
	s_cbranch_execnz .LBB6_4491
	s_branch .LBB6_4492
.LBB6_5606:                             ;   in Loop: Header=BB6_3222 Depth=4
	s_or_saveexec_b32 s16, s16
	v_mov_b32_e32 v36, 0x7f800001
	s_xor_b32 exec_lo, exec_lo, s16
	s_cbranch_execz .LBB6_4496
.LBB6_5607:                             ;   in Loop: Header=BB6_3222 Depth=4
	v_cmp_ne_u16_e32 vcc_lo, 0, v37
	v_mov_b32_e32 v36, 0
	s_andn2_b32 s72, s72, exec_lo
	s_and_b32 s73, vcc_lo, exec_lo
	s_or_b32 s72, s72, s73
	s_or_b32 exec_lo, exec_lo, s16
	s_and_saveexec_b32 s16, s72
	s_cbranch_execnz .LBB6_4497
	s_branch .LBB6_4498
.LBB6_5608:                             ;   in Loop: Header=BB6_3222 Depth=4
	s_or_saveexec_b32 s72, s72
	v_mov_b32_e32 v7, 0x7f800001
	s_xor_b32 exec_lo, exec_lo, s72
	s_cbranch_execz .LBB6_4510
.LBB6_5609:                             ;   in Loop: Header=BB6_3222 Depth=4
	v_cmp_ne_u16_sdwa s73, v6, v2 src0_sel:BYTE_3 src1_sel:DWORD
	v_mov_b32_e32 v7, 0
	s_andn2_b32 s16, s16, exec_lo
	s_and_b32 s73, s73, exec_lo
	s_or_b32 s16, s16, s73
	s_or_b32 exec_lo, exec_lo, s72
	s_and_saveexec_b32 s72, s16
	s_cbranch_execnz .LBB6_4511
	s_branch .LBB6_4512
.LBB6_5610:                             ;   in Loop: Header=BB6_3222 Depth=4
	s_or_saveexec_b32 s72, s72
	v_mov_b32_e32 v6, 0x7f800001
	s_xor_b32 exec_lo, exec_lo, s72
	s_cbranch_execz .LBB6_4516
.LBB6_5611:                             ;   in Loop: Header=BB6_3222 Depth=4
	v_cmp_ne_u16_sdwa s73, v16, v2 src0_sel:BYTE_3 src1_sel:DWORD
	v_mov_b32_e32 v6, 0
	s_andn2_b32 s16, s16, exec_lo
	s_and_b32 s73, s73, exec_lo
	s_or_b32 s16, s16, s73
	s_or_b32 exec_lo, exec_lo, s72
	s_and_saveexec_b32 s72, s16
	s_cbranch_execnz .LBB6_4517
	s_branch .LBB6_4518
.LBB6_5612:                             ;   in Loop: Header=BB6_3222 Depth=4
	s_or_saveexec_b32 s16, s16
	v_mov_b32_e32 v7, 0x7f800001
	s_xor_b32 exec_lo, exec_lo, s16
	s_cbranch_execz .LBB6_4530
.LBB6_5613:                             ;   in Loop: Header=BB6_3222 Depth=4
	v_cmp_ne_u16_sdwa s73, v6, v2 src0_sel:BYTE_0 src1_sel:DWORD
	v_mov_b32_e32 v7, 0
	s_andn2_b32 s72, s72, exec_lo
	s_and_b32 s73, s73, exec_lo
	s_or_b32 s72, s72, s73
	s_or_b32 exec_lo, exec_lo, s16
	s_and_saveexec_b32 s16, s72
	s_cbranch_execnz .LBB6_4531
	s_branch .LBB6_4532
.LBB6_5614:                             ;   in Loop: Header=BB6_3222 Depth=4
	s_or_saveexec_b32 s16, s16
	v_mov_b32_e32 v36, 0x7f800001
	s_xor_b32 exec_lo, exec_lo, s16
	s_cbranch_execz .LBB6_4536
.LBB6_5615:                             ;   in Loop: Header=BB6_3222 Depth=4
	v_cmp_ne_u16_sdwa s73, v17, v2 src0_sel:BYTE_0 src1_sel:DWORD
	v_mov_b32_e32 v36, 0
	s_andn2_b32 s72, s72, exec_lo
	s_and_b32 s73, s73, exec_lo
	s_or_b32 s72, s72, s73
	s_or_b32 exec_lo, exec_lo, s16
	s_and_saveexec_b32 s16, s72
	s_cbranch_execnz .LBB6_4537
	s_branch .LBB6_4538
.LBB6_5616:                             ;   in Loop: Header=BB6_3222 Depth=4
	s_or_saveexec_b32 s72, s72
	v_mov_b32_e32 v7, 0x7f800001
	s_xor_b32 exec_lo, exec_lo, s72
	s_cbranch_execz .LBB6_4550
.LBB6_5617:                             ;   in Loop: Header=BB6_3222 Depth=4
	v_cmp_ne_u16_sdwa s73, v6, v2 src0_sel:BYTE_1 src1_sel:DWORD
	v_mov_b32_e32 v7, 0
	s_andn2_b32 s16, s16, exec_lo
	s_and_b32 s73, s73, exec_lo
	s_or_b32 s16, s16, s73
	s_or_b32 exec_lo, exec_lo, s72
	s_and_saveexec_b32 s72, s16
	s_cbranch_execnz .LBB6_4551
	s_branch .LBB6_4552
.LBB6_5618:                             ;   in Loop: Header=BB6_3222 Depth=4
	s_or_saveexec_b32 s72, s72
	v_mov_b32_e32 v36, 0x7f800001
	s_xor_b32 exec_lo, exec_lo, s72
	s_cbranch_execz .LBB6_4556
.LBB6_5619:                             ;   in Loop: Header=BB6_3222 Depth=4
	v_cmp_ne_u16_sdwa s73, v17, v2 src0_sel:BYTE_1 src1_sel:DWORD
	v_mov_b32_e32 v36, 0
	s_andn2_b32 s16, s16, exec_lo
	s_and_b32 s73, s73, exec_lo
	s_or_b32 s16, s16, s73
	s_or_b32 exec_lo, exec_lo, s72
	s_and_saveexec_b32 s72, s16
	s_cbranch_execnz .LBB6_4557
	s_branch .LBB6_4558
.LBB6_5620:                             ;   in Loop: Header=BB6_3222 Depth=4
	s_or_saveexec_b32 s16, s16
	v_mov_b32_e32 v7, 0x7f800001
	s_xor_b32 exec_lo, exec_lo, s16
	s_cbranch_execz .LBB6_4570
.LBB6_5621:                             ;   in Loop: Header=BB6_3222 Depth=4
	v_cmp_ne_u16_sdwa s73, v36, v2 src0_sel:BYTE_0 src1_sel:DWORD
	v_mov_b32_e32 v7, 0
	s_andn2_b32 s72, s72, exec_lo
	s_and_b32 s73, s73, exec_lo
	s_or_b32 s72, s72, s73
	s_or_b32 exec_lo, exec_lo, s16
	v_lshl_or_b32 v6, v36, 16, v6
	s_and_saveexec_b32 s16, s72
	s_cbranch_execnz .LBB6_4571
	s_branch .LBB6_4572
.LBB6_5622:                             ;   in Loop: Header=BB6_3222 Depth=4
	s_or_saveexec_b32 s16, s16
	v_mov_b32_e32 v36, 0x7f800001
	s_xor_b32 exec_lo, exec_lo, s16
	s_cbranch_execz .LBB6_4576
.LBB6_5623:                             ;   in Loop: Header=BB6_3222 Depth=4
	v_cmp_ne_u16_e32 vcc_lo, 0, v37
	v_mov_b32_e32 v36, 0
	s_andn2_b32 s72, s72, exec_lo
	s_and_b32 s73, vcc_lo, exec_lo
	s_or_b32 s72, s72, s73
	s_or_b32 exec_lo, exec_lo, s16
	s_and_saveexec_b32 s16, s72
	s_cbranch_execnz .LBB6_4577
	s_branch .LBB6_4578
.LBB6_5624:                             ;   in Loop: Header=BB6_3222 Depth=4
	s_or_saveexec_b32 s72, s72
	v_mov_b32_e32 v7, 0x7f800001
	s_xor_b32 exec_lo, exec_lo, s72
	s_cbranch_execz .LBB6_4590
.LBB6_5625:                             ;   in Loop: Header=BB6_3222 Depth=4
	v_cmp_ne_u16_sdwa s73, v6, v2 src0_sel:BYTE_3 src1_sel:DWORD
	v_mov_b32_e32 v7, 0
	s_andn2_b32 s16, s16, exec_lo
	s_and_b32 s73, s73, exec_lo
	s_or_b32 s16, s16, s73
	s_or_b32 exec_lo, exec_lo, s72
	s_and_saveexec_b32 s72, s16
	s_cbranch_execnz .LBB6_4591
	s_branch .LBB6_4592
.LBB6_5626:                             ;   in Loop: Header=BB6_3222 Depth=4
	s_or_saveexec_b32 s72, s72
	v_mov_b32_e32 v6, 0x7f800001
	s_xor_b32 exec_lo, exec_lo, s72
	s_cbranch_execz .LBB6_4596
.LBB6_5627:                             ;   in Loop: Header=BB6_3222 Depth=4
	v_cmp_ne_u16_sdwa s73, v17, v2 src0_sel:BYTE_3 src1_sel:DWORD
	v_mov_b32_e32 v6, 0
	s_andn2_b32 s16, s16, exec_lo
	s_and_b32 s73, s73, exec_lo
	s_or_b32 s16, s16, s73
	s_or_b32 exec_lo, exec_lo, s72
	s_and_saveexec_b32 s72, s16
	s_cbranch_execnz .LBB6_4597
	s_branch .LBB6_4598
.LBB6_5628:                             ;   in Loop: Header=BB6_3222 Depth=4
	s_or_saveexec_b32 s16, s16
	v_mov_b32_e32 v7, 0x7f800001
	s_xor_b32 exec_lo, exec_lo, s16
	s_cbranch_execz .LBB6_4610
.LBB6_5629:                             ;   in Loop: Header=BB6_3222 Depth=4
	v_cmp_ne_u16_sdwa s73, v6, v2 src0_sel:BYTE_0 src1_sel:DWORD
	v_mov_b32_e32 v7, 0
	s_andn2_b32 s72, s72, exec_lo
	s_and_b32 s73, s73, exec_lo
	s_or_b32 s72, s72, s73
	s_or_b32 exec_lo, exec_lo, s16
	s_and_saveexec_b32 s16, s72
	s_cbranch_execnz .LBB6_4611
	s_branch .LBB6_4612
.LBB6_5630:                             ;   in Loop: Header=BB6_3222 Depth=4
	s_or_saveexec_b32 s16, s16
	v_mov_b32_e32 v36, 0x7f800001
	s_xor_b32 exec_lo, exec_lo, s16
	s_cbranch_execz .LBB6_4616
.LBB6_5631:                             ;   in Loop: Header=BB6_3222 Depth=4
	v_cmp_ne_u16_sdwa s73, v18, v2 src0_sel:BYTE_0 src1_sel:DWORD
	v_mov_b32_e32 v36, 0
	s_andn2_b32 s72, s72, exec_lo
	s_and_b32 s73, s73, exec_lo
	s_or_b32 s72, s72, s73
	s_or_b32 exec_lo, exec_lo, s16
	s_and_saveexec_b32 s16, s72
	s_cbranch_execnz .LBB6_4617
	s_branch .LBB6_4618
.LBB6_5632:                             ;   in Loop: Header=BB6_3222 Depth=4
	s_or_saveexec_b32 s72, s72
	v_mov_b32_e32 v7, 0x7f800001
	s_xor_b32 exec_lo, exec_lo, s72
	s_cbranch_execz .LBB6_4630
.LBB6_5633:                             ;   in Loop: Header=BB6_3222 Depth=4
	v_cmp_ne_u16_sdwa s73, v6, v2 src0_sel:BYTE_1 src1_sel:DWORD
	v_mov_b32_e32 v7, 0
	s_andn2_b32 s16, s16, exec_lo
	s_and_b32 s73, s73, exec_lo
	s_or_b32 s16, s16, s73
	s_or_b32 exec_lo, exec_lo, s72
	s_and_saveexec_b32 s72, s16
	s_cbranch_execnz .LBB6_4631
	s_branch .LBB6_4632
.LBB6_5634:                             ;   in Loop: Header=BB6_3222 Depth=4
	s_or_saveexec_b32 s72, s72
	v_mov_b32_e32 v36, 0x7f800001
	s_xor_b32 exec_lo, exec_lo, s72
	s_cbranch_execz .LBB6_4636
.LBB6_5635:                             ;   in Loop: Header=BB6_3222 Depth=4
	v_cmp_ne_u16_sdwa s73, v18, v2 src0_sel:BYTE_1 src1_sel:DWORD
	v_mov_b32_e32 v36, 0
	s_andn2_b32 s16, s16, exec_lo
	s_and_b32 s73, s73, exec_lo
	s_or_b32 s16, s16, s73
	s_or_b32 exec_lo, exec_lo, s72
	s_and_saveexec_b32 s72, s16
	s_cbranch_execnz .LBB6_4637
	s_branch .LBB6_4638
.LBB6_5636:                             ;   in Loop: Header=BB6_3222 Depth=4
	s_or_saveexec_b32 s16, s16
	v_mov_b32_e32 v7, 0x7f800001
	s_xor_b32 exec_lo, exec_lo, s16
	s_cbranch_execz .LBB6_4650
.LBB6_5637:                             ;   in Loop: Header=BB6_3222 Depth=4
	v_cmp_ne_u16_sdwa s73, v36, v2 src0_sel:BYTE_0 src1_sel:DWORD
	v_mov_b32_e32 v7, 0
	s_andn2_b32 s72, s72, exec_lo
	s_and_b32 s73, s73, exec_lo
	s_or_b32 s72, s72, s73
	s_or_b32 exec_lo, exec_lo, s16
	v_lshl_or_b32 v6, v36, 16, v6
	s_and_saveexec_b32 s16, s72
	s_cbranch_execnz .LBB6_4651
	s_branch .LBB6_4652
.LBB6_5638:                             ;   in Loop: Header=BB6_3222 Depth=4
	s_or_saveexec_b32 s16, s16
	v_mov_b32_e32 v36, 0x7f800001
	s_xor_b32 exec_lo, exec_lo, s16
	s_cbranch_execz .LBB6_4656
.LBB6_5639:                             ;   in Loop: Header=BB6_3222 Depth=4
	v_cmp_ne_u16_e32 vcc_lo, 0, v37
	v_mov_b32_e32 v36, 0
	s_andn2_b32 s72, s72, exec_lo
	s_and_b32 s73, vcc_lo, exec_lo
	s_or_b32 s72, s72, s73
	s_or_b32 exec_lo, exec_lo, s16
	s_and_saveexec_b32 s16, s72
	s_cbranch_execnz .LBB6_4657
	s_branch .LBB6_4658
.LBB6_5640:                             ;   in Loop: Header=BB6_3222 Depth=4
	s_or_saveexec_b32 s72, s72
	v_mov_b32_e32 v7, 0x7f800001
	s_xor_b32 exec_lo, exec_lo, s72
	s_cbranch_execz .LBB6_4670
.LBB6_5641:                             ;   in Loop: Header=BB6_3222 Depth=4
	v_cmp_ne_u16_sdwa s73, v6, v2 src0_sel:BYTE_3 src1_sel:DWORD
	v_mov_b32_e32 v7, 0
	s_andn2_b32 s16, s16, exec_lo
	s_and_b32 s73, s73, exec_lo
	s_or_b32 s16, s16, s73
	s_or_b32 exec_lo, exec_lo, s72
	s_and_saveexec_b32 s72, s16
	s_cbranch_execnz .LBB6_4671
	s_branch .LBB6_4672
.LBB6_5642:                             ;   in Loop: Header=BB6_3222 Depth=4
	s_or_saveexec_b32 s72, s72
	v_mov_b32_e32 v6, 0x7f800001
	s_xor_b32 exec_lo, exec_lo, s72
	s_cbranch_execz .LBB6_4676
.LBB6_5643:                             ;   in Loop: Header=BB6_3222 Depth=4
	v_cmp_ne_u16_sdwa s73, v18, v2 src0_sel:BYTE_3 src1_sel:DWORD
	v_mov_b32_e32 v6, 0
	s_andn2_b32 s16, s16, exec_lo
	s_and_b32 s73, s73, exec_lo
	s_or_b32 s16, s16, s73
	s_or_b32 exec_lo, exec_lo, s72
	s_and_saveexec_b32 s72, s16
	s_cbranch_execnz .LBB6_4677
	s_branch .LBB6_4678
.LBB6_5644:                             ;   in Loop: Header=BB6_3222 Depth=4
	s_or_saveexec_b32 s16, s16
	v_mov_b32_e32 v7, 0x7f800001
	s_xor_b32 exec_lo, exec_lo, s16
	s_cbranch_execz .LBB6_4690
.LBB6_5645:                             ;   in Loop: Header=BB6_3222 Depth=4
	v_cmp_ne_u16_sdwa s73, v6, v2 src0_sel:BYTE_0 src1_sel:DWORD
	v_mov_b32_e32 v7, 0
	s_andn2_b32 s72, s72, exec_lo
	s_and_b32 s73, s73, exec_lo
	s_or_b32 s72, s72, s73
	s_or_b32 exec_lo, exec_lo, s16
	s_and_saveexec_b32 s16, s72
	s_cbranch_execnz .LBB6_4691
	s_branch .LBB6_4692
.LBB6_5646:                             ;   in Loop: Header=BB6_3222 Depth=4
	s_or_saveexec_b32 s16, s16
	v_mov_b32_e32 v36, 0x7f800001
	s_xor_b32 exec_lo, exec_lo, s16
	s_cbranch_execz .LBB6_4696
.LBB6_5647:                             ;   in Loop: Header=BB6_3222 Depth=4
	v_cmp_ne_u16_sdwa s73, v19, v2 src0_sel:BYTE_0 src1_sel:DWORD
	v_mov_b32_e32 v36, 0
	s_andn2_b32 s72, s72, exec_lo
	s_and_b32 s73, s73, exec_lo
	s_or_b32 s72, s72, s73
	s_or_b32 exec_lo, exec_lo, s16
	s_and_saveexec_b32 s16, s72
	s_cbranch_execnz .LBB6_4697
	s_branch .LBB6_4698
.LBB6_5648:                             ;   in Loop: Header=BB6_3222 Depth=4
	s_or_saveexec_b32 s72, s72
	v_mov_b32_e32 v7, 0x7f800001
	s_xor_b32 exec_lo, exec_lo, s72
	s_cbranch_execz .LBB6_4710
.LBB6_5649:                             ;   in Loop: Header=BB6_3222 Depth=4
	v_cmp_ne_u16_sdwa s73, v6, v2 src0_sel:BYTE_1 src1_sel:DWORD
	v_mov_b32_e32 v7, 0
	s_andn2_b32 s16, s16, exec_lo
	s_and_b32 s73, s73, exec_lo
	s_or_b32 s16, s16, s73
	s_or_b32 exec_lo, exec_lo, s72
	s_and_saveexec_b32 s72, s16
	s_cbranch_execnz .LBB6_4711
	s_branch .LBB6_4712
.LBB6_5650:                             ;   in Loop: Header=BB6_3222 Depth=4
	s_or_saveexec_b32 s72, s72
	v_mov_b32_e32 v36, 0x7f800001
	s_xor_b32 exec_lo, exec_lo, s72
	s_cbranch_execz .LBB6_4716
.LBB6_5651:                             ;   in Loop: Header=BB6_3222 Depth=4
	v_cmp_ne_u16_sdwa s73, v19, v2 src0_sel:BYTE_1 src1_sel:DWORD
	v_mov_b32_e32 v36, 0
	s_andn2_b32 s16, s16, exec_lo
	s_and_b32 s73, s73, exec_lo
	s_or_b32 s16, s16, s73
	s_or_b32 exec_lo, exec_lo, s72
	s_and_saveexec_b32 s72, s16
	s_cbranch_execnz .LBB6_4717
	s_branch .LBB6_4718
.LBB6_5652:                             ;   in Loop: Header=BB6_3222 Depth=4
	s_or_saveexec_b32 s16, s16
	v_mov_b32_e32 v7, 0x7f800001
	s_xor_b32 exec_lo, exec_lo, s16
	s_cbranch_execz .LBB6_4730
.LBB6_5653:                             ;   in Loop: Header=BB6_3222 Depth=4
	v_cmp_ne_u16_sdwa s73, v37, v2 src0_sel:BYTE_0 src1_sel:DWORD
	v_mov_b32_e32 v7, 0
	s_andn2_b32 s72, s72, exec_lo
	s_and_b32 s73, s73, exec_lo
	s_or_b32 s72, s72, s73
	s_or_b32 exec_lo, exec_lo, s16
	v_lshl_or_b32 v6, v37, 16, v6
	s_and_saveexec_b32 s16, s72
	s_cbranch_execnz .LBB6_4731
	s_branch .LBB6_4732
.LBB6_5654:                             ;   in Loop: Header=BB6_3222 Depth=4
	s_or_saveexec_b32 s16, s16
	v_mov_b32_e32 v37, 0x7f800001
	s_xor_b32 exec_lo, exec_lo, s16
	s_cbranch_execz .LBB6_4736
.LBB6_5655:                             ;   in Loop: Header=BB6_3222 Depth=4
	v_cmp_ne_u16_e32 vcc_lo, 0, v101
	v_mov_b32_e32 v37, 0
	s_andn2_b32 s72, s72, exec_lo
	s_and_b32 s73, vcc_lo, exec_lo
	s_or_b32 s72, s72, s73
	s_or_b32 exec_lo, exec_lo, s16
	s_and_saveexec_b32 s16, s72
	s_cbranch_execnz .LBB6_4737
	s_branch .LBB6_4738
.LBB6_5656:                             ;   in Loop: Header=BB6_3222 Depth=4
	s_or_saveexec_b32 s72, s72
	v_mov_b32_e32 v7, 0x7f800001
	s_xor_b32 exec_lo, exec_lo, s72
	s_cbranch_execz .LBB6_4750
.LBB6_5657:                             ;   in Loop: Header=BB6_3222 Depth=4
	v_cmp_ne_u16_sdwa s73, v6, v2 src0_sel:BYTE_3 src1_sel:DWORD
	v_mov_b32_e32 v7, 0
	s_andn2_b32 s16, s16, exec_lo
	s_and_b32 s73, s73, exec_lo
	s_or_b32 s16, s16, s73
	s_or_b32 exec_lo, exec_lo, s72
	s_and_saveexec_b32 s72, s16
	s_cbranch_execnz .LBB6_4751
	s_branch .LBB6_4752
.LBB6_5658:                             ;   in Loop: Header=BB6_3222 Depth=4
	s_or_saveexec_b32 s72, s72
	v_mov_b32_e32 v6, 0x7f800001
	s_xor_b32 exec_lo, exec_lo, s72
	s_cbranch_execz .LBB6_4756
.LBB6_5659:                             ;   in Loop: Header=BB6_3222 Depth=4
	v_cmp_ne_u16_sdwa s73, v19, v2 src0_sel:BYTE_3 src1_sel:DWORD
	v_mov_b32_e32 v6, 0
	s_andn2_b32 s16, s16, exec_lo
	s_and_b32 s73, s73, exec_lo
	s_or_b32 s16, s16, s73
	s_or_b32 exec_lo, exec_lo, s72
	s_and_saveexec_b32 s72, s16
	s_cbranch_execnz .LBB6_4757
	s_branch .LBB6_4758
.LBB6_5660:                             ;   in Loop: Header=BB6_3222 Depth=4
	s_or_saveexec_b32 s16, s16
	v_mov_b32_e32 v7, 0x7f800001
	s_xor_b32 exec_lo, exec_lo, s16
	s_cbranch_execz .LBB6_4770
.LBB6_5661:                             ;   in Loop: Header=BB6_3222 Depth=4
	v_cmp_ne_u16_sdwa s73, v101, v2 src0_sel:BYTE_0 src1_sel:DWORD
	v_mov_b32_e32 v7, 0
	s_andn2_b32 s72, s72, exec_lo
	s_and_b32 s73, s73, exec_lo
	s_or_b32 s72, s72, s73
	s_or_b32 exec_lo, exec_lo, s16
	s_and_saveexec_b32 s16, s72
	s_cbranch_execnz .LBB6_4771
	s_branch .LBB6_4772
.LBB6_5662:                             ;   in Loop: Header=BB6_3222 Depth=4
	s_or_saveexec_b32 s16, s16
	v_mov_b32_e32 v19, 0x7f800001
	s_xor_b32 exec_lo, exec_lo, s16
	s_cbranch_execz .LBB6_4776
.LBB6_5663:                             ;   in Loop: Header=BB6_3222 Depth=4
	v_cmp_ne_u16_sdwa s73, v12, v2 src0_sel:BYTE_0 src1_sel:DWORD
	v_mov_b32_e32 v19, 0
	s_andn2_b32 s72, s72, exec_lo
	s_and_b32 s73, s73, exec_lo
	s_or_b32 s72, s72, s73
	s_or_b32 exec_lo, exec_lo, s16
	s_and_saveexec_b32 s16, s72
	s_cbranch_execnz .LBB6_4777
	s_branch .LBB6_4778
.LBB6_5664:                             ;   in Loop: Header=BB6_3222 Depth=4
	s_or_saveexec_b32 s72, s72
	v_mov_b32_e32 v19, 0x7f800001
	s_xor_b32 exec_lo, exec_lo, s72
	s_cbranch_execz .LBB6_4790
.LBB6_5665:                             ;   in Loop: Header=BB6_3222 Depth=4
	v_cmp_ne_u16_sdwa s73, v101, v2 src0_sel:BYTE_1 src1_sel:DWORD
	v_mov_b32_e32 v19, 0
	s_andn2_b32 s16, s16, exec_lo
	s_and_b32 s73, s73, exec_lo
	s_or_b32 s16, s16, s73
	s_or_b32 exec_lo, exec_lo, s72
	s_and_saveexec_b32 s72, s16
	s_cbranch_execnz .LBB6_4791
	s_branch .LBB6_4792
.LBB6_5666:                             ;   in Loop: Header=BB6_3222 Depth=4
	s_or_saveexec_b32 s72, s72
	v_mov_b32_e32 v113, 0x7f800001
	s_xor_b32 exec_lo, exec_lo, s72
	s_cbranch_execz .LBB6_4796
.LBB6_5667:                             ;   in Loop: Header=BB6_3222 Depth=4
	v_cmp_ne_u16_sdwa s73, v12, v2 src0_sel:BYTE_1 src1_sel:DWORD
	v_mov_b32_e32 v113, 0
	s_andn2_b32 s16, s16, exec_lo
	s_and_b32 s73, s73, exec_lo
	s_or_b32 s16, s16, s73
	s_or_b32 exec_lo, exec_lo, s72
	s_and_saveexec_b32 s72, s16
	s_cbranch_execnz .LBB6_4797
	s_branch .LBB6_4798
.LBB6_5668:                             ;   in Loop: Header=BB6_3222 Depth=4
	s_or_saveexec_b32 s16, s16
	v_mov_b32_e32 v42, 0x7f800001
	s_xor_b32 exec_lo, exec_lo, s16
	s_cbranch_execz .LBB6_4810
.LBB6_5669:                             ;   in Loop: Header=BB6_3222 Depth=4
	v_cmp_ne_u16_sdwa s73, v113, v2 src0_sel:BYTE_0 src1_sel:DWORD
	v_mov_b32_e32 v42, 0
	s_andn2_b32 s72, s72, exec_lo
	s_and_b32 s73, s73, exec_lo
	s_or_b32 s72, s72, s73
	s_or_b32 exec_lo, exec_lo, s16
	v_lshl_or_b32 v113, v113, 16, v101
	s_and_saveexec_b32 s16, s72
	s_cbranch_execnz .LBB6_4811
	s_branch .LBB6_4812
.LBB6_5670:                             ;   in Loop: Header=BB6_3222 Depth=4
	s_or_saveexec_b32 s16, s16
	v_mov_b32_e32 v101, 0x7f800001
	s_xor_b32 exec_lo, exec_lo, s16
	s_cbranch_execz .LBB6_4816
.LBB6_5671:                             ;   in Loop: Header=BB6_3222 Depth=4
	v_cmp_ne_u16_e32 vcc_lo, 0, v45
	v_mov_b32_e32 v101, 0
	s_andn2_b32 s72, s72, exec_lo
	s_and_b32 s73, vcc_lo, exec_lo
	s_or_b32 s72, s72, s73
	s_or_b32 exec_lo, exec_lo, s16
	s_and_saveexec_b32 s16, s72
	s_cbranch_execnz .LBB6_4817
	s_branch .LBB6_4818
.LBB6_5672:                             ;   in Loop: Header=BB6_3222 Depth=4
	s_or_saveexec_b32 s72, s72
	v_mov_b32_e32 v42, 0x7f800001
	s_xor_b32 exec_lo, exec_lo, s72
	s_cbranch_execz .LBB6_4830
.LBB6_5673:                             ;   in Loop: Header=BB6_3222 Depth=4
	v_cmp_ne_u16_sdwa s73, v113, v2 src0_sel:BYTE_3 src1_sel:DWORD
	v_mov_b32_e32 v42, 0
	s_andn2_b32 s16, s16, exec_lo
	s_and_b32 s73, s73, exec_lo
	s_or_b32 s16, s16, s73
	s_or_b32 exec_lo, exec_lo, s72
	s_and_saveexec_b32 s72, s16
	s_cbranch_execnz .LBB6_4831
	s_branch .LBB6_4832
.LBB6_5674:                             ;   in Loop: Header=BB6_3222 Depth=4
	s_or_saveexec_b32 s72, s72
	v_mov_b32_e32 v113, 0x7f800001
	s_xor_b32 exec_lo, exec_lo, s72
	s_cbranch_execz .LBB6_4836
.LBB6_5675:                             ;   in Loop: Header=BB6_3222 Depth=4
	v_cmp_ne_u16_sdwa s73, v12, v2 src0_sel:BYTE_3 src1_sel:DWORD
	v_mov_b32_e32 v113, 0
	s_andn2_b32 s16, s16, exec_lo
	s_and_b32 s73, s73, exec_lo
	s_or_b32 s16, s16, s73
	s_or_b32 exec_lo, exec_lo, s72
	s_and_saveexec_b32 s72, s16
	s_cbranch_execnz .LBB6_4837
	s_branch .LBB6_4838
.LBB6_5676:                             ;   in Loop: Header=BB6_3222 Depth=4
	s_or_saveexec_b32 s16, s16
	v_mov_b32_e32 v1, 0x7f800001
	s_xor_b32 exec_lo, exec_lo, s16
	s_cbranch_execz .LBB6_4850
.LBB6_5677:                             ;   in Loop: Header=BB6_3222 Depth=4
	v_cmp_ne_u16_sdwa s73, v113, v2 src0_sel:BYTE_0 src1_sel:DWORD
	v_mov_b32_e32 v1, 0
	s_andn2_b32 s72, s72, exec_lo
	s_and_b32 s73, s73, exec_lo
	s_or_b32 s72, s72, s73
	s_or_b32 exec_lo, exec_lo, s16
	s_and_saveexec_b32 s16, s72
	s_cbranch_execnz .LBB6_4851
	s_branch .LBB6_4852
.LBB6_5678:                             ;   in Loop: Header=BB6_3222 Depth=4
	s_or_saveexec_b32 s16, s16
	v_mov_b32_e32 v31, 0x7f800001
	s_xor_b32 exec_lo, exec_lo, s16
	s_cbranch_execz .LBB6_4856
.LBB6_5679:                             ;   in Loop: Header=BB6_3222 Depth=4
	v_cmp_ne_u16_sdwa s73, v13, v2 src0_sel:BYTE_0 src1_sel:DWORD
	v_mov_b32_e32 v31, 0
	s_andn2_b32 s72, s72, exec_lo
	s_and_b32 s73, s73, exec_lo
	s_or_b32 s72, s72, s73
	s_or_b32 exec_lo, exec_lo, s16
	s_and_saveexec_b32 s16, s72
	s_cbranch_execnz .LBB6_4857
	s_branch .LBB6_4858
.LBB6_5680:                             ;   in Loop: Header=BB6_3222 Depth=4
	s_or_saveexec_b32 s72, s72
	v_mov_b32_e32 v31, 0x7f800001
	s_xor_b32 exec_lo, exec_lo, s72
	s_cbranch_execz .LBB6_4870
.LBB6_5681:                             ;   in Loop: Header=BB6_3222 Depth=4
	v_cmp_ne_u16_sdwa s73, v113, v2 src0_sel:BYTE_1 src1_sel:DWORD
	v_mov_b32_e32 v31, 0
	s_andn2_b32 s16, s16, exec_lo
	s_and_b32 s73, s73, exec_lo
	s_or_b32 s16, s16, s73
	s_or_b32 exec_lo, exec_lo, s72
	s_and_saveexec_b32 s72, s16
	s_cbranch_execnz .LBB6_4871
	s_branch .LBB6_4872
.LBB6_5682:                             ;   in Loop: Header=BB6_3222 Depth=4
	s_or_saveexec_b32 s72, s72
	v_mov_b32_e32 v42, 0x7f800001
	s_xor_b32 exec_lo, exec_lo, s72
	s_cbranch_execz .LBB6_4876
.LBB6_5683:                             ;   in Loop: Header=BB6_3222 Depth=4
	v_cmp_ne_u16_sdwa s73, v13, v2 src0_sel:BYTE_1 src1_sel:DWORD
	v_mov_b32_e32 v42, 0
	s_andn2_b32 s16, s16, exec_lo
	s_and_b32 s73, s73, exec_lo
	s_or_b32 s16, s16, s73
	s_or_b32 exec_lo, exec_lo, s72
	s_and_saveexec_b32 s72, s16
	s_cbranch_execnz .LBB6_4877
	s_branch .LBB6_4878
.LBB6_5684:                             ;   in Loop: Header=BB6_3222 Depth=4
	s_or_saveexec_b32 s16, s16
	v_mov_b32_e32 v45, 0x7f800001
	s_xor_b32 exec_lo, exec_lo, s16
	s_cbranch_execz .LBB6_4890
.LBB6_5685:                             ;   in Loop: Header=BB6_3222 Depth=4
	v_cmp_ne_u16_sdwa s73, v42, v2 src0_sel:BYTE_0 src1_sel:DWORD
	v_mov_b32_e32 v45, 0
	s_andn2_b32 s72, s72, exec_lo
	s_and_b32 s73, s73, exec_lo
	s_or_b32 s72, s72, s73
	s_or_b32 exec_lo, exec_lo, s16
	v_lshl_or_b32 v42, v42, 16, v113
	s_and_saveexec_b32 s16, s72
	s_cbranch_execnz .LBB6_4891
	s_branch .LBB6_4892
.LBB6_5686:                             ;   in Loop: Header=BB6_3222 Depth=4
	s_or_saveexec_b32 s16, s16
	v_mov_b32_e32 v113, 0x7f800001
	s_xor_b32 exec_lo, exec_lo, s16
	s_cbranch_execz .LBB6_4896
.LBB6_5687:                             ;   in Loop: Header=BB6_3222 Depth=4
	v_cmp_ne_u16_e32 vcc_lo, 0, v57
	v_mov_b32_e32 v113, 0
	s_andn2_b32 s72, s72, exec_lo
	s_and_b32 s73, vcc_lo, exec_lo
	s_or_b32 s72, s72, s73
	s_or_b32 exec_lo, exec_lo, s16
	s_and_saveexec_b32 s16, s72
	s_cbranch_execnz .LBB6_4897
	s_branch .LBB6_4898
.LBB6_5688:                             ;   in Loop: Header=BB6_3222 Depth=4
	s_or_saveexec_b32 s72, s72
	v_mov_b32_e32 v45, 0x7f800001
	s_xor_b32 exec_lo, exec_lo, s72
	s_cbranch_execz .LBB6_4910
.LBB6_5689:                             ;   in Loop: Header=BB6_3222 Depth=4
	v_cmp_ne_u16_sdwa s73, v42, v2 src0_sel:BYTE_3 src1_sel:DWORD
	v_mov_b32_e32 v45, 0
	s_andn2_b32 s16, s16, exec_lo
	s_and_b32 s73, s73, exec_lo
	s_or_b32 s16, s16, s73
	s_or_b32 exec_lo, exec_lo, s72
	s_and_saveexec_b32 s72, s16
	s_cbranch_execnz .LBB6_4911
	s_branch .LBB6_4912
.LBB6_5690:                             ;   in Loop: Header=BB6_3222 Depth=4
	s_or_saveexec_b32 s72, s72
	v_mov_b32_e32 v42, 0x7f800001
	s_xor_b32 exec_lo, exec_lo, s72
	s_cbranch_execz .LBB6_4916
.LBB6_5691:                             ;   in Loop: Header=BB6_3222 Depth=4
	v_cmp_ne_u16_sdwa s73, v13, v2 src0_sel:BYTE_3 src1_sel:DWORD
	v_mov_b32_e32 v42, 0
	s_andn2_b32 s16, s16, exec_lo
	s_and_b32 s73, s73, exec_lo
	s_or_b32 s16, s16, s73
	s_or_b32 exec_lo, exec_lo, s72
	s_and_saveexec_b32 s72, s16
	s_cbranch_execnz .LBB6_4917
	s_branch .LBB6_4918
.LBB6_5692:                             ;   in Loop: Header=BB6_3222 Depth=4
	s_or_saveexec_b32 s16, s16
	v_mov_b32_e32 v42, 0x7f800001
	s_xor_b32 exec_lo, exec_lo, s16
	s_cbranch_execz .LBB6_4930
.LBB6_5693:                             ;   in Loop: Header=BB6_3222 Depth=4
	v_cmp_ne_u16_sdwa s73, v45, v2 src0_sel:BYTE_0 src1_sel:DWORD
	v_mov_b32_e32 v42, 0
	s_andn2_b32 s72, s72, exec_lo
	s_and_b32 s73, s73, exec_lo
	s_or_b32 s72, s72, s73
	s_or_b32 exec_lo, exec_lo, s16
	s_and_saveexec_b32 s16, s72
	s_cbranch_execnz .LBB6_4931
	s_branch .LBB6_4932
.LBB6_5694:                             ;   in Loop: Header=BB6_3222 Depth=4
	s_or_saveexec_b32 s16, s16
	v_mov_b32_e32 v57, 0x7f800001
	s_xor_b32 exec_lo, exec_lo, s16
	s_cbranch_execz .LBB6_4936
.LBB6_5695:                             ;   in Loop: Header=BB6_3222 Depth=4
	v_cmp_ne_u16_sdwa s73, v14, v2 src0_sel:BYTE_0 src1_sel:DWORD
	v_mov_b32_e32 v57, 0
	s_andn2_b32 s72, s72, exec_lo
	s_and_b32 s73, s73, exec_lo
	s_or_b32 s72, s72, s73
	s_or_b32 exec_lo, exec_lo, s16
	s_and_saveexec_b32 s16, s72
	s_cbranch_execnz .LBB6_4937
	s_branch .LBB6_4938
.LBB6_5696:                             ;   in Loop: Header=BB6_3222 Depth=4
	s_or_saveexec_b32 s72, s72
	v_mov_b32_e32 v57, 0x7f800001
	s_xor_b32 exec_lo, exec_lo, s72
	s_cbranch_execz .LBB6_4950
.LBB6_5697:                             ;   in Loop: Header=BB6_3222 Depth=4
	v_cmp_ne_u16_sdwa s73, v45, v2 src0_sel:BYTE_1 src1_sel:DWORD
	v_mov_b32_e32 v57, 0
	s_andn2_b32 s16, s16, exec_lo
	s_and_b32 s73, s73, exec_lo
	s_or_b32 s16, s16, s73
	s_or_b32 exec_lo, exec_lo, s72
	s_and_saveexec_b32 s72, s16
	s_cbranch_execnz .LBB6_4951
	s_branch .LBB6_4952
.LBB6_5698:                             ;   in Loop: Header=BB6_3222 Depth=4
	s_or_saveexec_b32 s72, s72
	v_mov_b32_e32 v60, 0x7f800001
	s_xor_b32 exec_lo, exec_lo, s72
	s_cbranch_execz .LBB6_4956
.LBB6_5699:                             ;   in Loop: Header=BB6_3222 Depth=4
	v_cmp_ne_u16_sdwa s73, v14, v2 src0_sel:BYTE_1 src1_sel:DWORD
	v_mov_b32_e32 v60, 0
	s_andn2_b32 s16, s16, exec_lo
	s_and_b32 s73, s73, exec_lo
	s_or_b32 s16, s16, s73
	s_or_b32 exec_lo, exec_lo, s72
	s_and_saveexec_b32 s72, s16
	s_cbranch_execnz .LBB6_4957
	s_branch .LBB6_4958
.LBB6_5700:                             ;   in Loop: Header=BB6_3222 Depth=4
	s_or_saveexec_b32 s16, s16
	v_mov_b32_e32 v112, 0x7f800001
	s_xor_b32 exec_lo, exec_lo, s16
	s_cbranch_execz .LBB6_4970
.LBB6_5701:                             ;   in Loop: Header=BB6_3222 Depth=4
	v_cmp_ne_u16_sdwa s73, v60, v2 src0_sel:BYTE_0 src1_sel:DWORD
	v_mov_b32_e32 v112, 0
	s_andn2_b32 s72, s72, exec_lo
	s_and_b32 s73, s73, exec_lo
	s_or_b32 s72, s72, s73
	s_or_b32 exec_lo, exec_lo, s16
	v_lshl_or_b32 v45, v60, 16, v45
	s_and_saveexec_b32 s16, s72
	s_cbranch_execnz .LBB6_4971
	s_branch .LBB6_4972
.LBB6_5702:                             ;   in Loop: Header=BB6_3222 Depth=4
	s_or_saveexec_b32 s16, s16
	v_mov_b32_e32 v60, 0x7f800001
	s_xor_b32 exec_lo, exec_lo, s16
	s_cbranch_execz .LBB6_4976
.LBB6_5703:                             ;   in Loop: Header=BB6_3222 Depth=4
	v_cmp_ne_u16_e32 vcc_lo, 0, v62
	v_mov_b32_e32 v60, 0
	s_andn2_b32 s72, s72, exec_lo
	s_and_b32 s73, vcc_lo, exec_lo
	s_or_b32 s72, s72, s73
	s_or_b32 exec_lo, exec_lo, s16
	s_and_saveexec_b32 s16, s72
	s_cbranch_execnz .LBB6_4977
	s_branch .LBB6_4978
.LBB6_5704:                             ;   in Loop: Header=BB6_3222 Depth=4
	s_or_saveexec_b32 s72, s72
	v_mov_b32_e32 v60, 0x7f800001
	s_xor_b32 exec_lo, exec_lo, s72
	s_cbranch_execz .LBB6_4990
.LBB6_5705:                             ;   in Loop: Header=BB6_3222 Depth=4
	v_cmp_ne_u16_sdwa s73, v45, v2 src0_sel:BYTE_3 src1_sel:DWORD
	v_mov_b32_e32 v60, 0
	s_andn2_b32 s16, s16, exec_lo
	s_and_b32 s73, s73, exec_lo
	s_or_b32 s16, s16, s73
	s_or_b32 exec_lo, exec_lo, s72
	s_and_saveexec_b32 s72, s16
	s_cbranch_execnz .LBB6_4991
	s_branch .LBB6_4992
.LBB6_5706:                             ;   in Loop: Header=BB6_3222 Depth=4
	s_or_saveexec_b32 s72, s72
	v_mov_b32_e32 v45, 0x7f800001
	s_xor_b32 exec_lo, exec_lo, s72
	s_cbranch_execz .LBB6_4996
.LBB6_5707:                             ;   in Loop: Header=BB6_3222 Depth=4
	v_cmp_ne_u16_sdwa s73, v14, v2 src0_sel:BYTE_3 src1_sel:DWORD
	v_mov_b32_e32 v45, 0
	s_andn2_b32 s16, s16, exec_lo
	s_and_b32 s73, s73, exec_lo
	s_or_b32 s16, s16, s73
	s_or_b32 exec_lo, exec_lo, s72
	s_and_saveexec_b32 s72, s16
	s_cbranch_execnz .LBB6_4997
	s_branch .LBB6_4998
.LBB6_5708:                             ;   in Loop: Header=BB6_3222 Depth=4
	s_or_saveexec_b32 s16, s16
	v_mov_b32_e32 v51, 0x7f800001
	s_xor_b32 exec_lo, exec_lo, s16
	s_cbranch_execz .LBB6_5010
.LBB6_5709:                             ;   in Loop: Header=BB6_3222 Depth=4
	v_cmp_ne_u16_sdwa s73, v45, v2 src0_sel:BYTE_0 src1_sel:DWORD
	v_mov_b32_e32 v51, 0
	s_andn2_b32 s72, s72, exec_lo
	s_and_b32 s73, s73, exec_lo
	s_or_b32 s72, s72, s73
	s_or_b32 exec_lo, exec_lo, s16
	s_and_saveexec_b32 s16, s72
	s_cbranch_execnz .LBB6_5011
	s_branch .LBB6_5012
.LBB6_5710:                             ;   in Loop: Header=BB6_3222 Depth=4
	s_or_saveexec_b32 s16, s16
	v_mov_b32_e32 v60, 0x7f800001
	s_xor_b32 exec_lo, exec_lo, s16
	s_cbranch_execz .LBB6_5016
.LBB6_5711:                             ;   in Loop: Header=BB6_3222 Depth=4
	v_cmp_ne_u16_sdwa s73, v15, v2 src0_sel:BYTE_0 src1_sel:DWORD
	v_mov_b32_e32 v60, 0
	s_andn2_b32 s72, s72, exec_lo
	s_and_b32 s73, s73, exec_lo
	s_or_b32 s72, s72, s73
	s_or_b32 exec_lo, exec_lo, s16
	s_and_saveexec_b32 s16, s72
	s_cbranch_execnz .LBB6_5017
	s_branch .LBB6_5018
.LBB6_5712:                             ;   in Loop: Header=BB6_3222 Depth=4
	s_or_saveexec_b32 s72, s72
	v_mov_b32_e32 v60, 0x7f800001
	s_xor_b32 exec_lo, exec_lo, s72
	s_cbranch_execz .LBB6_5030
.LBB6_5713:                             ;   in Loop: Header=BB6_3222 Depth=4
	v_cmp_ne_u16_sdwa s73, v45, v2 src0_sel:BYTE_1 src1_sel:DWORD
	v_mov_b32_e32 v60, 0
	s_andn2_b32 s16, s16, exec_lo
	s_and_b32 s73, s73, exec_lo
	s_or_b32 s16, s16, s73
	s_or_b32 exec_lo, exec_lo, s72
	s_and_saveexec_b32 s72, s16
	s_cbranch_execnz .LBB6_5031
	s_branch .LBB6_5032
.LBB6_5714:                             ;   in Loop: Header=BB6_3222 Depth=4
	s_or_saveexec_b32 s72, s72
	v_mov_b32_e32 v62, 0x7f800001
	s_xor_b32 exec_lo, exec_lo, s72
	s_cbranch_execz .LBB6_5036
.LBB6_5715:                             ;   in Loop: Header=BB6_3222 Depth=4
	v_cmp_ne_u16_sdwa s73, v15, v2 src0_sel:BYTE_1 src1_sel:DWORD
	v_mov_b32_e32 v62, 0
	s_andn2_b32 s16, s16, exec_lo
	s_and_b32 s73, s73, exec_lo
	s_or_b32 s16, s16, s73
	s_or_b32 exec_lo, exec_lo, s72
	s_and_saveexec_b32 s72, s16
	s_cbranch_execnz .LBB6_5037
	s_branch .LBB6_5038
.LBB6_5716:                             ;   in Loop: Header=BB6_3222 Depth=4
	s_or_saveexec_b32 s16, s16
	v_mov_b32_e32 v62, 0x7f800001
	s_xor_b32 exec_lo, exec_lo, s16
	s_cbranch_execz .LBB6_5050
.LBB6_5717:                             ;   in Loop: Header=BB6_3222 Depth=4
	v_cmp_ne_u16_sdwa s73, v63, v2 src0_sel:BYTE_0 src1_sel:DWORD
	v_mov_b32_e32 v62, 0
	s_andn2_b32 s72, s72, exec_lo
	s_and_b32 s73, s73, exec_lo
	s_or_b32 s72, s72, s73
	s_or_b32 exec_lo, exec_lo, s16
	v_lshl_or_b32 v45, v63, 16, v45
	s_and_saveexec_b32 s16, s72
	s_cbranch_execnz .LBB6_5051
	s_branch .LBB6_5052
.LBB6_5718:                             ;   in Loop: Header=BB6_3222 Depth=4
	s_or_saveexec_b32 s16, s16
	v_mov_b32_e32 v63, 0x7f800001
	s_xor_b32 exec_lo, exec_lo, s16
	s_cbranch_execz .LBB6_5056
.LBB6_5719:                             ;   in Loop: Header=BB6_3222 Depth=4
	v_cmp_ne_u16_e32 vcc_lo, 0, v72
	v_mov_b32_e32 v63, 0
	s_andn2_b32 s72, s72, exec_lo
	s_and_b32 s73, vcc_lo, exec_lo
	s_or_b32 s72, s72, s73
	s_or_b32 exec_lo, exec_lo, s16
	s_and_saveexec_b32 s16, s72
	s_cbranch_execnz .LBB6_5057
	s_branch .LBB6_5058
.LBB6_5720:                             ;   in Loop: Header=BB6_3222 Depth=4
	s_or_saveexec_b32 s72, s72
	v_mov_b32_e32 v63, 0x7f800001
	s_xor_b32 exec_lo, exec_lo, s72
	s_cbranch_execz .LBB6_5070
.LBB6_5721:                             ;   in Loop: Header=BB6_3222 Depth=4
	v_cmp_ne_u16_sdwa s73, v45, v2 src0_sel:BYTE_3 src1_sel:DWORD
	v_mov_b32_e32 v63, 0
	s_andn2_b32 s16, s16, exec_lo
	s_and_b32 s73, s73, exec_lo
	s_or_b32 s16, s16, s73
	s_or_b32 exec_lo, exec_lo, s72
	s_and_saveexec_b32 s72, s16
	s_cbranch_execnz .LBB6_5071
	s_branch .LBB6_5072
.LBB6_5722:                             ;   in Loop: Header=BB6_3222 Depth=4
	s_or_saveexec_b32 s72, s72
	v_mov_b32_e32 v45, 0x7f800001
	s_xor_b32 exec_lo, exec_lo, s72
	s_cbranch_execz .LBB6_5076
.LBB6_5723:                             ;   in Loop: Header=BB6_3222 Depth=4
	v_cmp_ne_u16_sdwa s73, v15, v2 src0_sel:BYTE_3 src1_sel:DWORD
	v_mov_b32_e32 v45, 0
	s_andn2_b32 s16, s16, exec_lo
	s_and_b32 s73, s73, exec_lo
	s_or_b32 s16, s16, s73
	s_or_b32 exec_lo, exec_lo, s72
	s_and_saveexec_b32 s72, s16
	s_cbranch_execnz .LBB6_5077
	s_branch .LBB6_5078
.LBB6_5724:                             ;   in Loop: Header=BB6_3222 Depth=4
	s_or_saveexec_b32 s16, s16
	v_mov_b32_e32 v50, 0x7f800001
	s_xor_b32 exec_lo, exec_lo, s16
	s_cbranch_execz .LBB6_5090
.LBB6_5725:                             ;   in Loop: Header=BB6_3222 Depth=4
	v_cmp_ne_u16_sdwa s73, v45, v2 src0_sel:BYTE_0 src1_sel:DWORD
	v_mov_b32_e32 v50, 0
	s_andn2_b32 s72, s72, exec_lo
	s_and_b32 s73, s73, exec_lo
	s_or_b32 s72, s72, s73
	s_or_b32 exec_lo, exec_lo, s16
	s_and_saveexec_b32 s16, s72
	s_cbranch_execnz .LBB6_5091
	s_branch .LBB6_5092
.LBB6_5726:                             ;   in Loop: Header=BB6_3222 Depth=4
	s_or_saveexec_b32 s16, s16
	v_mov_b32_e32 v63, 0x7f800001
	s_xor_b32 exec_lo, exec_lo, s16
	s_cbranch_execz .LBB6_5096
.LBB6_5727:                             ;   in Loop: Header=BB6_3222 Depth=4
	v_cmp_ne_u16_sdwa s73, v8, v2 src0_sel:BYTE_0 src1_sel:DWORD
	v_mov_b32_e32 v63, 0
	s_andn2_b32 s72, s72, exec_lo
	s_and_b32 s73, s73, exec_lo
	s_or_b32 s72, s72, s73
	s_or_b32 exec_lo, exec_lo, s16
	s_and_saveexec_b32 s16, s72
	s_cbranch_execnz .LBB6_5097
	s_branch .LBB6_5098
.LBB6_5728:                             ;   in Loop: Header=BB6_3222 Depth=4
	s_or_saveexec_b32 s72, s72
	v_mov_b32_e32 v63, 0x7f800001
	s_xor_b32 exec_lo, exec_lo, s72
	s_cbranch_execz .LBB6_5110
.LBB6_5729:                             ;   in Loop: Header=BB6_3222 Depth=4
	v_cmp_ne_u16_sdwa s73, v45, v2 src0_sel:BYTE_1 src1_sel:DWORD
	v_mov_b32_e32 v63, 0
	s_andn2_b32 s16, s16, exec_lo
	s_and_b32 s73, s73, exec_lo
	s_or_b32 s16, s16, s73
	s_or_b32 exec_lo, exec_lo, s72
	s_and_saveexec_b32 s72, s16
	s_cbranch_execnz .LBB6_5111
	s_branch .LBB6_5112
.LBB6_5730:                             ;   in Loop: Header=BB6_3222 Depth=4
	s_or_saveexec_b32 s72, s72
	v_mov_b32_e32 v72, 0x7f800001
	s_xor_b32 exec_lo, exec_lo, s72
	s_cbranch_execz .LBB6_5116
.LBB6_5731:                             ;   in Loop: Header=BB6_3222 Depth=4
	v_cmp_ne_u16_sdwa s73, v8, v2 src0_sel:BYTE_1 src1_sel:DWORD
	v_mov_b32_e32 v72, 0
	s_andn2_b32 s16, s16, exec_lo
	s_and_b32 s73, s73, exec_lo
	s_or_b32 s16, s16, s73
	s_or_b32 exec_lo, exec_lo, s72
	s_and_saveexec_b32 s72, s16
	s_cbranch_execnz .LBB6_5117
	s_branch .LBB6_5118
.LBB6_5732:                             ;   in Loop: Header=BB6_3222 Depth=4
	s_or_saveexec_b32 s16, s16
	v_mov_b32_e32 v5, 0x7f800001
	s_xor_b32 exec_lo, exec_lo, s16
	s_cbranch_execz .LBB6_5130
.LBB6_5733:                             ;   in Loop: Header=BB6_3222 Depth=4
	v_cmp_ne_u16_sdwa s73, v72, v2 src0_sel:BYTE_0 src1_sel:DWORD
	v_mov_b32_e32 v5, 0
	s_andn2_b32 s72, s72, exec_lo
	s_and_b32 s73, s73, exec_lo
	s_or_b32 s72, s72, s73
	s_or_b32 exec_lo, exec_lo, s16
	v_lshl_or_b32 v45, v72, 16, v45
	s_and_saveexec_b32 s16, s72
	s_cbranch_execnz .LBB6_5131
	s_branch .LBB6_5132
.LBB6_5734:                             ;   in Loop: Header=BB6_3222 Depth=4
	s_or_saveexec_b32 s16, s16
	v_mov_b32_e32 v72, 0x7f800001
	s_xor_b32 exec_lo, exec_lo, s16
	s_cbranch_execz .LBB6_5136
.LBB6_5735:                             ;   in Loop: Header=BB6_3222 Depth=4
	v_cmp_ne_u16_e32 vcc_lo, 0, v73
	v_mov_b32_e32 v72, 0
	s_andn2_b32 s72, s72, exec_lo
	s_and_b32 s73, vcc_lo, exec_lo
	s_or_b32 s72, s72, s73
	s_or_b32 exec_lo, exec_lo, s16
	s_and_saveexec_b32 s16, s72
	s_cbranch_execnz .LBB6_5137
	s_branch .LBB6_5138
.LBB6_5736:                             ;   in Loop: Header=BB6_3222 Depth=4
	s_or_saveexec_b32 s72, s72
	v_mov_b32_e32 v72, 0x7f800001
	s_xor_b32 exec_lo, exec_lo, s72
	s_cbranch_execz .LBB6_5150
.LBB6_5737:                             ;   in Loop: Header=BB6_3222 Depth=4
	v_cmp_ne_u16_sdwa s73, v45, v2 src0_sel:BYTE_3 src1_sel:DWORD
	v_mov_b32_e32 v72, 0
	s_andn2_b32 s16, s16, exec_lo
	s_and_b32 s73, s73, exec_lo
	s_or_b32 s16, s16, s73
	s_or_b32 exec_lo, exec_lo, s72
	s_and_saveexec_b32 s72, s16
	s_cbranch_execnz .LBB6_5151
	s_branch .LBB6_5152
.LBB6_5738:                             ;   in Loop: Header=BB6_3222 Depth=4
	s_or_saveexec_b32 s72, s72
	v_mov_b32_e32 v45, 0x7f800001
	s_xor_b32 exec_lo, exec_lo, s72
	s_cbranch_execz .LBB6_5156
.LBB6_5739:                             ;   in Loop: Header=BB6_3222 Depth=4
	v_cmp_ne_u16_sdwa s73, v8, v2 src0_sel:BYTE_3 src1_sel:DWORD
	v_mov_b32_e32 v45, 0
	s_andn2_b32 s16, s16, exec_lo
	s_and_b32 s73, s73, exec_lo
	s_or_b32 s16, s16, s73
	s_or_b32 exec_lo, exec_lo, s72
	s_and_saveexec_b32 s72, s16
	s_cbranch_execnz .LBB6_5157
	s_branch .LBB6_5158
.LBB6_5740:                             ;   in Loop: Header=BB6_3222 Depth=4
	s_or_saveexec_b32 s16, s16
	v_mov_b32_e32 v45, 0x7f800001
	s_xor_b32 exec_lo, exec_lo, s16
	s_cbranch_execz .LBB6_5170
.LBB6_5741:                             ;   in Loop: Header=BB6_3222 Depth=4
	v_cmp_ne_u16_sdwa s73, v73, v2 src0_sel:BYTE_0 src1_sel:DWORD
	v_mov_b32_e32 v45, 0
	s_andn2_b32 s72, s72, exec_lo
	s_and_b32 s73, s73, exec_lo
	s_or_b32 s72, s72, s73
	s_or_b32 exec_lo, exec_lo, s16
	s_and_saveexec_b32 s16, s72
	s_cbranch_execnz .LBB6_5171
	s_branch .LBB6_5172
.LBB6_5742:                             ;   in Loop: Header=BB6_3222 Depth=4
	s_or_saveexec_b32 s16, s16
	v_mov_b32_e32 v72, 0x7f800001
	s_xor_b32 exec_lo, exec_lo, s16
	s_cbranch_execz .LBB6_5176
.LBB6_5743:                             ;   in Loop: Header=BB6_3222 Depth=4
	v_cmp_ne_u16_sdwa s73, v9, v2 src0_sel:BYTE_0 src1_sel:DWORD
	v_mov_b32_e32 v72, 0
	s_andn2_b32 s72, s72, exec_lo
	s_and_b32 s73, s73, exec_lo
	s_or_b32 s72, s72, s73
	s_or_b32 exec_lo, exec_lo, s16
	s_and_saveexec_b32 s16, s72
	s_cbranch_execnz .LBB6_5177
	s_branch .LBB6_5178
.LBB6_5744:                             ;   in Loop: Header=BB6_3222 Depth=4
	s_or_saveexec_b32 s72, s72
	v_mov_b32_e32 v72, 0x7f800001
	s_xor_b32 exec_lo, exec_lo, s72
	s_cbranch_execz .LBB6_5190
.LBB6_5745:                             ;   in Loop: Header=BB6_3222 Depth=4
	v_cmp_ne_u16_sdwa s73, v73, v2 src0_sel:BYTE_1 src1_sel:DWORD
	v_mov_b32_e32 v72, 0
	s_andn2_b32 s16, s16, exec_lo
	s_and_b32 s73, s73, exec_lo
	s_or_b32 s16, s16, s73
	s_or_b32 exec_lo, exec_lo, s72
	s_and_saveexec_b32 s72, s16
	s_cbranch_execnz .LBB6_5191
	s_branch .LBB6_5192
.LBB6_5746:                             ;   in Loop: Header=BB6_3222 Depth=4
	s_or_saveexec_b32 s72, s72
	v_mov_b32_e32 v74, 0x7f800001
	s_xor_b32 exec_lo, exec_lo, s72
	s_cbranch_execz .LBB6_5196
.LBB6_5747:                             ;   in Loop: Header=BB6_3222 Depth=4
	v_cmp_ne_u16_sdwa s73, v9, v2 src0_sel:BYTE_1 src1_sel:DWORD
	v_mov_b32_e32 v74, 0
	s_andn2_b32 s16, s16, exec_lo
	s_and_b32 s73, s73, exec_lo
	s_or_b32 s16, s16, s73
	s_or_b32 exec_lo, exec_lo, s72
	s_and_saveexec_b32 s72, s16
	s_cbranch_execnz .LBB6_5197
	s_branch .LBB6_5198
.LBB6_5748:                             ;   in Loop: Header=BB6_3222 Depth=4
	s_or_saveexec_b32 s16, s16
	v_mov_b32_e32 v4, 0x7f800001
	s_xor_b32 exec_lo, exec_lo, s16
	s_cbranch_execz .LBB6_5210
.LBB6_5749:                             ;   in Loop: Header=BB6_3222 Depth=4
	v_cmp_ne_u16_sdwa s73, v74, v2 src0_sel:BYTE_0 src1_sel:DWORD
	v_mov_b32_e32 v4, 0
	s_andn2_b32 s72, s72, exec_lo
	s_and_b32 s73, s73, exec_lo
	s_or_b32 s72, s72, s73
	s_or_b32 exec_lo, exec_lo, s16
	v_lshl_or_b32 v73, v74, 16, v73
	s_and_saveexec_b32 s16, s72
	s_cbranch_execnz .LBB6_5211
	s_branch .LBB6_5212
.LBB6_5750:                             ;   in Loop: Header=BB6_3222 Depth=4
	s_or_saveexec_b32 s16, s16
	v_mov_b32_e32 v74, 0x7f800001
	s_xor_b32 exec_lo, exec_lo, s16
	s_cbranch_execz .LBB6_5216
.LBB6_5751:                             ;   in Loop: Header=BB6_3222 Depth=4
	v_cmp_ne_u16_e32 vcc_lo, 0, v75
	v_mov_b32_e32 v74, 0
	s_andn2_b32 s72, s72, exec_lo
	s_and_b32 s73, vcc_lo, exec_lo
	s_or_b32 s72, s72, s73
	s_or_b32 exec_lo, exec_lo, s16
	s_and_saveexec_b32 s16, s72
	s_cbranch_execnz .LBB6_5217
	s_branch .LBB6_5218
.LBB6_5752:                             ;   in Loop: Header=BB6_3222 Depth=4
	s_or_saveexec_b32 s72, s72
	v_mov_b32_e32 v74, 0x7f800001
	s_xor_b32 exec_lo, exec_lo, s72
	s_cbranch_execz .LBB6_5230
.LBB6_5753:                             ;   in Loop: Header=BB6_3222 Depth=4
	v_cmp_ne_u16_sdwa s73, v73, v2 src0_sel:BYTE_3 src1_sel:DWORD
	v_mov_b32_e32 v74, 0
	s_andn2_b32 s16, s16, exec_lo
	s_and_b32 s73, s73, exec_lo
	s_or_b32 s16, s16, s73
	s_or_b32 exec_lo, exec_lo, s72
	s_and_saveexec_b32 s72, s16
	s_cbranch_execnz .LBB6_5231
	s_branch .LBB6_5232
.LBB6_5754:                             ;   in Loop: Header=BB6_3222 Depth=4
	s_or_saveexec_b32 s72, s72
	v_mov_b32_e32 v73, 0x7f800001
	s_xor_b32 exec_lo, exec_lo, s72
	s_cbranch_execz .LBB6_5236
.LBB6_5755:                             ;   in Loop: Header=BB6_3222 Depth=4
	v_cmp_ne_u16_sdwa s73, v9, v2 src0_sel:BYTE_3 src1_sel:DWORD
	v_mov_b32_e32 v73, 0
	s_andn2_b32 s16, s16, exec_lo
	s_and_b32 s73, s73, exec_lo
	s_or_b32 s16, s16, s73
	s_or_b32 exec_lo, exec_lo, s72
	s_and_saveexec_b32 s72, s16
	s_cbranch_execnz .LBB6_5237
	s_branch .LBB6_5238
.LBB6_5756:                             ;   in Loop: Header=BB6_3222 Depth=4
	s_or_saveexec_b32 s16, s16
	v_mov_b32_e32 v52, 0x7f800001
	s_xor_b32 exec_lo, exec_lo, s16
	s_cbranch_execz .LBB6_5250
.LBB6_5757:                             ;   in Loop: Header=BB6_3222 Depth=4
	v_cmp_ne_u16_sdwa s73, v74, v2 src0_sel:BYTE_0 src1_sel:DWORD
	v_mov_b32_e32 v52, 0
	s_andn2_b32 s72, s72, exec_lo
	s_and_b32 s73, s73, exec_lo
	s_or_b32 s72, s72, s73
	s_or_b32 exec_lo, exec_lo, s16
	s_and_saveexec_b32 s16, s72
	s_cbranch_execnz .LBB6_5251
	s_branch .LBB6_5252
.LBB6_5758:                             ;   in Loop: Header=BB6_3222 Depth=4
	s_or_saveexec_b32 s16, s16
	v_mov_b32_e32 v73, 0x7f800001
	s_xor_b32 exec_lo, exec_lo, s16
	s_cbranch_execz .LBB6_5256
.LBB6_5759:                             ;   in Loop: Header=BB6_3222 Depth=4
	v_cmp_ne_u16_sdwa s73, v10, v2 src0_sel:BYTE_0 src1_sel:DWORD
	v_mov_b32_e32 v73, 0
	s_andn2_b32 s72, s72, exec_lo
	s_and_b32 s73, s73, exec_lo
	s_or_b32 s72, s72, s73
	s_or_b32 exec_lo, exec_lo, s16
	s_and_saveexec_b32 s16, s72
	s_cbranch_execnz .LBB6_5257
	s_branch .LBB6_5258
.LBB6_5760:                             ;   in Loop: Header=BB6_3222 Depth=4
	s_or_saveexec_b32 s72, s72
	v_mov_b32_e32 v73, 0x7f800001
	s_xor_b32 exec_lo, exec_lo, s72
	s_cbranch_execz .LBB6_5270
.LBB6_5761:                             ;   in Loop: Header=BB6_3222 Depth=4
	v_cmp_ne_u16_sdwa s73, v74, v2 src0_sel:BYTE_1 src1_sel:DWORD
	v_mov_b32_e32 v73, 0
	s_andn2_b32 s16, s16, exec_lo
	s_and_b32 s73, s73, exec_lo
	s_or_b32 s16, s16, s73
	s_or_b32 exec_lo, exec_lo, s72
	s_and_saveexec_b32 s72, s16
	s_cbranch_execnz .LBB6_5271
	s_branch .LBB6_5272
.LBB6_5762:                             ;   in Loop: Header=BB6_3222 Depth=4
	s_or_saveexec_b32 s72, s72
	v_mov_b32_e32 v75, 0x7f800001
	s_xor_b32 exec_lo, exec_lo, s72
	s_cbranch_execz .LBB6_5276
.LBB6_5763:                             ;   in Loop: Header=BB6_3222 Depth=4
	v_cmp_ne_u16_sdwa s73, v10, v2 src0_sel:BYTE_1 src1_sel:DWORD
	v_mov_b32_e32 v75, 0
	s_andn2_b32 s16, s16, exec_lo
	s_and_b32 s73, s73, exec_lo
	s_or_b32 s16, s16, s73
	s_or_b32 exec_lo, exec_lo, s72
	s_and_saveexec_b32 s72, s16
	s_cbranch_execnz .LBB6_5277
	s_branch .LBB6_5278
.LBB6_5764:                             ;   in Loop: Header=BB6_3222 Depth=4
	s_or_saveexec_b32 s16, s16
	v_mov_b32_e32 v29, 0x7f800001
	s_xor_b32 exec_lo, exec_lo, s16
	s_cbranch_execz .LBB6_5290
.LBB6_5765:                             ;   in Loop: Header=BB6_3222 Depth=4
	v_cmp_ne_u16_sdwa s73, v75, v2 src0_sel:BYTE_0 src1_sel:DWORD
	v_mov_b32_e32 v29, 0
	s_andn2_b32 s72, s72, exec_lo
	s_and_b32 s73, s73, exec_lo
	s_or_b32 s72, s72, s73
	s_or_b32 exec_lo, exec_lo, s16
	v_lshl_or_b32 v74, v75, 16, v74
	s_and_saveexec_b32 s16, s72
	s_cbranch_execnz .LBB6_5291
	s_branch .LBB6_5292
.LBB6_5766:                             ;   in Loop: Header=BB6_3222 Depth=4
	s_or_saveexec_b32 s16, s16
	v_mov_b32_e32 v75, 0x7f800001
	s_xor_b32 exec_lo, exec_lo, s16
	s_cbranch_execz .LBB6_5296
.LBB6_5767:                             ;   in Loop: Header=BB6_3222 Depth=4
	v_cmp_ne_u16_e32 vcc_lo, 0, v77
	v_mov_b32_e32 v75, 0
	s_andn2_b32 s72, s72, exec_lo
	s_and_b32 s73, vcc_lo, exec_lo
	s_or_b32 s72, s72, s73
	s_or_b32 exec_lo, exec_lo, s16
	s_and_saveexec_b32 s16, s72
	s_cbranch_execnz .LBB6_5297
	s_branch .LBB6_5298
.LBB6_5768:                             ;   in Loop: Header=BB6_3222 Depth=4
	s_or_saveexec_b32 s72, s72
	v_mov_b32_e32 v75, 0x7f800001
	s_xor_b32 exec_lo, exec_lo, s72
	s_cbranch_execz .LBB6_5310
.LBB6_5769:                             ;   in Loop: Header=BB6_3222 Depth=4
	v_cmp_ne_u16_sdwa s73, v74, v2 src0_sel:BYTE_3 src1_sel:DWORD
	v_mov_b32_e32 v75, 0
	s_andn2_b32 s16, s16, exec_lo
	s_and_b32 s73, s73, exec_lo
	s_or_b32 s16, s16, s73
	s_or_b32 exec_lo, exec_lo, s72
	s_and_saveexec_b32 s72, s16
	s_cbranch_execnz .LBB6_5311
	s_branch .LBB6_5312
.LBB6_5770:                             ;   in Loop: Header=BB6_3222 Depth=4
	s_or_saveexec_b32 s72, s72
	v_mov_b32_e32 v74, 0x7f800001
	s_xor_b32 exec_lo, exec_lo, s72
	s_cbranch_execz .LBB6_5316
.LBB6_5771:                             ;   in Loop: Header=BB6_3222 Depth=4
	v_cmp_ne_u16_sdwa s73, v10, v2 src0_sel:BYTE_3 src1_sel:DWORD
	v_mov_b32_e32 v74, 0
	s_andn2_b32 s16, s16, exec_lo
	s_and_b32 s73, s73, exec_lo
	s_or_b32 s16, s16, s73
	s_or_b32 exec_lo, exec_lo, s72
	s_and_saveexec_b32 s72, s16
	s_cbranch_execnz .LBB6_5317
	s_branch .LBB6_5318
.LBB6_5772:                             ;   in Loop: Header=BB6_3222 Depth=4
	s_or_saveexec_b32 s16, s16
	v_mov_b32_e32 v25, 0x7f800001
	s_xor_b32 exec_lo, exec_lo, s16
	s_cbranch_execz .LBB6_5330
.LBB6_5773:                             ;   in Loop: Header=BB6_3222 Depth=4
	v_cmp_ne_u16_sdwa s73, v74, v2 src0_sel:BYTE_0 src1_sel:DWORD
	v_mov_b32_e32 v25, 0
	s_andn2_b32 s72, s72, exec_lo
	s_and_b32 s73, s73, exec_lo
	s_or_b32 s72, s72, s73
	s_or_b32 exec_lo, exec_lo, s16
	s_and_saveexec_b32 s16, s72
	s_cbranch_execnz .LBB6_5331
	s_branch .LBB6_5332
.LBB6_5774:                             ;   in Loop: Header=BB6_3222 Depth=4
	s_or_saveexec_b32 s16, s16
	v_mov_b32_e32 v30, 0x7f800001
	s_xor_b32 exec_lo, exec_lo, s16
	s_cbranch_execz .LBB6_5336
.LBB6_5775:                             ;   in Loop: Header=BB6_3222 Depth=4
	v_cmp_ne_u16_sdwa s73, v11, v2 src0_sel:BYTE_0 src1_sel:DWORD
	v_mov_b32_e32 v30, 0
	s_andn2_b32 s72, s72, exec_lo
	s_and_b32 s73, s73, exec_lo
	s_or_b32 s72, s72, s73
	s_or_b32 exec_lo, exec_lo, s16
	s_and_saveexec_b32 s16, s72
	s_cbranch_execnz .LBB6_5337
	s_branch .LBB6_5338
.LBB6_5776:                             ;   in Loop: Header=BB6_3222 Depth=4
	s_or_saveexec_b32 s72, s72
	v_mov_b32_e32 v30, 0x7f800001
	s_xor_b32 exec_lo, exec_lo, s72
	s_cbranch_execz .LBB6_5350
.LBB6_5777:                             ;   in Loop: Header=BB6_3222 Depth=4
	v_cmp_ne_u16_sdwa s73, v74, v2 src0_sel:BYTE_1 src1_sel:DWORD
	v_mov_b32_e32 v30, 0
	s_andn2_b32 s16, s16, exec_lo
	s_and_b32 s73, s73, exec_lo
	s_or_b32 s16, s16, s73
	s_or_b32 exec_lo, exec_lo, s72
	s_and_saveexec_b32 s72, s16
	s_cbranch_execnz .LBB6_5351
	s_branch .LBB6_5352
.LBB6_5778:                             ;   in Loop: Header=BB6_3222 Depth=4
	s_or_saveexec_b32 s72, s72
	v_mov_b32_e32 v75, 0x7f800001
	s_xor_b32 exec_lo, exec_lo, s72
	s_cbranch_execz .LBB6_5356
.LBB6_5779:                             ;   in Loop: Header=BB6_3222 Depth=4
	v_cmp_ne_u16_sdwa s73, v11, v2 src0_sel:BYTE_1 src1_sel:DWORD
	v_mov_b32_e32 v75, 0
	s_andn2_b32 s16, s16, exec_lo
	s_and_b32 s73, s73, exec_lo
	s_or_b32 s16, s16, s73
	s_or_b32 exec_lo, exec_lo, s72
	s_and_saveexec_b32 s72, s16
	s_cbranch_execnz .LBB6_5357
	s_branch .LBB6_5358
.LBB6_5780:                             ;   in Loop: Header=BB6_3222 Depth=4
	s_or_saveexec_b32 s16, s16
	v_mov_b32_e32 v24, 0x7f800001
	s_xor_b32 exec_lo, exec_lo, s16
	s_cbranch_execz .LBB6_5370
.LBB6_5781:                             ;   in Loop: Header=BB6_3222 Depth=4
	v_cmp_ne_u16_sdwa s73, v28, v2 src0_sel:BYTE_0 src1_sel:DWORD
	v_mov_b32_e32 v24, 0
	s_andn2_b32 s72, s72, exec_lo
	s_and_b32 s73, s73, exec_lo
	s_or_b32 s72, s72, s73
	s_or_b32 exec_lo, exec_lo, s16
	v_lshl_or_b32 v28, v28, 16, v74
	s_and_saveexec_b32 s16, s72
	s_cbranch_execnz .LBB6_5371
	s_branch .LBB6_5372
.LBB6_5782:                             ;   in Loop: Header=BB6_3222 Depth=4
	s_or_saveexec_b32 s16, s16
	v_mov_b32_e32 v74, 0x7f800001
	s_xor_b32 exec_lo, exec_lo, s16
	s_cbranch_execz .LBB6_5376
.LBB6_5783:                             ;   in Loop: Header=BB6_3222 Depth=4
	v_cmp_ne_u16_e32 vcc_lo, 0, v75
	v_mov_b32_e32 v74, 0
	s_andn2_b32 s72, s72, exec_lo
	s_and_b32 s73, vcc_lo, exec_lo
	s_or_b32 s72, s72, s73
	s_or_b32 exec_lo, exec_lo, s16
	s_and_saveexec_b32 s16, s72
	s_cbranch_execnz .LBB6_5377
	s_branch .LBB6_5378
.LBB6_5784:                             ;   in Loop: Header=BB6_3222 Depth=4
	s_or_saveexec_b32 s72, s72
	v_mov_b32_e32 v74, 0x7f800001
	s_xor_b32 exec_lo, exec_lo, s72
	s_cbranch_execz .LBB6_5390
.LBB6_5785:                             ;   in Loop: Header=BB6_3222 Depth=4
	v_cmp_ne_u16_sdwa s73, v28, v2 src0_sel:BYTE_3 src1_sel:DWORD
	v_mov_b32_e32 v74, 0
	s_andn2_b32 s16, s16, exec_lo
	s_and_b32 s73, s73, exec_lo
	s_or_b32 s16, s16, s73
	s_or_b32 exec_lo, exec_lo, s72
	s_and_saveexec_b32 s72, s16
	s_cbranch_execnz .LBB6_5391
	s_branch .LBB6_5392
.LBB6_5786:                             ;   in Loop: Header=BB6_3222 Depth=4
	s_or_saveexec_b32 s72, s72
	v_mov_b32_e32 v28, 0x7f800001
	s_xor_b32 exec_lo, exec_lo, s72
	s_cbranch_execz .LBB6_5396
.LBB6_5787:                             ;   in Loop: Header=BB6_3222 Depth=4
	v_cmp_ne_u16_sdwa s73, v11, v2 src0_sel:BYTE_3 src1_sel:DWORD
	v_mov_b32_e32 v28, 0
	s_andn2_b32 s16, s16, exec_lo
	s_and_b32 s73, s73, exec_lo
	s_or_b32 s16, s16, s73
	s_or_b32 exec_lo, exec_lo, s72
	s_and_saveexec_b32 s72, s16
	s_cbranch_execnz .LBB6_5397
	s_branch .LBB6_5398
.LBB6_5788:                             ;   in Loop: Header=BB6_3138 Depth=3
	s_or_b32 exec_lo, exec_lo, s61
.LBB6_5789:                             ;   in Loop: Header=BB6_3138 Depth=3
	s_or_b32 exec_lo, exec_lo, s17
	v_lshlrev_b32_e32 v5, 11, v76
	v_mov_b32_e32 v0, 0
	s_mov_b32 s16, 0
	s_mov_b32 s61, exec_lo
                                        ; implicit-def: $vgpr1
                                        ; implicit-def: $vgpr4
	v_cmpx_ne_u32_e64 v3, v5
	s_cbranch_execz .LBB6_6443
; %bb.5790:                             ;   in Loop: Header=BB6_3138 Depth=3
	buffer_load_dword v1, off, s[0:3], s33 offset:420 ; 4-byte Folded Reload
	v_lshlrev_b32_e32 v0, 5, v69
	v_sub_nc_u32_e32 v6, v3, v5
	s_mov_b32 s62, exec_lo
	v_ashrrev_i32_e32 v4, 31, v6
	v_lshrrev_b32_e32 v4, 23, v4
	v_add_nc_u32_e32 v8, v6, v4
	v_ashrrev_i32_e32 v10, 9, v8
	s_waitcnt vmcnt(0)
	v_sub_nc_u32_e32 v0, v1, v0
	v_ashrrev_i32_e32 v1, 31, v0
	v_lshrrev_b32_e32 v1, 27, v1
	v_add_nc_u32_e32 v1, v0, v1
	v_and_b32_e32 v7, 0xffffffe0, v1
	v_ashrrev_i32_e32 v9, 5, v1
	v_sub_nc_u32_e32 v4, v0, v7
	v_and_b32_e32 v0, 0xfffffe00, v8
	v_lshlrev_b32_e32 v7, 4, v4
	v_sub_nc_u32_e32 v1, v6, v0
	v_lshl_add_u32 v8, v9, 9, v7
	v_cmp_lt_i32_e64 s16, 15, v1
	v_sub_nc_u32_e32 v7, v6, v8
	v_add_co_ci_u32_e64 v10, null, 0, v10, s16
	v_sub_nc_u32_e32 v6, v10, v9
	v_cmpx_lt_i32_e32 15, v7
	s_cbranch_execz .LBB6_6442
; %bb.5791:                             ;   in Loop: Header=BB6_3138 Depth=3
	s_trap 2
	ds_read_b64 v[9:10], v0
	v_add_nc_u32_e32 v8, v8, v5
	v_ashrrev_i32_e32 v11, 31, v8
	v_add_co_u32 v12, vcc_lo, v8, v80
	v_add_co_ci_u32_e64 v13, null, v11, v81, vcc_lo
	v_add_co_u32 v14, vcc_lo, v8, v82
	v_add_co_ci_u32_e64 v15, null, v11, v83, vcc_lo
	s_waitcnt lgkmcnt(0)
	v_readfirstlane_b32 s17, v9
	v_add_co_u32 v16, vcc_lo, v9, v8
	v_add_co_ci_u32_e64 v17, null, v10, v11, vcc_lo
	s_and_b32 s63, s17, 3
	s_bfe_u32 s74, s17, 0x50002
	s_flbit_i32_b32 s72, s63
	s_min_u32 s72, s72, 32
	s_sub_i32 s73, s72, 29
	s_sub_i32 s72, 30, s72
	s_lshl_b32 s73, s17, s73
	s_and_b32 s73, s73, 3
	s_cmp_eq_u32 s74, 0
	s_cselect_b32 s72, s72, s74
	s_cselect_b32 s63, s73, s63
	s_lshl_b32 s73, s17, 24
	s_lshl_b32 s72, s72, 23
	s_and_b32 s73, s73, 0x80000000
	s_add_i32 s72, s72, 0x37800000
	s_lshl_b32 s74, s63, 21
	s_or_b32 s72, s73, s72
	s_mov_b32 s63, 0
	s_or_b32 s72, s72, s74
	s_and_b32 s73, s17, 0xff
	s_branch .LBB6_5795
.LBB6_5792:                             ;   in Loop: Header=BB6_5795 Depth=4
	s_or_b32 exec_lo, exec_lo, s17
	v_lshrrev_b32_e32 v24, 21, v24
	v_min_i32_e32 v31, 31, v22
	v_cmp_gt_i32_e32 vcc_lo, 32, v22
	v_and_b32_sdwa v11, v11, v117 dst_sel:DWORD dst_unused:UNUSED_PAD src0_sel:BYTE_3 src1_sel:DWORD
	v_lshlrev_b32_e32 v31, 2, v31
	v_cndmask_b32_e32 v24, 3, v24, vcc_lo
	v_and_b32_e32 v31, 0xfc, v31
	v_and_b32_e32 v37, 3, v24
	v_or_b32_e32 v22, v22, v24
	v_or3_b32 v11, v11, v31, v37
	v_cmp_ne_u32_e32 vcc_lo, 0, v22
	v_lshlrev_b32_e32 v11, 8, v11
	v_cndmask_b32_e32 v22, 0, v11, vcc_lo
.LBB6_5793:                             ;   in Loop: Header=BB6_5795 Depth=4
	s_or_b32 exec_lo, exec_lo, s75
.LBB6_5794:                             ;   in Loop: Header=BB6_5795 Depth=4
	s_or_b32 exec_lo, exec_lo, s74
	v_or_b32_sdwa v9, v9, v28 dst_sel:WORD_1 dst_unused:UNUSED_PAD src0_sel:DWORD src1_sel:DWORD
	v_or_b32_sdwa v8, v8, v26 dst_sel:WORD_1 dst_unused:UNUSED_PAD src0_sel:DWORD src1_sel:DWORD
	;; [unrolled: 1-line block ×4, first 2 shown]
	v_sub_nc_u32_e32 v6, v6, v103
	v_or3_b32 v9, v36, v30, v9
	v_or3_b32 v8, v21, v18, v8
	;; [unrolled: 1-line block ×4, first 2 shown]
	global_store_dwordx4 v[14:15], v[8:11], off glc slc
	v_lshlrev_b32_e32 v8, 9, v103
	v_sub_nc_u32_e32 v7, v7, v8
	v_add_co_u32 v12, vcc_lo, v12, v8
	v_add_co_ci_u32_e64 v13, null, 0, v13, vcc_lo
	v_add_co_u32 v16, vcc_lo, v16, v8
	v_add_co_ci_u32_e64 v17, null, 0, v17, vcc_lo
	v_cmp_gt_i32_e32 vcc_lo, 16, v7
	v_add_co_u32 v14, s17, v14, v8
	v_add_co_ci_u32_e64 v15, null, 0, v15, s17
	s_or_b32 s63, vcc_lo, s63
	s_andn2_b32 exec_lo, exec_lo, s63
	s_cbranch_execz .LBB6_6441
.LBB6_5795:                             ;   Parent Loop BB6_47 Depth=1
                                        ;     Parent Loop BB6_3135 Depth=2
                                        ;       Parent Loop BB6_3138 Depth=3
                                        ; =>      This Inner Loop Header: Depth=4
	s_cmpk_lt_i32 s73, 0x80
	s_cbranch_scc1 .LBB6_5799
; %bb.5796:                             ;   in Loop: Header=BB6_5795 Depth=4
	s_and_b32 s17, 0xffff, s73
	s_cmpk_eq_i32 s17, 0x80
	s_mov_b32 s17, -1
	s_cbranch_scc0 .LBB6_5798
; %bb.5797:                             ;   in Loop: Header=BB6_5795 Depth=4
	s_mov_b32 s17, 0
.LBB6_5798:                             ;   in Loop: Header=BB6_5795 Depth=4
	s_mov_b32 s74, 0x7f800001
	s_branch .LBB6_5801
.LBB6_5799:                             ;   in Loop: Header=BB6_5795 Depth=4
	s_mov_b32 s17, 0
	s_mov_b32 s74, 0x7f800001
	s_cbranch_execz .LBB6_5801
; %bb.5800:                             ;   in Loop: Header=BB6_5795 Depth=4
	s_and_b32 s17, 0xffff, s73
	s_mov_b32 s74, 0
	s_cmp_lg_u32 s17, 0
	s_cselect_b32 s17, -1, 0
.LBB6_5801:                             ;   in Loop: Header=BB6_5795 Depth=4
	s_andn2_b32 vcc_lo, exec_lo, s17
	s_cbranch_vccnz .LBB6_5803
; %bb.5802:                             ;   in Loop: Header=BB6_5795 Depth=4
	s_mov_b32 s74, s72
.LBB6_5803:                             ;   in Loop: Header=BB6_5795 Depth=4
	global_load_dwordx4 v[8:11], v[12:13], off slc
	s_mov_b32 s17, 0
	s_waitcnt vmcnt(0)
	v_cmp_gt_i16_sdwa s75, v8, v116 src0_sel:BYTE_0 src1_sel:DWORD
	s_and_saveexec_b32 s76, s75
	s_xor_b32 s75, exec_lo, s76
	s_cbranch_execz .LBB6_6345
; %bb.5804:                             ;   in Loop: Header=BB6_5795 Depth=4
	v_cmp_eq_u16_sdwa s77, v8, v117 src0_sel:BYTE_0 src1_sel:DWORD
	s_mov_b32 s17, -1
	s_and_saveexec_b32 s76, s77
; %bb.5805:                             ;   in Loop: Header=BB6_5795 Depth=4
	s_xor_b32 s17, exec_lo, -1
; %bb.5806:                             ;   in Loop: Header=BB6_5795 Depth=4
	s_or_b32 exec_lo, exec_lo, s76
	s_and_b32 s17, s17, exec_lo
	s_or_saveexec_b32 s75, s75
	v_mov_b32_e32 v18, 0x7f800001
	s_xor_b32 exec_lo, exec_lo, s75
	s_cbranch_execnz .LBB6_6346
.LBB6_5807:                             ;   in Loop: Header=BB6_5795 Depth=4
	s_or_b32 exec_lo, exec_lo, s75
	s_and_saveexec_b32 s75, s17
	s_cbranch_execz .LBB6_5809
.LBB6_5808:                             ;   in Loop: Header=BB6_5795 Depth=4
	v_and_b32_e32 v18, 3, v8
	v_bfe_u32 v21, v8, 2, 5
	v_lshlrev_b32_e32 v22, 24, v8
	v_ffbh_u32_e32 v19, v18
	v_cmp_eq_u32_e32 vcc_lo, 0, v21
	v_min_u32_e32 v19, 32, v19
	v_subrev_nc_u32_e32 v20, 29, v19
	v_sub_nc_u32_e32 v19, 30, v19
	v_lshlrev_b32_e32 v20, v20, v8
	v_cndmask_b32_e32 v19, v21, v19, vcc_lo
	v_and_b32_e32 v20, 3, v20
	v_lshl_add_u32 v19, v19, 23, 0x37800000
	v_cndmask_b32_e32 v18, v18, v20, vcc_lo
	v_and_b32_e32 v20, 0x80000000, v22
	v_lshlrev_b32_e32 v18, 21, v18
	v_or3_b32 v18, v20, v19, v18
.LBB6_5809:                             ;   in Loop: Header=BB6_5795 Depth=4
	s_or_b32 exec_lo, exec_lo, s75
	v_mul_f32_e32 v19, s74, v18
	v_and_b32_e32 v18, 0x7f800000, v19
	v_cmp_ne_u32_e32 vcc_lo, 0x7f800000, v18
	v_mov_b32_e32 v18, 0x80
	s_and_saveexec_b32 s75, vcc_lo
	s_cbranch_execz .LBB6_5817
; %bb.5810:                             ;   in Loop: Header=BB6_5795 Depth=4
	v_mov_b32_e32 v18, 0
	s_mov_b32 s76, exec_lo
	v_cmpx_ne_u32_e32 0, v19
	s_cbranch_execz .LBB6_5816
; %bb.5811:                             ;   in Loop: Header=BB6_5795 Depth=4
	v_bfe_u32 v18, v19, 23, 8
	v_and_b32_e32 v20, 0x7fffff, v19
	v_sub_nc_u32_e32 v21, 0x70, v18
	v_cmp_gt_u32_e32 vcc_lo, 0x71, v18
	v_or_b32_e32 v22, 0x800000, v20
	v_cndmask_b32_e32 v21, 0, v21, vcc_lo
	v_cmp_eq_u32_e32 vcc_lo, 0, v18
	v_add_nc_u32_e32 v18, 0xffffff91, v18
	v_cndmask_b32_e64 v21, v21, 0x6f, vcc_lo
	v_cndmask_b32_e32 v20, v22, v20, vcc_lo
	v_cndmask_b32_e64 v18, v18, 0xffffff92, vcc_lo
	v_lshl_add_u32 v22, 0x200000, v21, -1
	v_lshrrev_b32_e32 v23, v21, v20
	v_lshlrev_b32_e64 v25, v21, 0x100000
	v_add_nc_u32_e32 v21, v21, v18
	v_and_b32_e32 v20, v22, v20
	v_bfe_u32 v24, v23, 21, 1
	v_cmp_eq_u32_e64 s17, v20, v25
	v_add_nc_u32_e32 v22, -1, v24
	v_cndmask_b32_e64 v20, 0, v22, s17
	v_lshrrev_b32_e32 v22, 23, v23
	s_mov_b32 s17, exec_lo
	v_add_nc_u32_e32 v20, v20, v23
	v_xor_b32_e32 v22, 1, v22
	v_and_b32_e32 v18, 0x1fffff, v20
	v_add_nc_u32_e32 v20, v18, v23
                                        ; implicit-def: $vgpr18
	v_cmpx_ne_u32_e64 v21, v22
	s_xor_b32 s17, exec_lo, s17
; %bb.5812:                             ;   in Loop: Header=BB6_5795 Depth=4
	v_cmp_lt_u32_e32 vcc_lo, 0xffffff, v20
	v_sub_nc_u32_e32 v18, v21, v22
	v_cndmask_b32_e64 v21, 0, 1, vcc_lo
	v_add_co_ci_u32_e64 v18, null, 0, v18, vcc_lo
	v_lshrrev_b32_e32 v20, v21, v20
; %bb.5813:                             ;   in Loop: Header=BB6_5795 Depth=4
	s_andn2_saveexec_b32 s17, s17
; %bb.5814:                             ;   in Loop: Header=BB6_5795 Depth=4
	v_bfe_u32 v18, v20, 23, 1
; %bb.5815:                             ;   in Loop: Header=BB6_5795 Depth=4
	s_or_b32 exec_lo, exec_lo, s17
	v_lshrrev_b32_e32 v20, 21, v20
	v_min_i32_e32 v21, 31, v18
	v_cmp_gt_i32_e32 vcc_lo, 32, v18
	v_and_b32_sdwa v19, v19, v117 dst_sel:DWORD dst_unused:UNUSED_PAD src0_sel:BYTE_3 src1_sel:DWORD
	v_lshlrev_b32_e32 v21, 2, v21
	v_cndmask_b32_e32 v20, 3, v20, vcc_lo
	v_and_b32_e32 v21, 0xfc, v21
	v_and_b32_e32 v22, 3, v20
	v_or_b32_e32 v18, v18, v20
	v_or3_b32 v19, v21, v19, v22
	v_cmp_ne_u32_e32 vcc_lo, 0, v18
	v_cndmask_b32_e32 v18, 0, v19, vcc_lo
.LBB6_5816:                             ;   in Loop: Header=BB6_5795 Depth=4
	s_or_b32 exec_lo, exec_lo, s76
.LBB6_5817:                             ;   in Loop: Header=BB6_5795 Depth=4
	s_or_b32 exec_lo, exec_lo, s75
	v_cmp_gt_i16_sdwa s75, v8, v116 src0_sel:BYTE_1 src1_sel:DWORD
	s_mov_b32 s17, 0
	s_and_saveexec_b32 s76, s75
	s_xor_b32 s75, exec_lo, s76
	s_cbranch_execz .LBB6_6347
; %bb.5818:                             ;   in Loop: Header=BB6_5795 Depth=4
	v_cmp_eq_u16_sdwa s77, v8, v117 src0_sel:BYTE_1 src1_sel:DWORD
	s_mov_b32 s17, -1
	s_and_saveexec_b32 s76, s77
; %bb.5819:                             ;   in Loop: Header=BB6_5795 Depth=4
	s_xor_b32 s17, exec_lo, -1
; %bb.5820:                             ;   in Loop: Header=BB6_5795 Depth=4
	s_or_b32 exec_lo, exec_lo, s76
	s_and_b32 s17, s17, exec_lo
	s_or_saveexec_b32 s75, s75
	v_mov_b32_e32 v19, 0x7f800001
	s_xor_b32 exec_lo, exec_lo, s75
	s_cbranch_execnz .LBB6_6348
.LBB6_5821:                             ;   in Loop: Header=BB6_5795 Depth=4
	s_or_b32 exec_lo, exec_lo, s75
	s_and_saveexec_b32 s75, s17
	s_cbranch_execz .LBB6_5823
.LBB6_5822:                             ;   in Loop: Header=BB6_5795 Depth=4
	v_and_b32_sdwa v19, v118, v8 dst_sel:DWORD dst_unused:UNUSED_PAD src0_sel:DWORD src1_sel:BYTE_1
	v_and_b32_e32 v20, 3, v19
	v_bfe_u32 v23, v19, 2, 5
	v_ffbh_u32_e32 v21, v20
	v_cmp_eq_u32_e32 vcc_lo, 0, v23
	v_min_u32_e32 v21, 32, v21
	v_subrev_nc_u32_e32 v22, 29, v21
	v_sub_nc_u32_e32 v21, 30, v21
	v_lshlrev_b32_e32 v19, v22, v19
	v_lshlrev_b32_sdwa v22, v119, v8 dst_sel:DWORD dst_unused:UNUSED_PAD src0_sel:DWORD src1_sel:BYTE_1
	v_cndmask_b32_e32 v21, v23, v21, vcc_lo
	v_and_b32_e32 v19, 3, v19
	v_lshl_add_u32 v21, v21, 23, 0x37800000
	v_cndmask_b32_e32 v19, v20, v19, vcc_lo
	v_and_b32_e32 v20, 0x80000000, v22
	v_lshlrev_b32_e32 v19, 21, v19
	v_or3_b32 v19, v20, v21, v19
.LBB6_5823:                             ;   in Loop: Header=BB6_5795 Depth=4
	s_or_b32 exec_lo, exec_lo, s75
	v_mul_f32_e32 v19, s74, v19
	v_mov_b32_e32 v21, 0x8000
	s_mov_b32 s75, exec_lo
	v_and_b32_e32 v20, 0x7f800000, v19
	v_cmpx_ne_u32_e32 0x7f800000, v20
	s_cbranch_execz .LBB6_5831
; %bb.5824:                             ;   in Loop: Header=BB6_5795 Depth=4
	v_mov_b32_e32 v21, 0
	s_mov_b32 s76, exec_lo
	v_cmpx_ne_u32_e32 0, v19
	s_cbranch_execz .LBB6_5830
; %bb.5825:                             ;   in Loop: Header=BB6_5795 Depth=4
	v_bfe_u32 v20, v19, 23, 8
	v_and_b32_e32 v21, 0x7fffff, v19
	v_sub_nc_u32_e32 v22, 0x70, v20
	v_cmp_gt_u32_e32 vcc_lo, 0x71, v20
	v_or_b32_e32 v23, 0x800000, v21
	v_cndmask_b32_e32 v22, 0, v22, vcc_lo
	v_cmp_eq_u32_e32 vcc_lo, 0, v20
	v_add_nc_u32_e32 v20, 0xffffff91, v20
	v_cndmask_b32_e64 v22, v22, 0x6f, vcc_lo
	v_cndmask_b32_e32 v21, v23, v21, vcc_lo
	v_cndmask_b32_e64 v20, v20, 0xffffff92, vcc_lo
	v_lshl_add_u32 v23, 0x200000, v22, -1
	v_lshrrev_b32_e32 v24, v22, v21
	v_lshlrev_b32_e64 v26, v22, 0x100000
	v_add_nc_u32_e32 v22, v22, v20
	v_and_b32_e32 v21, v23, v21
	v_bfe_u32 v25, v24, 21, 1
	v_cmp_eq_u32_e64 s17, v21, v26
	v_add_nc_u32_e32 v23, -1, v25
	v_cndmask_b32_e64 v21, 0, v23, s17
	v_lshrrev_b32_e32 v23, 23, v24
	s_mov_b32 s17, exec_lo
	v_add_nc_u32_e32 v21, v21, v24
	v_xor_b32_e32 v23, 1, v23
	v_and_b32_e32 v20, 0x1fffff, v21
	v_add_nc_u32_e32 v21, v20, v24
                                        ; implicit-def: $vgpr20
	v_cmpx_ne_u32_e64 v22, v23
	s_xor_b32 s17, exec_lo, s17
; %bb.5826:                             ;   in Loop: Header=BB6_5795 Depth=4
	v_cmp_lt_u32_e32 vcc_lo, 0xffffff, v21
	v_sub_nc_u32_e32 v20, v22, v23
	v_cndmask_b32_e64 v22, 0, 1, vcc_lo
	v_add_co_ci_u32_e64 v20, null, 0, v20, vcc_lo
	v_lshrrev_b32_e32 v21, v22, v21
; %bb.5827:                             ;   in Loop: Header=BB6_5795 Depth=4
	s_andn2_saveexec_b32 s17, s17
; %bb.5828:                             ;   in Loop: Header=BB6_5795 Depth=4
	v_bfe_u32 v20, v21, 23, 1
; %bb.5829:                             ;   in Loop: Header=BB6_5795 Depth=4
	s_or_b32 exec_lo, exec_lo, s17
	v_lshrrev_b32_e32 v21, 21, v21
	v_min_i32_e32 v22, 31, v20
	v_cmp_gt_i32_e32 vcc_lo, 32, v20
	v_and_b32_sdwa v19, v19, v117 dst_sel:DWORD dst_unused:UNUSED_PAD src0_sel:BYTE_3 src1_sel:DWORD
	v_lshlrev_b32_e32 v22, 2, v22
	v_cndmask_b32_e32 v21, 3, v21, vcc_lo
	v_and_b32_e32 v22, 0xfc, v22
	v_and_b32_e32 v23, 3, v21
	v_or_b32_e32 v20, v20, v21
	v_or3_b32 v19, v19, v22, v23
	v_cmp_ne_u32_e32 vcc_lo, 0, v20
	v_lshlrev_b32_e32 v19, 8, v19
	v_cndmask_b32_e32 v21, 0, v19, vcc_lo
.LBB6_5830:                             ;   in Loop: Header=BB6_5795 Depth=4
	s_or_b32 exec_lo, exec_lo, s76
.LBB6_5831:                             ;   in Loop: Header=BB6_5795 Depth=4
	s_or_b32 exec_lo, exec_lo, s75
	v_and_b32_sdwa v20, v8, v40 dst_sel:DWORD dst_unused:UNUSED_PAD src0_sel:WORD_1 src1_sel:DWORD
	s_mov_b32 s17, 0
	s_mov_b32 s75, exec_lo
	v_cmpx_lt_i16_e32 0x7f, v20
	s_xor_b32 s75, exec_lo, s75
	s_cbranch_execz .LBB6_6349
; %bb.5832:                             ;   in Loop: Header=BB6_5795 Depth=4
	s_mov_b32 s17, -1
	s_mov_b32 s76, exec_lo
	v_cmpx_eq_u16_e32 0x80, v20
; %bb.5833:                             ;   in Loop: Header=BB6_5795 Depth=4
	s_xor_b32 s17, exec_lo, -1
; %bb.5834:                             ;   in Loop: Header=BB6_5795 Depth=4
	s_or_b32 exec_lo, exec_lo, s76
	s_and_b32 s17, s17, exec_lo
                                        ; implicit-def: $vgpr20
	s_or_saveexec_b32 s75, s75
	v_mov_b32_e32 v19, 0x7f800001
	s_xor_b32 exec_lo, exec_lo, s75
	s_cbranch_execnz .LBB6_6350
.LBB6_5835:                             ;   in Loop: Header=BB6_5795 Depth=4
	s_or_b32 exec_lo, exec_lo, s75
	s_and_saveexec_b32 s75, s17
	s_cbranch_execz .LBB6_5837
.LBB6_5836:                             ;   in Loop: Header=BB6_5795 Depth=4
	v_bfe_u32 v19, v8, 16, 2
	v_bfe_u32 v23, v8, 18, 5
	v_lshlrev_b32_e32 v24, 8, v8
	v_ffbh_u32_e32 v20, v19
	v_cmp_eq_u32_e32 vcc_lo, 0, v23
	v_min_u32_e32 v20, 32, v20
	v_subrev_nc_u32_e32 v22, 29, v20
	v_sub_nc_u32_e32 v20, 30, v20
	v_lshlrev_b32_sdwa v22, v22, v8 dst_sel:DWORD dst_unused:UNUSED_PAD src0_sel:DWORD src1_sel:WORD_1
	v_cndmask_b32_e32 v20, v23, v20, vcc_lo
	v_and_b32_e32 v22, 3, v22
	v_lshl_add_u32 v20, v20, 23, 0x37800000
	v_cndmask_b32_e32 v19, v19, v22, vcc_lo
	v_and_b32_e32 v22, 0x80000000, v24
	v_lshlrev_b32_e32 v19, 21, v19
	v_or3_b32 v19, v22, v20, v19
.LBB6_5837:                             ;   in Loop: Header=BB6_5795 Depth=4
	s_or_b32 exec_lo, exec_lo, s75
	v_mul_f32_e32 v19, s74, v19
	v_mov_b32_e32 v26, 0x80
	s_mov_b32 s75, exec_lo
	v_and_b32_e32 v20, 0x7f800000, v19
	v_cmpx_ne_u32_e32 0x7f800000, v20
	s_cbranch_execz .LBB6_5845
; %bb.5838:                             ;   in Loop: Header=BB6_5795 Depth=4
	v_mov_b32_e32 v26, 0
	s_mov_b32 s76, exec_lo
	v_cmpx_ne_u32_e32 0, v19
	s_cbranch_execz .LBB6_5844
; %bb.5839:                             ;   in Loop: Header=BB6_5795 Depth=4
	v_bfe_u32 v20, v19, 23, 8
	v_and_b32_e32 v22, 0x7fffff, v19
	v_sub_nc_u32_e32 v23, 0x70, v20
	v_cmp_gt_u32_e32 vcc_lo, 0x71, v20
	v_or_b32_e32 v24, 0x800000, v22
	v_cndmask_b32_e32 v23, 0, v23, vcc_lo
	v_cmp_eq_u32_e32 vcc_lo, 0, v20
	v_add_nc_u32_e32 v20, 0xffffff91, v20
	v_cndmask_b32_e64 v23, v23, 0x6f, vcc_lo
	v_cndmask_b32_e32 v22, v24, v22, vcc_lo
	v_cndmask_b32_e64 v20, v20, 0xffffff92, vcc_lo
	v_lshl_add_u32 v24, 0x200000, v23, -1
	v_lshrrev_b32_e32 v25, v23, v22
	v_lshlrev_b32_e64 v27, v23, 0x100000
	v_add_nc_u32_e32 v23, v23, v20
	v_and_b32_e32 v22, v24, v22
	v_bfe_u32 v26, v25, 21, 1
	v_cmp_eq_u32_e64 s17, v22, v27
	v_add_nc_u32_e32 v24, -1, v26
	v_cndmask_b32_e64 v22, 0, v24, s17
	v_lshrrev_b32_e32 v24, 23, v25
	s_mov_b32 s17, exec_lo
	v_add_nc_u32_e32 v22, v22, v25
	v_xor_b32_e32 v24, 1, v24
	v_and_b32_e32 v20, 0x1fffff, v22
	v_add_nc_u32_e32 v22, v20, v25
                                        ; implicit-def: $vgpr20
	v_cmpx_ne_u32_e64 v23, v24
	s_xor_b32 s17, exec_lo, s17
; %bb.5840:                             ;   in Loop: Header=BB6_5795 Depth=4
	v_cmp_lt_u32_e32 vcc_lo, 0xffffff, v22
	v_sub_nc_u32_e32 v20, v23, v24
	v_cndmask_b32_e64 v23, 0, 1, vcc_lo
	v_add_co_ci_u32_e64 v20, null, 0, v20, vcc_lo
	v_lshrrev_b32_e32 v22, v23, v22
; %bb.5841:                             ;   in Loop: Header=BB6_5795 Depth=4
	s_andn2_saveexec_b32 s17, s17
; %bb.5842:                             ;   in Loop: Header=BB6_5795 Depth=4
	v_bfe_u32 v20, v22, 23, 1
; %bb.5843:                             ;   in Loop: Header=BB6_5795 Depth=4
	s_or_b32 exec_lo, exec_lo, s17
	v_lshrrev_b32_e32 v22, 21, v22
	v_min_i32_e32 v23, 31, v20
	v_cmp_gt_i32_e32 vcc_lo, 32, v20
	v_and_b32_sdwa v19, v19, v117 dst_sel:DWORD dst_unused:UNUSED_PAD src0_sel:BYTE_3 src1_sel:DWORD
	v_lshlrev_b32_e32 v23, 2, v23
	v_cndmask_b32_e32 v22, 3, v22, vcc_lo
	v_and_b32_e32 v23, 0xfc, v23
	v_and_b32_e32 v24, 3, v22
	v_or_b32_e32 v20, v20, v22
	v_or3_b32 v19, v23, v19, v24
	v_cmp_ne_u32_e32 vcc_lo, 0, v20
	v_cndmask_b32_e32 v26, 0, v19, vcc_lo
.LBB6_5844:                             ;   in Loop: Header=BB6_5795 Depth=4
	s_or_b32 exec_lo, exec_lo, s76
.LBB6_5845:                             ;   in Loop: Header=BB6_5795 Depth=4
	s_or_b32 exec_lo, exec_lo, s75
	v_cmp_gt_i16_sdwa s75, v8, v116 src0_sel:BYTE_3 src1_sel:DWORD
	s_mov_b32 s17, 0
	s_and_saveexec_b32 s76, s75
	s_xor_b32 s75, exec_lo, s76
	s_cbranch_execz .LBB6_6351
; %bb.5846:                             ;   in Loop: Header=BB6_5795 Depth=4
	v_cmp_eq_u16_sdwa s77, v8, v117 src0_sel:BYTE_3 src1_sel:DWORD
	s_mov_b32 s17, -1
	s_and_saveexec_b32 s76, s77
; %bb.5847:                             ;   in Loop: Header=BB6_5795 Depth=4
	s_xor_b32 s17, exec_lo, -1
; %bb.5848:                             ;   in Loop: Header=BB6_5795 Depth=4
	s_or_b32 exec_lo, exec_lo, s76
	s_and_b32 s17, s17, exec_lo
	s_or_saveexec_b32 s75, s75
	v_mov_b32_e32 v19, 0x7f800001
	s_xor_b32 exec_lo, exec_lo, s75
	s_cbranch_execnz .LBB6_6352
.LBB6_5849:                             ;   in Loop: Header=BB6_5795 Depth=4
	s_or_b32 exec_lo, exec_lo, s75
	s_and_saveexec_b32 s75, s17
	s_cbranch_execz .LBB6_5851
.LBB6_5850:                             ;   in Loop: Header=BB6_5795 Depth=4
	v_bfe_u32 v19, v8, 24, 2
	v_bfe_u32 v23, v8, 26, 5
	v_ffbh_u32_e32 v20, v19
	v_cmp_eq_u32_e32 vcc_lo, 0, v23
	v_min_u32_e32 v20, 32, v20
	v_subrev_nc_u32_e32 v22, 29, v20
	v_sub_nc_u32_e32 v20, 30, v20
	v_lshlrev_b32_sdwa v22, v22, v8 dst_sel:DWORD dst_unused:UNUSED_PAD src0_sel:DWORD src1_sel:BYTE_3
	v_cndmask_b32_e32 v20, v23, v20, vcc_lo
	v_and_b32_e32 v8, 0x80000000, v8
	v_and_b32_e32 v22, 3, v22
	v_lshl_add_u32 v20, v20, 23, 0x37800000
	v_cndmask_b32_e32 v19, v19, v22, vcc_lo
	v_lshlrev_b32_e32 v19, 21, v19
	v_or3_b32 v19, v8, v20, v19
.LBB6_5851:                             ;   in Loop: Header=BB6_5795 Depth=4
	s_or_b32 exec_lo, exec_lo, s75
	v_mul_f32_e32 v8, s74, v19
	v_mov_b32_e32 v37, 0x8000
	s_mov_b32 s75, exec_lo
	v_and_b32_e32 v19, 0x7f800000, v8
	v_cmpx_ne_u32_e32 0x7f800000, v19
	s_cbranch_execz .LBB6_5859
; %bb.5852:                             ;   in Loop: Header=BB6_5795 Depth=4
	v_mov_b32_e32 v37, 0
	s_mov_b32 s76, exec_lo
	v_cmpx_ne_u32_e32 0, v8
	s_cbranch_execz .LBB6_5858
; %bb.5853:                             ;   in Loop: Header=BB6_5795 Depth=4
	v_bfe_u32 v19, v8, 23, 8
	v_and_b32_e32 v20, 0x7fffff, v8
	v_sub_nc_u32_e32 v22, 0x70, v19
	v_cmp_gt_u32_e32 vcc_lo, 0x71, v19
	v_or_b32_e32 v23, 0x800000, v20
	v_cndmask_b32_e32 v22, 0, v22, vcc_lo
	v_cmp_eq_u32_e32 vcc_lo, 0, v19
	v_add_nc_u32_e32 v19, 0xffffff91, v19
	v_cndmask_b32_e64 v22, v22, 0x6f, vcc_lo
	v_cndmask_b32_e32 v20, v23, v20, vcc_lo
	v_cndmask_b32_e64 v19, v19, 0xffffff92, vcc_lo
	v_lshl_add_u32 v23, 0x200000, v22, -1
	v_lshrrev_b32_e32 v24, v22, v20
	v_lshlrev_b32_e64 v27, v22, 0x100000
	v_add_nc_u32_e32 v22, v22, v19
	v_and_b32_e32 v20, v23, v20
	v_bfe_u32 v25, v24, 21, 1
	v_cmp_eq_u32_e64 s17, v20, v27
	v_add_nc_u32_e32 v23, -1, v25
	v_cndmask_b32_e64 v20, 0, v23, s17
	v_lshrrev_b32_e32 v23, 23, v24
	s_mov_b32 s17, exec_lo
	v_add_nc_u32_e32 v20, v20, v24
	v_xor_b32_e32 v23, 1, v23
	v_and_b32_e32 v19, 0x1fffff, v20
	v_add_nc_u32_e32 v20, v19, v24
                                        ; implicit-def: $vgpr19
	v_cmpx_ne_u32_e64 v22, v23
	s_xor_b32 s17, exec_lo, s17
; %bb.5854:                             ;   in Loop: Header=BB6_5795 Depth=4
	v_cmp_lt_u32_e32 vcc_lo, 0xffffff, v20
	v_sub_nc_u32_e32 v19, v22, v23
	v_cndmask_b32_e64 v22, 0, 1, vcc_lo
	v_add_co_ci_u32_e64 v19, null, 0, v19, vcc_lo
	v_lshrrev_b32_e32 v20, v22, v20
; %bb.5855:                             ;   in Loop: Header=BB6_5795 Depth=4
	s_andn2_saveexec_b32 s17, s17
; %bb.5856:                             ;   in Loop: Header=BB6_5795 Depth=4
	v_bfe_u32 v19, v20, 23, 1
; %bb.5857:                             ;   in Loop: Header=BB6_5795 Depth=4
	s_or_b32 exec_lo, exec_lo, s17
	v_lshrrev_b32_e32 v20, 21, v20
	v_min_i32_e32 v22, 31, v19
	v_cmp_gt_i32_e32 vcc_lo, 32, v19
	v_and_b32_sdwa v8, v8, v117 dst_sel:DWORD dst_unused:UNUSED_PAD src0_sel:BYTE_3 src1_sel:DWORD
	v_lshlrev_b32_e32 v22, 2, v22
	v_cndmask_b32_e32 v20, 3, v20, vcc_lo
	v_and_b32_e32 v22, 0xfc, v22
	v_and_b32_e32 v23, 3, v20
	v_or_b32_e32 v19, v19, v20
	v_or3_b32 v8, v8, v22, v23
	v_cmp_ne_u32_e32 vcc_lo, 0, v19
	v_lshlrev_b32_e32 v8, 8, v8
	v_cndmask_b32_e32 v37, 0, v8, vcc_lo
.LBB6_5858:                             ;   in Loop: Header=BB6_5795 Depth=4
	s_or_b32 exec_lo, exec_lo, s76
.LBB6_5859:                             ;   in Loop: Header=BB6_5795 Depth=4
	s_or_b32 exec_lo, exec_lo, s75
	v_cmp_gt_i16_sdwa s75, v9, v116 src0_sel:BYTE_0 src1_sel:DWORD
	s_mov_b32 s17, 0
	s_and_saveexec_b32 s76, s75
	s_xor_b32 s75, exec_lo, s76
	s_cbranch_execz .LBB6_6353
; %bb.5860:                             ;   in Loop: Header=BB6_5795 Depth=4
	v_cmp_eq_u16_sdwa s77, v9, v117 src0_sel:BYTE_0 src1_sel:DWORD
	s_mov_b32 s17, -1
	s_and_saveexec_b32 s76, s77
; %bb.5861:                             ;   in Loop: Header=BB6_5795 Depth=4
	s_xor_b32 s17, exec_lo, -1
; %bb.5862:                             ;   in Loop: Header=BB6_5795 Depth=4
	s_or_b32 exec_lo, exec_lo, s76
	s_and_b32 s17, s17, exec_lo
	s_or_saveexec_b32 s75, s75
	v_mov_b32_e32 v8, 0x7f800001
	s_xor_b32 exec_lo, exec_lo, s75
	s_cbranch_execnz .LBB6_6354
.LBB6_5863:                             ;   in Loop: Header=BB6_5795 Depth=4
	s_or_b32 exec_lo, exec_lo, s75
	s_and_saveexec_b32 s75, s17
	s_cbranch_execz .LBB6_5865
.LBB6_5864:                             ;   in Loop: Header=BB6_5795 Depth=4
	v_and_b32_e32 v8, 3, v9
	v_bfe_u32 v22, v9, 2, 5
	v_lshlrev_b32_e32 v23, 24, v9
	v_ffbh_u32_e32 v19, v8
	v_cmp_eq_u32_e32 vcc_lo, 0, v22
	v_min_u32_e32 v19, 32, v19
	v_subrev_nc_u32_e32 v20, 29, v19
	v_sub_nc_u32_e32 v19, 30, v19
	v_lshlrev_b32_e32 v20, v20, v9
	v_cndmask_b32_e32 v19, v22, v19, vcc_lo
	v_and_b32_e32 v20, 3, v20
	v_lshl_add_u32 v19, v19, 23, 0x37800000
	v_cndmask_b32_e32 v8, v8, v20, vcc_lo
	v_and_b32_e32 v20, 0x80000000, v23
	v_lshlrev_b32_e32 v8, 21, v8
	v_or3_b32 v8, v20, v19, v8
.LBB6_5865:                             ;   in Loop: Header=BB6_5795 Depth=4
	s_or_b32 exec_lo, exec_lo, s75
	v_mul_f32_e32 v8, s74, v8
	v_mov_b32_e32 v30, 0x80
	s_mov_b32 s75, exec_lo
	v_and_b32_e32 v19, 0x7f800000, v8
	v_cmpx_ne_u32_e32 0x7f800000, v19
	s_cbranch_execz .LBB6_5873
; %bb.5866:                             ;   in Loop: Header=BB6_5795 Depth=4
	v_mov_b32_e32 v30, 0
	s_mov_b32 s76, exec_lo
	v_cmpx_ne_u32_e32 0, v8
	s_cbranch_execz .LBB6_5872
; %bb.5867:                             ;   in Loop: Header=BB6_5795 Depth=4
	v_bfe_u32 v19, v8, 23, 8
	v_and_b32_e32 v20, 0x7fffff, v8
	v_sub_nc_u32_e32 v22, 0x70, v19
	v_cmp_gt_u32_e32 vcc_lo, 0x71, v19
	v_or_b32_e32 v23, 0x800000, v20
	v_cndmask_b32_e32 v22, 0, v22, vcc_lo
	v_cmp_eq_u32_e32 vcc_lo, 0, v19
	v_add_nc_u32_e32 v19, 0xffffff91, v19
	v_cndmask_b32_e64 v22, v22, 0x6f, vcc_lo
	v_cndmask_b32_e32 v20, v23, v20, vcc_lo
	v_cndmask_b32_e64 v19, v19, 0xffffff92, vcc_lo
	v_lshl_add_u32 v23, 0x200000, v22, -1
	v_lshrrev_b32_e32 v24, v22, v20
	v_lshlrev_b32_e64 v27, v22, 0x100000
	v_add_nc_u32_e32 v22, v22, v19
	v_and_b32_e32 v20, v23, v20
	v_bfe_u32 v25, v24, 21, 1
	v_cmp_eq_u32_e64 s17, v20, v27
	v_add_nc_u32_e32 v23, -1, v25
	v_cndmask_b32_e64 v20, 0, v23, s17
	v_lshrrev_b32_e32 v23, 23, v24
	s_mov_b32 s17, exec_lo
	v_add_nc_u32_e32 v20, v20, v24
	v_xor_b32_e32 v23, 1, v23
	v_and_b32_e32 v19, 0x1fffff, v20
	v_add_nc_u32_e32 v20, v19, v24
                                        ; implicit-def: $vgpr19
	v_cmpx_ne_u32_e64 v22, v23
	s_xor_b32 s17, exec_lo, s17
; %bb.5868:                             ;   in Loop: Header=BB6_5795 Depth=4
	v_cmp_lt_u32_e32 vcc_lo, 0xffffff, v20
	v_sub_nc_u32_e32 v19, v22, v23
	v_cndmask_b32_e64 v22, 0, 1, vcc_lo
	v_add_co_ci_u32_e64 v19, null, 0, v19, vcc_lo
	v_lshrrev_b32_e32 v20, v22, v20
; %bb.5869:                             ;   in Loop: Header=BB6_5795 Depth=4
	s_andn2_saveexec_b32 s17, s17
; %bb.5870:                             ;   in Loop: Header=BB6_5795 Depth=4
	v_bfe_u32 v19, v20, 23, 1
; %bb.5871:                             ;   in Loop: Header=BB6_5795 Depth=4
	s_or_b32 exec_lo, exec_lo, s17
	v_lshrrev_b32_e32 v20, 21, v20
	v_min_i32_e32 v22, 31, v19
	v_cmp_gt_i32_e32 vcc_lo, 32, v19
	v_and_b32_sdwa v8, v8, v117 dst_sel:DWORD dst_unused:UNUSED_PAD src0_sel:BYTE_3 src1_sel:DWORD
	v_lshlrev_b32_e32 v22, 2, v22
	v_cndmask_b32_e32 v20, 3, v20, vcc_lo
	v_and_b32_e32 v22, 0xfc, v22
	v_and_b32_e32 v23, 3, v20
	v_or_b32_e32 v19, v19, v20
	v_or3_b32 v8, v22, v8, v23
	v_cmp_ne_u32_e32 vcc_lo, 0, v19
	v_cndmask_b32_e32 v30, 0, v8, vcc_lo
.LBB6_5872:                             ;   in Loop: Header=BB6_5795 Depth=4
	s_or_b32 exec_lo, exec_lo, s76
.LBB6_5873:                             ;   in Loop: Header=BB6_5795 Depth=4
	s_or_b32 exec_lo, exec_lo, s75
	v_cmp_gt_i16_sdwa s75, v9, v116 src0_sel:BYTE_1 src1_sel:DWORD
	s_mov_b32 s17, 0
	s_and_saveexec_b32 s76, s75
	s_xor_b32 s75, exec_lo, s76
	s_cbranch_execz .LBB6_6355
; %bb.5874:                             ;   in Loop: Header=BB6_5795 Depth=4
	v_cmp_eq_u16_sdwa s77, v9, v117 src0_sel:BYTE_1 src1_sel:DWORD
	s_mov_b32 s17, -1
	s_and_saveexec_b32 s76, s77
; %bb.5875:                             ;   in Loop: Header=BB6_5795 Depth=4
	s_xor_b32 s17, exec_lo, -1
; %bb.5876:                             ;   in Loop: Header=BB6_5795 Depth=4
	s_or_b32 exec_lo, exec_lo, s76
	s_and_b32 s17, s17, exec_lo
	s_or_saveexec_b32 s75, s75
	v_mov_b32_e32 v8, 0x7f800001
	s_xor_b32 exec_lo, exec_lo, s75
	s_cbranch_execnz .LBB6_6356
.LBB6_5877:                             ;   in Loop: Header=BB6_5795 Depth=4
	s_or_b32 exec_lo, exec_lo, s75
	s_and_saveexec_b32 s75, s17
	s_cbranch_execz .LBB6_5879
.LBB6_5878:                             ;   in Loop: Header=BB6_5795 Depth=4
	v_and_b32_sdwa v8, v118, v9 dst_sel:DWORD dst_unused:UNUSED_PAD src0_sel:DWORD src1_sel:BYTE_1
	v_and_b32_e32 v19, 3, v8
	v_bfe_u32 v23, v8, 2, 5
	v_ffbh_u32_e32 v20, v19
	v_cmp_eq_u32_e32 vcc_lo, 0, v23
	v_min_u32_e32 v20, 32, v20
	v_subrev_nc_u32_e32 v22, 29, v20
	v_sub_nc_u32_e32 v20, 30, v20
	v_lshlrev_b32_e32 v8, v22, v8
	v_lshlrev_b32_sdwa v22, v119, v9 dst_sel:DWORD dst_unused:UNUSED_PAD src0_sel:DWORD src1_sel:BYTE_1
	v_cndmask_b32_e32 v20, v23, v20, vcc_lo
	v_and_b32_e32 v8, 3, v8
	v_lshl_add_u32 v20, v20, 23, 0x37800000
	v_cndmask_b32_e32 v8, v19, v8, vcc_lo
	v_and_b32_e32 v19, 0x80000000, v22
	v_lshlrev_b32_e32 v8, 21, v8
	v_or3_b32 v8, v19, v20, v8
.LBB6_5879:                             ;   in Loop: Header=BB6_5795 Depth=4
	s_or_b32 exec_lo, exec_lo, s75
	v_mul_f32_e32 v8, s74, v8
	v_mov_b32_e32 v36, 0x8000
	s_mov_b32 s75, exec_lo
	v_and_b32_e32 v19, 0x7f800000, v8
	v_cmpx_ne_u32_e32 0x7f800000, v19
	s_cbranch_execz .LBB6_5887
; %bb.5880:                             ;   in Loop: Header=BB6_5795 Depth=4
	v_mov_b32_e32 v36, 0
	s_mov_b32 s76, exec_lo
	v_cmpx_ne_u32_e32 0, v8
	s_cbranch_execz .LBB6_5886
; %bb.5881:                             ;   in Loop: Header=BB6_5795 Depth=4
	v_bfe_u32 v19, v8, 23, 8
	v_and_b32_e32 v20, 0x7fffff, v8
	v_sub_nc_u32_e32 v22, 0x70, v19
	v_cmp_gt_u32_e32 vcc_lo, 0x71, v19
	v_or_b32_e32 v23, 0x800000, v20
	v_cndmask_b32_e32 v22, 0, v22, vcc_lo
	v_cmp_eq_u32_e32 vcc_lo, 0, v19
	v_add_nc_u32_e32 v19, 0xffffff91, v19
	v_cndmask_b32_e64 v22, v22, 0x6f, vcc_lo
	v_cndmask_b32_e32 v20, v23, v20, vcc_lo
	v_cndmask_b32_e64 v19, v19, 0xffffff92, vcc_lo
	v_lshl_add_u32 v23, 0x200000, v22, -1
	v_lshrrev_b32_e32 v24, v22, v20
	v_lshlrev_b32_e64 v27, v22, 0x100000
	v_add_nc_u32_e32 v22, v22, v19
	v_and_b32_e32 v20, v23, v20
	v_bfe_u32 v25, v24, 21, 1
	v_cmp_eq_u32_e64 s17, v20, v27
	v_add_nc_u32_e32 v23, -1, v25
	v_cndmask_b32_e64 v20, 0, v23, s17
	v_lshrrev_b32_e32 v23, 23, v24
	s_mov_b32 s17, exec_lo
	v_add_nc_u32_e32 v20, v20, v24
	v_xor_b32_e32 v23, 1, v23
	v_and_b32_e32 v19, 0x1fffff, v20
	v_add_nc_u32_e32 v20, v19, v24
                                        ; implicit-def: $vgpr19
	v_cmpx_ne_u32_e64 v22, v23
	s_xor_b32 s17, exec_lo, s17
; %bb.5882:                             ;   in Loop: Header=BB6_5795 Depth=4
	v_cmp_lt_u32_e32 vcc_lo, 0xffffff, v20
	v_sub_nc_u32_e32 v19, v22, v23
	v_cndmask_b32_e64 v22, 0, 1, vcc_lo
	v_add_co_ci_u32_e64 v19, null, 0, v19, vcc_lo
	v_lshrrev_b32_e32 v20, v22, v20
; %bb.5883:                             ;   in Loop: Header=BB6_5795 Depth=4
	s_andn2_saveexec_b32 s17, s17
; %bb.5884:                             ;   in Loop: Header=BB6_5795 Depth=4
	v_bfe_u32 v19, v20, 23, 1
; %bb.5885:                             ;   in Loop: Header=BB6_5795 Depth=4
	s_or_b32 exec_lo, exec_lo, s17
	v_lshrrev_b32_e32 v20, 21, v20
	v_min_i32_e32 v22, 31, v19
	v_cmp_gt_i32_e32 vcc_lo, 32, v19
	v_and_b32_sdwa v8, v8, v117 dst_sel:DWORD dst_unused:UNUSED_PAD src0_sel:BYTE_3 src1_sel:DWORD
	v_lshlrev_b32_e32 v22, 2, v22
	v_cndmask_b32_e32 v20, 3, v20, vcc_lo
	v_and_b32_e32 v22, 0xfc, v22
	v_and_b32_e32 v23, 3, v20
	v_or_b32_e32 v19, v19, v20
	v_or3_b32 v8, v8, v22, v23
	v_cmp_ne_u32_e32 vcc_lo, 0, v19
	v_lshlrev_b32_e32 v8, 8, v8
	v_cndmask_b32_e32 v36, 0, v8, vcc_lo
.LBB6_5886:                             ;   in Loop: Header=BB6_5795 Depth=4
	s_or_b32 exec_lo, exec_lo, s76
.LBB6_5887:                             ;   in Loop: Header=BB6_5795 Depth=4
	s_or_b32 exec_lo, exec_lo, s75
	v_and_b32_sdwa v19, v9, v40 dst_sel:DWORD dst_unused:UNUSED_PAD src0_sel:WORD_1 src1_sel:DWORD
	s_mov_b32 s17, 0
	s_mov_b32 s75, exec_lo
	v_cmpx_lt_i16_e32 0x7f, v19
	s_xor_b32 s75, exec_lo, s75
	s_cbranch_execz .LBB6_6357
; %bb.5888:                             ;   in Loop: Header=BB6_5795 Depth=4
	s_mov_b32 s17, -1
	s_mov_b32 s76, exec_lo
	v_cmpx_eq_u16_e32 0x80, v19
; %bb.5889:                             ;   in Loop: Header=BB6_5795 Depth=4
	s_xor_b32 s17, exec_lo, -1
; %bb.5890:                             ;   in Loop: Header=BB6_5795 Depth=4
	s_or_b32 exec_lo, exec_lo, s76
	s_and_b32 s17, s17, exec_lo
                                        ; implicit-def: $vgpr19
	s_or_saveexec_b32 s75, s75
	v_mov_b32_e32 v8, 0x7f800001
	s_xor_b32 exec_lo, exec_lo, s75
	s_cbranch_execnz .LBB6_6358
.LBB6_5891:                             ;   in Loop: Header=BB6_5795 Depth=4
	s_or_b32 exec_lo, exec_lo, s75
	s_and_saveexec_b32 s75, s17
	s_cbranch_execz .LBB6_5893
.LBB6_5892:                             ;   in Loop: Header=BB6_5795 Depth=4
	v_bfe_u32 v8, v9, 16, 2
	v_bfe_u32 v22, v9, 18, 5
	v_lshlrev_b32_e32 v23, 8, v9
	v_ffbh_u32_e32 v19, v8
	v_cmp_eq_u32_e32 vcc_lo, 0, v22
	v_min_u32_e32 v19, 32, v19
	v_subrev_nc_u32_e32 v20, 29, v19
	v_sub_nc_u32_e32 v19, 30, v19
	v_lshlrev_b32_sdwa v20, v20, v9 dst_sel:DWORD dst_unused:UNUSED_PAD src0_sel:DWORD src1_sel:WORD_1
	v_cndmask_b32_e32 v19, v22, v19, vcc_lo
	v_and_b32_e32 v20, 3, v20
	v_lshl_add_u32 v19, v19, 23, 0x37800000
	v_cndmask_b32_e32 v8, v8, v20, vcc_lo
	v_and_b32_e32 v20, 0x80000000, v23
	v_lshlrev_b32_e32 v8, 21, v8
	v_or3_b32 v8, v20, v19, v8
.LBB6_5893:                             ;   in Loop: Header=BB6_5795 Depth=4
	s_or_b32 exec_lo, exec_lo, s75
	v_mul_f32_e32 v8, s74, v8
	v_mov_b32_e32 v28, 0x80
	s_mov_b32 s75, exec_lo
	v_and_b32_e32 v19, 0x7f800000, v8
	v_cmpx_ne_u32_e32 0x7f800000, v19
	s_cbranch_execz .LBB6_5901
; %bb.5894:                             ;   in Loop: Header=BB6_5795 Depth=4
	v_mov_b32_e32 v28, 0
	s_mov_b32 s76, exec_lo
	v_cmpx_ne_u32_e32 0, v8
	s_cbranch_execz .LBB6_5900
; %bb.5895:                             ;   in Loop: Header=BB6_5795 Depth=4
	v_bfe_u32 v19, v8, 23, 8
	v_and_b32_e32 v20, 0x7fffff, v8
	v_sub_nc_u32_e32 v22, 0x70, v19
	v_cmp_gt_u32_e32 vcc_lo, 0x71, v19
	v_or_b32_e32 v23, 0x800000, v20
	v_cndmask_b32_e32 v22, 0, v22, vcc_lo
	v_cmp_eq_u32_e32 vcc_lo, 0, v19
	v_add_nc_u32_e32 v19, 0xffffff91, v19
	v_cndmask_b32_e64 v22, v22, 0x6f, vcc_lo
	v_cndmask_b32_e32 v20, v23, v20, vcc_lo
	v_cndmask_b32_e64 v19, v19, 0xffffff92, vcc_lo
	v_lshl_add_u32 v23, 0x200000, v22, -1
	v_lshrrev_b32_e32 v24, v22, v20
	v_lshlrev_b32_e64 v27, v22, 0x100000
	v_add_nc_u32_e32 v22, v22, v19
	v_and_b32_e32 v20, v23, v20
	v_bfe_u32 v25, v24, 21, 1
	v_cmp_eq_u32_e64 s17, v20, v27
	v_add_nc_u32_e32 v23, -1, v25
	v_cndmask_b32_e64 v20, 0, v23, s17
	v_lshrrev_b32_e32 v23, 23, v24
	s_mov_b32 s17, exec_lo
	v_add_nc_u32_e32 v20, v20, v24
	v_xor_b32_e32 v23, 1, v23
	v_and_b32_e32 v19, 0x1fffff, v20
	v_add_nc_u32_e32 v20, v19, v24
                                        ; implicit-def: $vgpr19
	v_cmpx_ne_u32_e64 v22, v23
	s_xor_b32 s17, exec_lo, s17
; %bb.5896:                             ;   in Loop: Header=BB6_5795 Depth=4
	v_cmp_lt_u32_e32 vcc_lo, 0xffffff, v20
	v_sub_nc_u32_e32 v19, v22, v23
	v_cndmask_b32_e64 v22, 0, 1, vcc_lo
	v_add_co_ci_u32_e64 v19, null, 0, v19, vcc_lo
	v_lshrrev_b32_e32 v20, v22, v20
; %bb.5897:                             ;   in Loop: Header=BB6_5795 Depth=4
	s_andn2_saveexec_b32 s17, s17
; %bb.5898:                             ;   in Loop: Header=BB6_5795 Depth=4
	v_bfe_u32 v19, v20, 23, 1
; %bb.5899:                             ;   in Loop: Header=BB6_5795 Depth=4
	s_or_b32 exec_lo, exec_lo, s17
	v_lshrrev_b32_e32 v20, 21, v20
	v_min_i32_e32 v22, 31, v19
	v_cmp_gt_i32_e32 vcc_lo, 32, v19
	v_and_b32_sdwa v8, v8, v117 dst_sel:DWORD dst_unused:UNUSED_PAD src0_sel:BYTE_3 src1_sel:DWORD
	v_lshlrev_b32_e32 v22, 2, v22
	v_cndmask_b32_e32 v20, 3, v20, vcc_lo
	v_and_b32_e32 v22, 0xfc, v22
	v_and_b32_e32 v23, 3, v20
	v_or_b32_e32 v19, v19, v20
	v_or3_b32 v8, v22, v8, v23
	v_cmp_ne_u32_e32 vcc_lo, 0, v19
	v_cndmask_b32_e32 v28, 0, v8, vcc_lo
.LBB6_5900:                             ;   in Loop: Header=BB6_5795 Depth=4
	s_or_b32 exec_lo, exec_lo, s76
.LBB6_5901:                             ;   in Loop: Header=BB6_5795 Depth=4
	s_or_b32 exec_lo, exec_lo, s75
	v_cmp_gt_i16_sdwa s75, v9, v116 src0_sel:BYTE_3 src1_sel:DWORD
	s_mov_b32 s17, 0
	s_and_saveexec_b32 s76, s75
	s_xor_b32 s75, exec_lo, s76
	s_cbranch_execz .LBB6_6359
; %bb.5902:                             ;   in Loop: Header=BB6_5795 Depth=4
	v_cmp_eq_u16_sdwa s77, v9, v117 src0_sel:BYTE_3 src1_sel:DWORD
	s_mov_b32 s17, -1
	s_and_saveexec_b32 s76, s77
; %bb.5903:                             ;   in Loop: Header=BB6_5795 Depth=4
	s_xor_b32 s17, exec_lo, -1
; %bb.5904:                             ;   in Loop: Header=BB6_5795 Depth=4
	s_or_b32 exec_lo, exec_lo, s76
	s_and_b32 s17, s17, exec_lo
	s_or_saveexec_b32 s75, s75
	v_mov_b32_e32 v8, 0x7f800001
	s_xor_b32 exec_lo, exec_lo, s75
	s_cbranch_execnz .LBB6_6360
.LBB6_5905:                             ;   in Loop: Header=BB6_5795 Depth=4
	s_or_b32 exec_lo, exec_lo, s75
	s_and_saveexec_b32 s75, s17
	s_cbranch_execz .LBB6_5907
.LBB6_5906:                             ;   in Loop: Header=BB6_5795 Depth=4
	v_bfe_u32 v8, v9, 24, 2
	v_bfe_u32 v22, v9, 26, 5
	v_ffbh_u32_e32 v19, v8
	v_cmp_eq_u32_e32 vcc_lo, 0, v22
	v_min_u32_e32 v19, 32, v19
	v_subrev_nc_u32_e32 v20, 29, v19
	v_sub_nc_u32_e32 v19, 30, v19
	v_lshlrev_b32_sdwa v20, v20, v9 dst_sel:DWORD dst_unused:UNUSED_PAD src0_sel:DWORD src1_sel:BYTE_3
	v_cndmask_b32_e32 v19, v22, v19, vcc_lo
	v_and_b32_e32 v9, 0x80000000, v9
	v_and_b32_e32 v20, 3, v20
	v_lshl_add_u32 v19, v19, 23, 0x37800000
	v_cndmask_b32_e32 v8, v8, v20, vcc_lo
	v_lshlrev_b32_e32 v8, 21, v8
	v_or3_b32 v8, v9, v19, v8
.LBB6_5907:                             ;   in Loop: Header=BB6_5795 Depth=4
	s_or_b32 exec_lo, exec_lo, s75
	v_mul_f32_e32 v8, s74, v8
	v_mov_b32_e32 v31, 0x8000
	s_mov_b32 s75, exec_lo
	v_and_b32_e32 v9, 0x7f800000, v8
	v_cmpx_ne_u32_e32 0x7f800000, v9
	s_cbranch_execz .LBB6_5915
; %bb.5908:                             ;   in Loop: Header=BB6_5795 Depth=4
	v_mov_b32_e32 v31, 0
	s_mov_b32 s76, exec_lo
	v_cmpx_ne_u32_e32 0, v8
	s_cbranch_execz .LBB6_5914
; %bb.5909:                             ;   in Loop: Header=BB6_5795 Depth=4
	v_bfe_u32 v9, v8, 23, 8
	v_and_b32_e32 v19, 0x7fffff, v8
	v_sub_nc_u32_e32 v20, 0x70, v9
	v_cmp_gt_u32_e32 vcc_lo, 0x71, v9
	v_or_b32_e32 v22, 0x800000, v19
	v_cndmask_b32_e32 v20, 0, v20, vcc_lo
	v_cmp_eq_u32_e32 vcc_lo, 0, v9
	v_add_nc_u32_e32 v9, 0xffffff91, v9
	v_cndmask_b32_e64 v20, v20, 0x6f, vcc_lo
	v_cndmask_b32_e32 v19, v22, v19, vcc_lo
	v_cndmask_b32_e64 v9, v9, 0xffffff92, vcc_lo
	v_lshl_add_u32 v22, 0x200000, v20, -1
	v_lshrrev_b32_e32 v23, v20, v19
	v_lshlrev_b32_e64 v25, v20, 0x100000
	v_add_nc_u32_e32 v20, v20, v9
	v_and_b32_e32 v19, v22, v19
	v_bfe_u32 v24, v23, 21, 1
	v_cmp_eq_u32_e64 s17, v19, v25
	v_add_nc_u32_e32 v22, -1, v24
	v_cndmask_b32_e64 v19, 0, v22, s17
	v_lshrrev_b32_e32 v22, 23, v23
	s_mov_b32 s17, exec_lo
	v_add_nc_u32_e32 v19, v19, v23
	v_xor_b32_e32 v22, 1, v22
	v_and_b32_e32 v9, 0x1fffff, v19
	v_add_nc_u32_e32 v19, v9, v23
                                        ; implicit-def: $vgpr9
	v_cmpx_ne_u32_e64 v20, v22
	s_xor_b32 s17, exec_lo, s17
; %bb.5910:                             ;   in Loop: Header=BB6_5795 Depth=4
	v_cmp_lt_u32_e32 vcc_lo, 0xffffff, v19
	v_sub_nc_u32_e32 v9, v20, v22
	v_cndmask_b32_e64 v20, 0, 1, vcc_lo
	v_add_co_ci_u32_e64 v9, null, 0, v9, vcc_lo
	v_lshrrev_b32_e32 v19, v20, v19
; %bb.5911:                             ;   in Loop: Header=BB6_5795 Depth=4
	s_andn2_saveexec_b32 s17, s17
; %bb.5912:                             ;   in Loop: Header=BB6_5795 Depth=4
	v_bfe_u32 v9, v19, 23, 1
; %bb.5913:                             ;   in Loop: Header=BB6_5795 Depth=4
	s_or_b32 exec_lo, exec_lo, s17
	v_lshrrev_b32_e32 v19, 21, v19
	v_min_i32_e32 v20, 31, v9
	v_cmp_gt_i32_e32 vcc_lo, 32, v9
	v_and_b32_sdwa v8, v8, v117 dst_sel:DWORD dst_unused:UNUSED_PAD src0_sel:BYTE_3 src1_sel:DWORD
	v_lshlrev_b32_e32 v20, 2, v20
	v_cndmask_b32_e32 v19, 3, v19, vcc_lo
	v_and_b32_e32 v20, 0xfc, v20
	v_and_b32_e32 v22, 3, v19
	v_or_b32_e32 v9, v9, v19
	v_or3_b32 v8, v8, v20, v22
	v_cmp_ne_u32_e32 vcc_lo, 0, v9
	v_lshlrev_b32_e32 v8, 8, v8
	v_cndmask_b32_e32 v31, 0, v8, vcc_lo
.LBB6_5914:                             ;   in Loop: Header=BB6_5795 Depth=4
	s_or_b32 exec_lo, exec_lo, s76
.LBB6_5915:                             ;   in Loop: Header=BB6_5795 Depth=4
	s_or_b32 exec_lo, exec_lo, s75
	v_cmp_gt_i16_sdwa s75, v10, v116 src0_sel:BYTE_0 src1_sel:DWORD
	s_mov_b32 s17, 0
	s_and_saveexec_b32 s76, s75
	s_xor_b32 s75, exec_lo, s76
	s_cbranch_execz .LBB6_6361
; %bb.5916:                             ;   in Loop: Header=BB6_5795 Depth=4
	v_cmp_eq_u16_sdwa s77, v10, v117 src0_sel:BYTE_0 src1_sel:DWORD
	s_mov_b32 s17, -1
	s_and_saveexec_b32 s76, s77
; %bb.5917:                             ;   in Loop: Header=BB6_5795 Depth=4
	s_xor_b32 s17, exec_lo, -1
; %bb.5918:                             ;   in Loop: Header=BB6_5795 Depth=4
	s_or_b32 exec_lo, exec_lo, s76
	s_and_b32 s17, s17, exec_lo
	s_or_saveexec_b32 s75, s75
	v_mov_b32_e32 v8, 0x7f800001
	s_xor_b32 exec_lo, exec_lo, s75
	s_cbranch_execnz .LBB6_6362
.LBB6_5919:                             ;   in Loop: Header=BB6_5795 Depth=4
	s_or_b32 exec_lo, exec_lo, s75
	s_and_saveexec_b32 s75, s17
	s_cbranch_execz .LBB6_5921
.LBB6_5920:                             ;   in Loop: Header=BB6_5795 Depth=4
	v_and_b32_e32 v8, 3, v10
	v_bfe_u32 v20, v10, 2, 5
	v_lshlrev_b32_e32 v22, 24, v10
	v_ffbh_u32_e32 v9, v8
	v_cmp_eq_u32_e32 vcc_lo, 0, v20
	v_min_u32_e32 v9, 32, v9
	v_subrev_nc_u32_e32 v19, 29, v9
	v_sub_nc_u32_e32 v9, 30, v9
	v_lshlrev_b32_e32 v19, v19, v10
	v_cndmask_b32_e32 v9, v20, v9, vcc_lo
	v_and_b32_e32 v19, 3, v19
	v_lshl_add_u32 v9, v9, 23, 0x37800000
	v_cndmask_b32_e32 v8, v8, v19, vcc_lo
	v_and_b32_e32 v19, 0x80000000, v22
	v_lshlrev_b32_e32 v8, 21, v8
	v_or3_b32 v8, v19, v9, v8
.LBB6_5921:                             ;   in Loop: Header=BB6_5795 Depth=4
	s_or_b32 exec_lo, exec_lo, s75
	v_mul_f32_e32 v8, s74, v8
	v_mov_b32_e32 v25, 0x80
	s_mov_b32 s75, exec_lo
	v_and_b32_e32 v9, 0x7f800000, v8
	v_cmpx_ne_u32_e32 0x7f800000, v9
	s_cbranch_execz .LBB6_5929
; %bb.5922:                             ;   in Loop: Header=BB6_5795 Depth=4
	v_mov_b32_e32 v25, 0
	s_mov_b32 s76, exec_lo
	v_cmpx_ne_u32_e32 0, v8
	s_cbranch_execz .LBB6_5928
; %bb.5923:                             ;   in Loop: Header=BB6_5795 Depth=4
	v_bfe_u32 v9, v8, 23, 8
	v_and_b32_e32 v19, 0x7fffff, v8
	v_sub_nc_u32_e32 v20, 0x70, v9
	v_cmp_gt_u32_e32 vcc_lo, 0x71, v9
	v_or_b32_e32 v22, 0x800000, v19
	v_cndmask_b32_e32 v20, 0, v20, vcc_lo
	v_cmp_eq_u32_e32 vcc_lo, 0, v9
	v_add_nc_u32_e32 v9, 0xffffff91, v9
	v_cndmask_b32_e64 v20, v20, 0x6f, vcc_lo
	v_cndmask_b32_e32 v19, v22, v19, vcc_lo
	v_cndmask_b32_e64 v9, v9, 0xffffff92, vcc_lo
	v_lshl_add_u32 v22, 0x200000, v20, -1
	v_lshrrev_b32_e32 v23, v20, v19
	v_lshlrev_b32_e64 v25, v20, 0x100000
	v_add_nc_u32_e32 v20, v20, v9
	v_and_b32_e32 v19, v22, v19
	v_bfe_u32 v24, v23, 21, 1
	v_cmp_eq_u32_e64 s17, v19, v25
	v_add_nc_u32_e32 v22, -1, v24
	v_cndmask_b32_e64 v19, 0, v22, s17
	v_lshrrev_b32_e32 v22, 23, v23
	s_mov_b32 s17, exec_lo
	v_add_nc_u32_e32 v19, v19, v23
	v_xor_b32_e32 v22, 1, v22
	v_and_b32_e32 v9, 0x1fffff, v19
	v_add_nc_u32_e32 v19, v9, v23
                                        ; implicit-def: $vgpr9
	v_cmpx_ne_u32_e64 v20, v22
	s_xor_b32 s17, exec_lo, s17
; %bb.5924:                             ;   in Loop: Header=BB6_5795 Depth=4
	v_cmp_lt_u32_e32 vcc_lo, 0xffffff, v19
	v_sub_nc_u32_e32 v9, v20, v22
	v_cndmask_b32_e64 v20, 0, 1, vcc_lo
	v_add_co_ci_u32_e64 v9, null, 0, v9, vcc_lo
	v_lshrrev_b32_e32 v19, v20, v19
; %bb.5925:                             ;   in Loop: Header=BB6_5795 Depth=4
	s_andn2_saveexec_b32 s17, s17
; %bb.5926:                             ;   in Loop: Header=BB6_5795 Depth=4
	v_bfe_u32 v9, v19, 23, 1
; %bb.5927:                             ;   in Loop: Header=BB6_5795 Depth=4
	s_or_b32 exec_lo, exec_lo, s17
	v_lshrrev_b32_e32 v19, 21, v19
	v_min_i32_e32 v20, 31, v9
	v_cmp_gt_i32_e32 vcc_lo, 32, v9
	v_and_b32_sdwa v8, v8, v117 dst_sel:DWORD dst_unused:UNUSED_PAD src0_sel:BYTE_3 src1_sel:DWORD
	v_lshlrev_b32_e32 v20, 2, v20
	v_cndmask_b32_e32 v19, 3, v19, vcc_lo
	v_and_b32_e32 v20, 0xfc, v20
	v_and_b32_e32 v22, 3, v19
	v_or_b32_e32 v9, v9, v19
	v_or3_b32 v8, v20, v8, v22
	v_cmp_ne_u32_e32 vcc_lo, 0, v9
	v_cndmask_b32_e32 v25, 0, v8, vcc_lo
.LBB6_5928:                             ;   in Loop: Header=BB6_5795 Depth=4
	s_or_b32 exec_lo, exec_lo, s76
.LBB6_5929:                             ;   in Loop: Header=BB6_5795 Depth=4
	s_or_b32 exec_lo, exec_lo, s75
	v_cmp_gt_i16_sdwa s75, v10, v116 src0_sel:BYTE_1 src1_sel:DWORD
	s_mov_b32 s17, 0
	s_and_saveexec_b32 s76, s75
	s_xor_b32 s75, exec_lo, s76
	s_cbranch_execz .LBB6_6363
; %bb.5930:                             ;   in Loop: Header=BB6_5795 Depth=4
	v_cmp_eq_u16_sdwa s77, v10, v117 src0_sel:BYTE_1 src1_sel:DWORD
	s_mov_b32 s17, -1
	s_and_saveexec_b32 s76, s77
; %bb.5931:                             ;   in Loop: Header=BB6_5795 Depth=4
	s_xor_b32 s17, exec_lo, -1
; %bb.5932:                             ;   in Loop: Header=BB6_5795 Depth=4
	s_or_b32 exec_lo, exec_lo, s76
	s_and_b32 s17, s17, exec_lo
	s_or_saveexec_b32 s75, s75
	v_mov_b32_e32 v8, 0x7f800001
	s_xor_b32 exec_lo, exec_lo, s75
	s_cbranch_execnz .LBB6_6364
.LBB6_5933:                             ;   in Loop: Header=BB6_5795 Depth=4
	s_or_b32 exec_lo, exec_lo, s75
	s_and_saveexec_b32 s75, s17
	s_cbranch_execz .LBB6_5935
.LBB6_5934:                             ;   in Loop: Header=BB6_5795 Depth=4
	v_and_b32_sdwa v8, v118, v10 dst_sel:DWORD dst_unused:UNUSED_PAD src0_sel:DWORD src1_sel:BYTE_1
	v_and_b32_e32 v9, 3, v8
	v_bfe_u32 v22, v8, 2, 5
	v_ffbh_u32_e32 v19, v9
	v_cmp_eq_u32_e32 vcc_lo, 0, v22
	v_min_u32_e32 v19, 32, v19
	v_subrev_nc_u32_e32 v20, 29, v19
	v_sub_nc_u32_e32 v19, 30, v19
	v_lshlrev_b32_e32 v8, v20, v8
	v_lshlrev_b32_sdwa v20, v119, v10 dst_sel:DWORD dst_unused:UNUSED_PAD src0_sel:DWORD src1_sel:BYTE_1
	v_cndmask_b32_e32 v19, v22, v19, vcc_lo
	v_and_b32_e32 v8, 3, v8
	v_lshl_add_u32 v19, v19, 23, 0x37800000
	v_cndmask_b32_e32 v8, v9, v8, vcc_lo
	v_and_b32_e32 v9, 0x80000000, v20
	v_lshlrev_b32_e32 v8, 21, v8
	v_or3_b32 v8, v9, v19, v8
.LBB6_5935:                             ;   in Loop: Header=BB6_5795 Depth=4
	s_or_b32 exec_lo, exec_lo, s75
	v_mul_f32_e32 v8, s74, v8
	v_mov_b32_e32 v29, 0x8000
	s_mov_b32 s75, exec_lo
	v_and_b32_e32 v9, 0x7f800000, v8
	v_cmpx_ne_u32_e32 0x7f800000, v9
	s_cbranch_execz .LBB6_5943
; %bb.5936:                             ;   in Loop: Header=BB6_5795 Depth=4
	v_mov_b32_e32 v29, 0
	s_mov_b32 s76, exec_lo
	v_cmpx_ne_u32_e32 0, v8
	s_cbranch_execz .LBB6_5942
; %bb.5937:                             ;   in Loop: Header=BB6_5795 Depth=4
	v_bfe_u32 v9, v8, 23, 8
	v_and_b32_e32 v19, 0x7fffff, v8
	v_sub_nc_u32_e32 v20, 0x70, v9
	v_cmp_gt_u32_e32 vcc_lo, 0x71, v9
	v_or_b32_e32 v22, 0x800000, v19
	v_cndmask_b32_e32 v20, 0, v20, vcc_lo
	v_cmp_eq_u32_e32 vcc_lo, 0, v9
	v_add_nc_u32_e32 v9, 0xffffff91, v9
	v_cndmask_b32_e64 v20, v20, 0x6f, vcc_lo
	v_cndmask_b32_e32 v19, v22, v19, vcc_lo
	v_cndmask_b32_e64 v9, v9, 0xffffff92, vcc_lo
	v_lshl_add_u32 v22, 0x200000, v20, -1
	v_lshrrev_b32_e32 v23, v20, v19
	v_lshlrev_b32_e64 v27, v20, 0x100000
	v_add_nc_u32_e32 v20, v20, v9
	v_and_b32_e32 v19, v22, v19
	v_bfe_u32 v24, v23, 21, 1
	v_cmp_eq_u32_e64 s17, v19, v27
	v_add_nc_u32_e32 v22, -1, v24
	v_cndmask_b32_e64 v19, 0, v22, s17
	v_lshrrev_b32_e32 v22, 23, v23
	s_mov_b32 s17, exec_lo
	v_add_nc_u32_e32 v19, v19, v23
	v_xor_b32_e32 v22, 1, v22
	v_and_b32_e32 v9, 0x1fffff, v19
	v_add_nc_u32_e32 v19, v9, v23
                                        ; implicit-def: $vgpr9
	v_cmpx_ne_u32_e64 v20, v22
	s_xor_b32 s17, exec_lo, s17
; %bb.5938:                             ;   in Loop: Header=BB6_5795 Depth=4
	v_cmp_lt_u32_e32 vcc_lo, 0xffffff, v19
	v_sub_nc_u32_e32 v9, v20, v22
	v_cndmask_b32_e64 v20, 0, 1, vcc_lo
	v_add_co_ci_u32_e64 v9, null, 0, v9, vcc_lo
	v_lshrrev_b32_e32 v19, v20, v19
; %bb.5939:                             ;   in Loop: Header=BB6_5795 Depth=4
	s_andn2_saveexec_b32 s17, s17
; %bb.5940:                             ;   in Loop: Header=BB6_5795 Depth=4
	v_bfe_u32 v9, v19, 23, 1
; %bb.5941:                             ;   in Loop: Header=BB6_5795 Depth=4
	s_or_b32 exec_lo, exec_lo, s17
	v_lshrrev_b32_e32 v19, 21, v19
	v_min_i32_e32 v20, 31, v9
	v_cmp_gt_i32_e32 vcc_lo, 32, v9
	v_and_b32_sdwa v8, v8, v117 dst_sel:DWORD dst_unused:UNUSED_PAD src0_sel:BYTE_3 src1_sel:DWORD
	v_lshlrev_b32_e32 v20, 2, v20
	v_cndmask_b32_e32 v19, 3, v19, vcc_lo
	v_and_b32_e32 v20, 0xfc, v20
	v_and_b32_e32 v22, 3, v19
	v_or_b32_e32 v9, v9, v19
	v_or3_b32 v8, v8, v20, v22
	v_cmp_ne_u32_e32 vcc_lo, 0, v9
	v_lshlrev_b32_e32 v8, 8, v8
	v_cndmask_b32_e32 v29, 0, v8, vcc_lo
.LBB6_5942:                             ;   in Loop: Header=BB6_5795 Depth=4
	s_or_b32 exec_lo, exec_lo, s76
.LBB6_5943:                             ;   in Loop: Header=BB6_5795 Depth=4
	s_or_b32 exec_lo, exec_lo, s75
	v_and_b32_sdwa v9, v10, v40 dst_sel:DWORD dst_unused:UNUSED_PAD src0_sel:WORD_1 src1_sel:DWORD
	s_mov_b32 s17, 0
	s_mov_b32 s75, exec_lo
	v_cmpx_lt_i16_e32 0x7f, v9
	s_xor_b32 s75, exec_lo, s75
	s_cbranch_execz .LBB6_6365
; %bb.5944:                             ;   in Loop: Header=BB6_5795 Depth=4
	s_mov_b32 s17, -1
	s_mov_b32 s76, exec_lo
	v_cmpx_eq_u16_e32 0x80, v9
; %bb.5945:                             ;   in Loop: Header=BB6_5795 Depth=4
	s_xor_b32 s17, exec_lo, -1
; %bb.5946:                             ;   in Loop: Header=BB6_5795 Depth=4
	s_or_b32 exec_lo, exec_lo, s76
	s_and_b32 s17, s17, exec_lo
                                        ; implicit-def: $vgpr9
	s_or_saveexec_b32 s75, s75
	v_mov_b32_e32 v8, 0x7f800001
	s_xor_b32 exec_lo, exec_lo, s75
	s_cbranch_execnz .LBB6_6366
.LBB6_5947:                             ;   in Loop: Header=BB6_5795 Depth=4
	s_or_b32 exec_lo, exec_lo, s75
	s_and_saveexec_b32 s75, s17
	s_cbranch_execz .LBB6_5949
.LBB6_5948:                             ;   in Loop: Header=BB6_5795 Depth=4
	v_bfe_u32 v8, v10, 16, 2
	v_bfe_u32 v20, v10, 18, 5
	v_lshlrev_b32_e32 v22, 8, v10
	v_ffbh_u32_e32 v9, v8
	v_cmp_eq_u32_e32 vcc_lo, 0, v20
	v_min_u32_e32 v9, 32, v9
	v_subrev_nc_u32_e32 v19, 29, v9
	v_sub_nc_u32_e32 v9, 30, v9
	v_lshlrev_b32_sdwa v19, v19, v10 dst_sel:DWORD dst_unused:UNUSED_PAD src0_sel:DWORD src1_sel:WORD_1
	v_cndmask_b32_e32 v9, v20, v9, vcc_lo
	v_and_b32_e32 v19, 3, v19
	v_lshl_add_u32 v9, v9, 23, 0x37800000
	v_cndmask_b32_e32 v8, v8, v19, vcc_lo
	v_and_b32_e32 v19, 0x80000000, v22
	v_lshlrev_b32_e32 v8, 21, v8
	v_or3_b32 v8, v19, v9, v8
.LBB6_5949:                             ;   in Loop: Header=BB6_5795 Depth=4
	s_or_b32 exec_lo, exec_lo, s75
	v_mul_f32_e32 v8, s74, v8
	v_mov_b32_e32 v23, 0x80
	s_mov_b32 s75, exec_lo
	v_and_b32_e32 v9, 0x7f800000, v8
	v_cmpx_ne_u32_e32 0x7f800000, v9
	s_cbranch_execz .LBB6_5957
; %bb.5950:                             ;   in Loop: Header=BB6_5795 Depth=4
	v_mov_b32_e32 v23, 0
	s_mov_b32 s76, exec_lo
	v_cmpx_ne_u32_e32 0, v8
	s_cbranch_execz .LBB6_5956
; %bb.5951:                             ;   in Loop: Header=BB6_5795 Depth=4
	v_bfe_u32 v9, v8, 23, 8
	v_and_b32_e32 v19, 0x7fffff, v8
	v_sub_nc_u32_e32 v20, 0x70, v9
	v_cmp_gt_u32_e32 vcc_lo, 0x71, v9
	v_or_b32_e32 v22, 0x800000, v19
	v_cndmask_b32_e32 v20, 0, v20, vcc_lo
	v_cmp_eq_u32_e32 vcc_lo, 0, v9
	v_add_nc_u32_e32 v9, 0xffffff91, v9
	v_cndmask_b32_e64 v20, v20, 0x6f, vcc_lo
	v_cndmask_b32_e32 v19, v22, v19, vcc_lo
	v_cndmask_b32_e64 v9, v9, 0xffffff92, vcc_lo
	v_lshl_add_u32 v22, 0x200000, v20, -1
	v_lshrrev_b32_e32 v23, v20, v19
	v_lshlrev_b32_e64 v27, v20, 0x100000
	v_add_nc_u32_e32 v20, v20, v9
	v_and_b32_e32 v19, v22, v19
	v_bfe_u32 v24, v23, 21, 1
	v_cmp_eq_u32_e64 s17, v19, v27
	v_add_nc_u32_e32 v22, -1, v24
	v_cndmask_b32_e64 v19, 0, v22, s17
	v_lshrrev_b32_e32 v22, 23, v23
	s_mov_b32 s17, exec_lo
	v_add_nc_u32_e32 v19, v19, v23
	v_xor_b32_e32 v22, 1, v22
	v_and_b32_e32 v9, 0x1fffff, v19
	v_add_nc_u32_e32 v19, v9, v23
                                        ; implicit-def: $vgpr9
	v_cmpx_ne_u32_e64 v20, v22
	s_xor_b32 s17, exec_lo, s17
; %bb.5952:                             ;   in Loop: Header=BB6_5795 Depth=4
	v_cmp_lt_u32_e32 vcc_lo, 0xffffff, v19
	v_sub_nc_u32_e32 v9, v20, v22
	v_cndmask_b32_e64 v20, 0, 1, vcc_lo
	v_add_co_ci_u32_e64 v9, null, 0, v9, vcc_lo
	v_lshrrev_b32_e32 v19, v20, v19
; %bb.5953:                             ;   in Loop: Header=BB6_5795 Depth=4
	s_andn2_saveexec_b32 s17, s17
; %bb.5954:                             ;   in Loop: Header=BB6_5795 Depth=4
	v_bfe_u32 v9, v19, 23, 1
; %bb.5955:                             ;   in Loop: Header=BB6_5795 Depth=4
	s_or_b32 exec_lo, exec_lo, s17
	v_lshrrev_b32_e32 v19, 21, v19
	v_min_i32_e32 v20, 31, v9
	v_cmp_gt_i32_e32 vcc_lo, 32, v9
	v_and_b32_sdwa v8, v8, v117 dst_sel:DWORD dst_unused:UNUSED_PAD src0_sel:BYTE_3 src1_sel:DWORD
	v_lshlrev_b32_e32 v20, 2, v20
	v_cndmask_b32_e32 v19, 3, v19, vcc_lo
	v_and_b32_e32 v20, 0xfc, v20
	v_and_b32_e32 v22, 3, v19
	v_or_b32_e32 v9, v9, v19
	v_or3_b32 v8, v20, v8, v22
	v_cmp_ne_u32_e32 vcc_lo, 0, v9
	v_cndmask_b32_e32 v23, 0, v8, vcc_lo
.LBB6_5956:                             ;   in Loop: Header=BB6_5795 Depth=4
	s_or_b32 exec_lo, exec_lo, s76
.LBB6_5957:                             ;   in Loop: Header=BB6_5795 Depth=4
	s_or_b32 exec_lo, exec_lo, s75
	v_cmp_gt_i16_sdwa s75, v10, v116 src0_sel:BYTE_3 src1_sel:DWORD
	s_mov_b32 s17, 0
	s_and_saveexec_b32 s76, s75
	s_xor_b32 s75, exec_lo, s76
	s_cbranch_execz .LBB6_6367
; %bb.5958:                             ;   in Loop: Header=BB6_5795 Depth=4
	v_cmp_eq_u16_sdwa s77, v10, v117 src0_sel:BYTE_3 src1_sel:DWORD
	s_mov_b32 s17, -1
	s_and_saveexec_b32 s76, s77
; %bb.5959:                             ;   in Loop: Header=BB6_5795 Depth=4
	s_xor_b32 s17, exec_lo, -1
; %bb.5960:                             ;   in Loop: Header=BB6_5795 Depth=4
	s_or_b32 exec_lo, exec_lo, s76
	s_and_b32 s17, s17, exec_lo
	s_or_saveexec_b32 s75, s75
	v_mov_b32_e32 v8, 0x7f800001
	s_xor_b32 exec_lo, exec_lo, s75
	s_cbranch_execnz .LBB6_6368
.LBB6_5961:                             ;   in Loop: Header=BB6_5795 Depth=4
	s_or_b32 exec_lo, exec_lo, s75
	s_and_saveexec_b32 s75, s17
	s_cbranch_execz .LBB6_5963
.LBB6_5962:                             ;   in Loop: Header=BB6_5795 Depth=4
	v_bfe_u32 v8, v10, 24, 2
	v_bfe_u32 v20, v10, 26, 5
	v_ffbh_u32_e32 v9, v8
	v_cmp_eq_u32_e32 vcc_lo, 0, v20
	v_min_u32_e32 v9, 32, v9
	v_subrev_nc_u32_e32 v19, 29, v9
	v_sub_nc_u32_e32 v9, 30, v9
	v_lshlrev_b32_sdwa v19, v19, v10 dst_sel:DWORD dst_unused:UNUSED_PAD src0_sel:DWORD src1_sel:BYTE_3
	v_cndmask_b32_e32 v9, v20, v9, vcc_lo
	v_and_b32_e32 v10, 0x80000000, v10
	v_and_b32_e32 v19, 3, v19
	v_lshl_add_u32 v9, v9, 23, 0x37800000
	v_cndmask_b32_e32 v8, v8, v19, vcc_lo
	v_lshlrev_b32_e32 v8, 21, v8
	v_or3_b32 v8, v10, v9, v8
.LBB6_5963:                             ;   in Loop: Header=BB6_5795 Depth=4
	s_or_b32 exec_lo, exec_lo, s75
	v_mul_f32_e32 v8, s74, v8
	v_mov_b32_e32 v27, 0x8000
	s_mov_b32 s75, exec_lo
	v_and_b32_e32 v9, 0x7f800000, v8
	v_cmpx_ne_u32_e32 0x7f800000, v9
	s_cbranch_execz .LBB6_5971
; %bb.5964:                             ;   in Loop: Header=BB6_5795 Depth=4
	v_mov_b32_e32 v27, 0
	s_mov_b32 s76, exec_lo
	v_cmpx_ne_u32_e32 0, v8
	s_cbranch_execz .LBB6_5970
; %bb.5965:                             ;   in Loop: Header=BB6_5795 Depth=4
	v_bfe_u32 v9, v8, 23, 8
	v_and_b32_e32 v10, 0x7fffff, v8
	v_sub_nc_u32_e32 v19, 0x70, v9
	v_cmp_gt_u32_e32 vcc_lo, 0x71, v9
	v_or_b32_e32 v20, 0x800000, v10
	v_cndmask_b32_e32 v19, 0, v19, vcc_lo
	v_cmp_eq_u32_e32 vcc_lo, 0, v9
	v_add_nc_u32_e32 v9, 0xffffff91, v9
	v_cndmask_b32_e64 v19, v19, 0x6f, vcc_lo
	v_cndmask_b32_e32 v10, v20, v10, vcc_lo
	v_cndmask_b32_e64 v9, v9, 0xffffff92, vcc_lo
	v_lshl_add_u32 v20, 0x200000, v19, -1
	v_lshrrev_b32_e32 v22, v19, v10
	v_lshlrev_b32_e64 v27, v19, 0x100000
	v_add_nc_u32_e32 v19, v19, v9
	v_and_b32_e32 v10, v20, v10
	v_bfe_u32 v24, v22, 21, 1
	v_cmp_eq_u32_e64 s17, v10, v27
	v_add_nc_u32_e32 v20, -1, v24
	v_cndmask_b32_e64 v10, 0, v20, s17
	v_lshrrev_b32_e32 v20, 23, v22
	s_mov_b32 s17, exec_lo
	v_add_nc_u32_e32 v10, v10, v22
	v_xor_b32_e32 v20, 1, v20
	v_and_b32_e32 v9, 0x1fffff, v10
	v_add_nc_u32_e32 v10, v9, v22
                                        ; implicit-def: $vgpr9
	v_cmpx_ne_u32_e64 v19, v20
	s_xor_b32 s17, exec_lo, s17
; %bb.5966:                             ;   in Loop: Header=BB6_5795 Depth=4
	v_cmp_lt_u32_e32 vcc_lo, 0xffffff, v10
	v_sub_nc_u32_e32 v9, v19, v20
	v_cndmask_b32_e64 v19, 0, 1, vcc_lo
	v_add_co_ci_u32_e64 v9, null, 0, v9, vcc_lo
	v_lshrrev_b32_e32 v10, v19, v10
; %bb.5967:                             ;   in Loop: Header=BB6_5795 Depth=4
	s_andn2_saveexec_b32 s17, s17
; %bb.5968:                             ;   in Loop: Header=BB6_5795 Depth=4
	v_bfe_u32 v9, v10, 23, 1
; %bb.5969:                             ;   in Loop: Header=BB6_5795 Depth=4
	s_or_b32 exec_lo, exec_lo, s17
	v_lshrrev_b32_e32 v10, 21, v10
	v_min_i32_e32 v19, 31, v9
	v_cmp_gt_i32_e32 vcc_lo, 32, v9
	v_and_b32_sdwa v8, v8, v117 dst_sel:DWORD dst_unused:UNUSED_PAD src0_sel:BYTE_3 src1_sel:DWORD
	v_lshlrev_b32_e32 v19, 2, v19
	v_cndmask_b32_e32 v10, 3, v10, vcc_lo
	v_and_b32_e32 v19, 0xfc, v19
	v_and_b32_e32 v20, 3, v10
	v_or_b32_e32 v9, v9, v10
	v_or3_b32 v8, v8, v19, v20
	v_cmp_ne_u32_e32 vcc_lo, 0, v9
	v_lshlrev_b32_e32 v8, 8, v8
	v_cndmask_b32_e32 v27, 0, v8, vcc_lo
.LBB6_5970:                             ;   in Loop: Header=BB6_5795 Depth=4
	s_or_b32 exec_lo, exec_lo, s76
.LBB6_5971:                             ;   in Loop: Header=BB6_5795 Depth=4
	s_or_b32 exec_lo, exec_lo, s75
	v_cmp_gt_i16_sdwa s75, v11, v116 src0_sel:BYTE_0 src1_sel:DWORD
	s_mov_b32 s17, 0
	s_and_saveexec_b32 s76, s75
	s_xor_b32 s75, exec_lo, s76
	s_cbranch_execz .LBB6_6369
; %bb.5972:                             ;   in Loop: Header=BB6_5795 Depth=4
	v_cmp_eq_u16_sdwa s77, v11, v117 src0_sel:BYTE_0 src1_sel:DWORD
	s_mov_b32 s17, -1
	s_and_saveexec_b32 s76, s77
; %bb.5973:                             ;   in Loop: Header=BB6_5795 Depth=4
	s_xor_b32 s17, exec_lo, -1
; %bb.5974:                             ;   in Loop: Header=BB6_5795 Depth=4
	s_or_b32 exec_lo, exec_lo, s76
	s_and_b32 s17, s17, exec_lo
	s_or_saveexec_b32 s75, s75
	v_mov_b32_e32 v8, 0x7f800001
	s_xor_b32 exec_lo, exec_lo, s75
	s_cbranch_execnz .LBB6_6370
.LBB6_5975:                             ;   in Loop: Header=BB6_5795 Depth=4
	s_or_b32 exec_lo, exec_lo, s75
	s_and_saveexec_b32 s75, s17
	s_cbranch_execz .LBB6_5977
.LBB6_5976:                             ;   in Loop: Header=BB6_5795 Depth=4
	v_and_b32_e32 v8, 3, v11
	v_bfe_u32 v19, v11, 2, 5
	v_lshlrev_b32_e32 v20, 24, v11
	v_ffbh_u32_e32 v9, v8
	v_cmp_eq_u32_e32 vcc_lo, 0, v19
	v_min_u32_e32 v9, 32, v9
	v_subrev_nc_u32_e32 v10, 29, v9
	v_sub_nc_u32_e32 v9, 30, v9
	v_lshlrev_b32_e32 v10, v10, v11
	v_cndmask_b32_e32 v9, v19, v9, vcc_lo
	v_and_b32_e32 v10, 3, v10
	v_lshl_add_u32 v9, v9, 23, 0x37800000
	v_cndmask_b32_e32 v8, v8, v10, vcc_lo
	v_and_b32_e32 v10, 0x80000000, v20
	v_lshlrev_b32_e32 v8, 21, v8
	v_or3_b32 v8, v10, v9, v8
.LBB6_5977:                             ;   in Loop: Header=BB6_5795 Depth=4
	s_or_b32 exec_lo, exec_lo, s75
	v_mul_f32_e32 v8, s74, v8
	v_mov_b32_e32 v20, 0x80
	s_mov_b32 s75, exec_lo
	v_and_b32_e32 v9, 0x7f800000, v8
	v_cmpx_ne_u32_e32 0x7f800000, v9
	s_cbranch_execz .LBB6_5985
; %bb.5978:                             ;   in Loop: Header=BB6_5795 Depth=4
	v_mov_b32_e32 v20, 0
	s_mov_b32 s76, exec_lo
	v_cmpx_ne_u32_e32 0, v8
	s_cbranch_execz .LBB6_5984
; %bb.5979:                             ;   in Loop: Header=BB6_5795 Depth=4
	v_bfe_u32 v9, v8, 23, 8
	v_and_b32_e32 v10, 0x7fffff, v8
	v_sub_nc_u32_e32 v19, 0x70, v9
	v_cmp_gt_u32_e32 vcc_lo, 0x71, v9
	v_or_b32_e32 v20, 0x800000, v10
	v_cndmask_b32_e32 v19, 0, v19, vcc_lo
	v_cmp_eq_u32_e32 vcc_lo, 0, v9
	v_add_nc_u32_e32 v9, 0xffffff91, v9
	v_cndmask_b32_e64 v19, v19, 0x6f, vcc_lo
	v_cndmask_b32_e32 v10, v20, v10, vcc_lo
	v_cndmask_b32_e64 v9, v9, 0xffffff92, vcc_lo
	v_lshl_add_u32 v20, 0x200000, v19, -1
	v_lshrrev_b32_e32 v22, v19, v10
	v_lshlrev_b32_e64 v50, v19, 0x100000
	v_add_nc_u32_e32 v19, v19, v9
	v_and_b32_e32 v10, v20, v10
	v_bfe_u32 v24, v22, 21, 1
	v_cmp_eq_u32_e64 s17, v10, v50
	v_add_nc_u32_e32 v20, -1, v24
	v_cndmask_b32_e64 v10, 0, v20, s17
	v_lshrrev_b32_e32 v20, 23, v22
	s_mov_b32 s17, exec_lo
	v_add_nc_u32_e32 v10, v10, v22
	v_xor_b32_e32 v20, 1, v20
	v_and_b32_e32 v9, 0x1fffff, v10
	v_add_nc_u32_e32 v10, v9, v22
                                        ; implicit-def: $vgpr9
	v_cmpx_ne_u32_e64 v19, v20
	s_xor_b32 s17, exec_lo, s17
; %bb.5980:                             ;   in Loop: Header=BB6_5795 Depth=4
	v_cmp_lt_u32_e32 vcc_lo, 0xffffff, v10
	v_sub_nc_u32_e32 v9, v19, v20
	v_cndmask_b32_e64 v19, 0, 1, vcc_lo
	v_add_co_ci_u32_e64 v9, null, 0, v9, vcc_lo
	v_lshrrev_b32_e32 v10, v19, v10
; %bb.5981:                             ;   in Loop: Header=BB6_5795 Depth=4
	s_andn2_saveexec_b32 s17, s17
; %bb.5982:                             ;   in Loop: Header=BB6_5795 Depth=4
	v_bfe_u32 v9, v10, 23, 1
; %bb.5983:                             ;   in Loop: Header=BB6_5795 Depth=4
	s_or_b32 exec_lo, exec_lo, s17
	v_lshrrev_b32_e32 v10, 21, v10
	v_min_i32_e32 v19, 31, v9
	v_cmp_gt_i32_e32 vcc_lo, 32, v9
	v_and_b32_sdwa v8, v8, v117 dst_sel:DWORD dst_unused:UNUSED_PAD src0_sel:BYTE_3 src1_sel:DWORD
	v_lshlrev_b32_e32 v19, 2, v19
	v_cndmask_b32_e32 v10, 3, v10, vcc_lo
	v_and_b32_e32 v19, 0xfc, v19
	v_and_b32_e32 v20, 3, v10
	v_or_b32_e32 v9, v9, v10
	v_or3_b32 v8, v19, v8, v20
	v_cmp_ne_u32_e32 vcc_lo, 0, v9
	v_cndmask_b32_e32 v20, 0, v8, vcc_lo
.LBB6_5984:                             ;   in Loop: Header=BB6_5795 Depth=4
	s_or_b32 exec_lo, exec_lo, s76
.LBB6_5985:                             ;   in Loop: Header=BB6_5795 Depth=4
	s_or_b32 exec_lo, exec_lo, s75
	v_cmp_gt_i16_sdwa s75, v11, v116 src0_sel:BYTE_1 src1_sel:DWORD
	s_mov_b32 s17, 0
	s_and_saveexec_b32 s76, s75
	s_xor_b32 s75, exec_lo, s76
	s_cbranch_execz .LBB6_6371
; %bb.5986:                             ;   in Loop: Header=BB6_5795 Depth=4
	v_cmp_eq_u16_sdwa s77, v11, v117 src0_sel:BYTE_1 src1_sel:DWORD
	s_mov_b32 s17, -1
	s_and_saveexec_b32 s76, s77
; %bb.5987:                             ;   in Loop: Header=BB6_5795 Depth=4
	s_xor_b32 s17, exec_lo, -1
; %bb.5988:                             ;   in Loop: Header=BB6_5795 Depth=4
	s_or_b32 exec_lo, exec_lo, s76
	s_and_b32 s17, s17, exec_lo
	s_or_saveexec_b32 s75, s75
	v_mov_b32_e32 v8, 0x7f800001
	s_xor_b32 exec_lo, exec_lo, s75
	s_cbranch_execnz .LBB6_6372
.LBB6_5989:                             ;   in Loop: Header=BB6_5795 Depth=4
	s_or_b32 exec_lo, exec_lo, s75
	s_and_saveexec_b32 s75, s17
	s_cbranch_execz .LBB6_5991
.LBB6_5990:                             ;   in Loop: Header=BB6_5795 Depth=4
	v_and_b32_sdwa v8, v118, v11 dst_sel:DWORD dst_unused:UNUSED_PAD src0_sel:DWORD src1_sel:BYTE_1
	v_and_b32_e32 v9, 3, v8
	v_bfe_u32 v22, v8, 2, 5
	v_ffbh_u32_e32 v10, v9
	v_cmp_eq_u32_e32 vcc_lo, 0, v22
	v_min_u32_e32 v10, 32, v10
	v_subrev_nc_u32_e32 v19, 29, v10
	v_sub_nc_u32_e32 v10, 30, v10
	v_lshlrev_b32_e32 v8, v19, v8
	v_lshlrev_b32_sdwa v19, v119, v11 dst_sel:DWORD dst_unused:UNUSED_PAD src0_sel:DWORD src1_sel:BYTE_1
	v_cndmask_b32_e32 v10, v22, v10, vcc_lo
	v_and_b32_e32 v8, 3, v8
	v_lshl_add_u32 v10, v10, 23, 0x37800000
	v_cndmask_b32_e32 v8, v9, v8, vcc_lo
	v_and_b32_e32 v9, 0x80000000, v19
	v_lshlrev_b32_e32 v8, 21, v8
	v_or3_b32 v8, v9, v10, v8
.LBB6_5991:                             ;   in Loop: Header=BB6_5795 Depth=4
	s_or_b32 exec_lo, exec_lo, s75
	v_mul_f32_e32 v8, s74, v8
	v_mov_b32_e32 v24, 0x8000
	s_mov_b32 s75, exec_lo
	v_and_b32_e32 v9, 0x7f800000, v8
	v_cmpx_ne_u32_e32 0x7f800000, v9
	s_cbranch_execz .LBB6_5999
; %bb.5992:                             ;   in Loop: Header=BB6_5795 Depth=4
	v_mov_b32_e32 v24, 0
	s_mov_b32 s76, exec_lo
	v_cmpx_ne_u32_e32 0, v8
	s_cbranch_execz .LBB6_5998
; %bb.5993:                             ;   in Loop: Header=BB6_5795 Depth=4
	v_bfe_u32 v9, v8, 23, 8
	v_and_b32_e32 v10, 0x7fffff, v8
	v_sub_nc_u32_e32 v19, 0x70, v9
	v_cmp_gt_u32_e32 vcc_lo, 0x71, v9
	v_or_b32_e32 v22, 0x800000, v10
	v_cndmask_b32_e32 v19, 0, v19, vcc_lo
	v_cmp_eq_u32_e32 vcc_lo, 0, v9
	v_add_nc_u32_e32 v9, 0xffffff91, v9
	v_cndmask_b32_e64 v19, v19, 0x6f, vcc_lo
	v_cndmask_b32_e32 v10, v22, v10, vcc_lo
	v_cndmask_b32_e64 v9, v9, 0xffffff92, vcc_lo
	v_lshl_add_u32 v22, 0x200000, v19, -1
	v_lshrrev_b32_e32 v24, v19, v10
	v_lshlrev_b32_e64 v51, v19, 0x100000
	v_add_nc_u32_e32 v19, v19, v9
	v_and_b32_e32 v10, v22, v10
	v_bfe_u32 v50, v24, 21, 1
	v_cmp_eq_u32_e64 s17, v10, v51
	v_add_nc_u32_e32 v22, -1, v50
	v_cndmask_b32_e64 v10, 0, v22, s17
	v_lshrrev_b32_e32 v22, 23, v24
	s_mov_b32 s17, exec_lo
	v_add_nc_u32_e32 v10, v10, v24
	v_xor_b32_e32 v22, 1, v22
	v_and_b32_e32 v9, 0x1fffff, v10
	v_add_nc_u32_e32 v10, v9, v24
                                        ; implicit-def: $vgpr9
	v_cmpx_ne_u32_e64 v19, v22
	s_xor_b32 s17, exec_lo, s17
; %bb.5994:                             ;   in Loop: Header=BB6_5795 Depth=4
	v_cmp_lt_u32_e32 vcc_lo, 0xffffff, v10
	v_sub_nc_u32_e32 v9, v19, v22
	v_cndmask_b32_e64 v19, 0, 1, vcc_lo
	v_add_co_ci_u32_e64 v9, null, 0, v9, vcc_lo
	v_lshrrev_b32_e32 v10, v19, v10
; %bb.5995:                             ;   in Loop: Header=BB6_5795 Depth=4
	s_andn2_saveexec_b32 s17, s17
; %bb.5996:                             ;   in Loop: Header=BB6_5795 Depth=4
	v_bfe_u32 v9, v10, 23, 1
; %bb.5997:                             ;   in Loop: Header=BB6_5795 Depth=4
	s_or_b32 exec_lo, exec_lo, s17
	v_lshrrev_b32_e32 v10, 21, v10
	v_min_i32_e32 v19, 31, v9
	v_cmp_gt_i32_e32 vcc_lo, 32, v9
	v_and_b32_sdwa v8, v8, v117 dst_sel:DWORD dst_unused:UNUSED_PAD src0_sel:BYTE_3 src1_sel:DWORD
	v_lshlrev_b32_e32 v19, 2, v19
	v_cndmask_b32_e32 v10, 3, v10, vcc_lo
	v_and_b32_e32 v19, 0xfc, v19
	v_and_b32_e32 v22, 3, v10
	v_or_b32_e32 v9, v9, v10
	v_or3_b32 v8, v8, v19, v22
	v_cmp_ne_u32_e32 vcc_lo, 0, v9
	v_lshlrev_b32_e32 v8, 8, v8
	v_cndmask_b32_e32 v24, 0, v8, vcc_lo
.LBB6_5998:                             ;   in Loop: Header=BB6_5795 Depth=4
	s_or_b32 exec_lo, exec_lo, s76
.LBB6_5999:                             ;   in Loop: Header=BB6_5795 Depth=4
	s_or_b32 exec_lo, exec_lo, s75
	v_and_b32_sdwa v9, v11, v40 dst_sel:DWORD dst_unused:UNUSED_PAD src0_sel:WORD_1 src1_sel:DWORD
	s_mov_b32 s17, 0
	s_mov_b32 s75, exec_lo
	v_cmpx_lt_i16_e32 0x7f, v9
	s_xor_b32 s75, exec_lo, s75
	s_cbranch_execz .LBB6_6373
; %bb.6000:                             ;   in Loop: Header=BB6_5795 Depth=4
	s_mov_b32 s17, -1
	s_mov_b32 s76, exec_lo
	v_cmpx_eq_u16_e32 0x80, v9
; %bb.6001:                             ;   in Loop: Header=BB6_5795 Depth=4
	s_xor_b32 s17, exec_lo, -1
; %bb.6002:                             ;   in Loop: Header=BB6_5795 Depth=4
	s_or_b32 exec_lo, exec_lo, s76
	s_and_b32 s17, s17, exec_lo
                                        ; implicit-def: $vgpr9
	s_or_saveexec_b32 s75, s75
	v_mov_b32_e32 v8, 0x7f800001
	s_xor_b32 exec_lo, exec_lo, s75
	s_cbranch_execnz .LBB6_6374
.LBB6_6003:                             ;   in Loop: Header=BB6_5795 Depth=4
	s_or_b32 exec_lo, exec_lo, s75
	s_and_saveexec_b32 s75, s17
	s_cbranch_execz .LBB6_6005
.LBB6_6004:                             ;   in Loop: Header=BB6_5795 Depth=4
	v_bfe_u32 v8, v11, 16, 2
	v_bfe_u32 v19, v11, 18, 5
	v_lshlrev_b32_e32 v22, 8, v11
	v_ffbh_u32_e32 v9, v8
	v_cmp_eq_u32_e32 vcc_lo, 0, v19
	v_min_u32_e32 v9, 32, v9
	v_subrev_nc_u32_e32 v10, 29, v9
	v_sub_nc_u32_e32 v9, 30, v9
	v_lshlrev_b32_sdwa v10, v10, v11 dst_sel:DWORD dst_unused:UNUSED_PAD src0_sel:DWORD src1_sel:WORD_1
	v_cndmask_b32_e32 v9, v19, v9, vcc_lo
	v_and_b32_e32 v10, 3, v10
	v_lshl_add_u32 v9, v9, 23, 0x37800000
	v_cndmask_b32_e32 v8, v8, v10, vcc_lo
	v_and_b32_e32 v10, 0x80000000, v22
	v_lshlrev_b32_e32 v8, 21, v8
	v_or3_b32 v8, v10, v9, v8
.LBB6_6005:                             ;   in Loop: Header=BB6_5795 Depth=4
	s_or_b32 exec_lo, exec_lo, s75
	v_mul_f32_e32 v8, s74, v8
	v_mov_b32_e32 v19, 0x80
	s_mov_b32 s75, exec_lo
	v_and_b32_e32 v9, 0x7f800000, v8
	v_cmpx_ne_u32_e32 0x7f800000, v9
	s_cbranch_execz .LBB6_6013
; %bb.6006:                             ;   in Loop: Header=BB6_5795 Depth=4
	v_mov_b32_e32 v19, 0
	s_mov_b32 s76, exec_lo
	v_cmpx_ne_u32_e32 0, v8
	s_cbranch_execz .LBB6_6012
; %bb.6007:                             ;   in Loop: Header=BB6_5795 Depth=4
	v_bfe_u32 v9, v8, 23, 8
	v_and_b32_e32 v10, 0x7fffff, v8
	v_sub_nc_u32_e32 v19, 0x70, v9
	v_cmp_gt_u32_e32 vcc_lo, 0x71, v9
	v_or_b32_e32 v22, 0x800000, v10
	v_cndmask_b32_e32 v19, 0, v19, vcc_lo
	v_cmp_eq_u32_e32 vcc_lo, 0, v9
	v_add_nc_u32_e32 v9, 0xffffff91, v9
	v_cndmask_b32_e64 v19, v19, 0x6f, vcc_lo
	v_cndmask_b32_e32 v10, v22, v10, vcc_lo
	v_cndmask_b32_e64 v9, v9, 0xffffff92, vcc_lo
	v_lshl_add_u32 v22, 0x200000, v19, -1
	v_lshrrev_b32_e32 v50, v19, v10
	v_lshlrev_b32_e64 v52, v19, 0x100000
	v_add_nc_u32_e32 v19, v19, v9
	v_and_b32_e32 v10, v22, v10
	v_bfe_u32 v51, v50, 21, 1
	v_cmp_eq_u32_e64 s17, v10, v52
	v_add_nc_u32_e32 v22, -1, v51
	v_cndmask_b32_e64 v10, 0, v22, s17
	v_lshrrev_b32_e32 v22, 23, v50
	s_mov_b32 s17, exec_lo
	v_add_nc_u32_e32 v10, v10, v50
	v_xor_b32_e32 v22, 1, v22
	v_and_b32_e32 v9, 0x1fffff, v10
	v_add_nc_u32_e32 v10, v9, v50
                                        ; implicit-def: $vgpr9
	v_cmpx_ne_u32_e64 v19, v22
	s_xor_b32 s17, exec_lo, s17
; %bb.6008:                             ;   in Loop: Header=BB6_5795 Depth=4
	v_cmp_lt_u32_e32 vcc_lo, 0xffffff, v10
	v_sub_nc_u32_e32 v9, v19, v22
	v_cndmask_b32_e64 v19, 0, 1, vcc_lo
	v_add_co_ci_u32_e64 v9, null, 0, v9, vcc_lo
	v_lshrrev_b32_e32 v10, v19, v10
; %bb.6009:                             ;   in Loop: Header=BB6_5795 Depth=4
	s_andn2_saveexec_b32 s17, s17
; %bb.6010:                             ;   in Loop: Header=BB6_5795 Depth=4
	v_bfe_u32 v9, v10, 23, 1
; %bb.6011:                             ;   in Loop: Header=BB6_5795 Depth=4
	s_or_b32 exec_lo, exec_lo, s17
	v_lshrrev_b32_e32 v10, 21, v10
	v_min_i32_e32 v19, 31, v9
	v_cmp_gt_i32_e32 vcc_lo, 32, v9
	v_and_b32_sdwa v8, v8, v117 dst_sel:DWORD dst_unused:UNUSED_PAD src0_sel:BYTE_3 src1_sel:DWORD
	v_lshlrev_b32_e32 v19, 2, v19
	v_cndmask_b32_e32 v10, 3, v10, vcc_lo
	v_and_b32_e32 v19, 0xfc, v19
	v_and_b32_e32 v22, 3, v10
	v_or_b32_e32 v9, v9, v10
	v_or3_b32 v8, v19, v8, v22
	v_cmp_ne_u32_e32 vcc_lo, 0, v9
	v_cndmask_b32_e32 v19, 0, v8, vcc_lo
.LBB6_6012:                             ;   in Loop: Header=BB6_5795 Depth=4
	s_or_b32 exec_lo, exec_lo, s76
.LBB6_6013:                             ;   in Loop: Header=BB6_5795 Depth=4
	s_or_b32 exec_lo, exec_lo, s75
	v_cmp_gt_i16_sdwa s75, v11, v116 src0_sel:BYTE_3 src1_sel:DWORD
	s_mov_b32 s17, 0
	s_and_saveexec_b32 s76, s75
	s_xor_b32 s75, exec_lo, s76
	s_cbranch_execz .LBB6_6375
; %bb.6014:                             ;   in Loop: Header=BB6_5795 Depth=4
	v_cmp_eq_u16_sdwa s77, v11, v117 src0_sel:BYTE_3 src1_sel:DWORD
	s_mov_b32 s17, -1
	s_and_saveexec_b32 s76, s77
; %bb.6015:                             ;   in Loop: Header=BB6_5795 Depth=4
	s_xor_b32 s17, exec_lo, -1
; %bb.6016:                             ;   in Loop: Header=BB6_5795 Depth=4
	s_or_b32 exec_lo, exec_lo, s76
	s_and_b32 s17, s17, exec_lo
	s_or_saveexec_b32 s75, s75
	v_mov_b32_e32 v8, 0x7f800001
	s_xor_b32 exec_lo, exec_lo, s75
	s_cbranch_execnz .LBB6_6376
.LBB6_6017:                             ;   in Loop: Header=BB6_5795 Depth=4
	s_or_b32 exec_lo, exec_lo, s75
	s_and_saveexec_b32 s75, s17
	s_cbranch_execz .LBB6_6019
.LBB6_6018:                             ;   in Loop: Header=BB6_5795 Depth=4
	v_bfe_u32 v8, v11, 24, 2
	v_bfe_u32 v22, v11, 26, 5
	v_ffbh_u32_e32 v9, v8
	v_cmp_eq_u32_e32 vcc_lo, 0, v22
	v_min_u32_e32 v9, 32, v9
	v_subrev_nc_u32_e32 v10, 29, v9
	v_sub_nc_u32_e32 v9, 30, v9
	v_lshlrev_b32_sdwa v10, v10, v11 dst_sel:DWORD dst_unused:UNUSED_PAD src0_sel:DWORD src1_sel:BYTE_3
	v_cndmask_b32_e32 v9, v22, v9, vcc_lo
	v_and_b32_e32 v10, 3, v10
	v_lshl_add_u32 v9, v9, 23, 0x37800000
	v_cndmask_b32_e32 v8, v8, v10, vcc_lo
	v_and_b32_e32 v10, 0x80000000, v11
	v_lshlrev_b32_e32 v8, 21, v8
	v_or3_b32 v8, v10, v9, v8
.LBB6_6019:                             ;   in Loop: Header=BB6_5795 Depth=4
	s_or_b32 exec_lo, exec_lo, s75
	v_mul_f32_e32 v8, s74, v8
	v_mov_b32_e32 v22, 0x8000
	s_mov_b32 s74, exec_lo
	v_and_b32_e32 v9, 0x7f800000, v8
	v_cmpx_ne_u32_e32 0x7f800000, v9
	s_cbranch_execz .LBB6_6027
; %bb.6020:                             ;   in Loop: Header=BB6_5795 Depth=4
	v_mov_b32_e32 v22, 0
	s_mov_b32 s75, exec_lo
	v_cmpx_ne_u32_e32 0, v8
	s_cbranch_execz .LBB6_6026
; %bb.6021:                             ;   in Loop: Header=BB6_5795 Depth=4
	v_bfe_u32 v9, v8, 23, 8
	v_and_b32_e32 v10, 0x7fffff, v8
	v_sub_nc_u32_e32 v11, 0x70, v9
	v_cmp_gt_u32_e32 vcc_lo, 0x71, v9
	v_or_b32_e32 v22, 0x800000, v10
	v_cndmask_b32_e32 v11, 0, v11, vcc_lo
	v_cmp_eq_u32_e32 vcc_lo, 0, v9
	v_add_nc_u32_e32 v9, 0xffffff91, v9
	v_cndmask_b32_e64 v11, v11, 0x6f, vcc_lo
	v_cndmask_b32_e32 v10, v22, v10, vcc_lo
	v_cndmask_b32_e64 v9, v9, 0xffffff92, vcc_lo
	v_lshl_add_u32 v22, 0x200000, v11, -1
	v_lshrrev_b32_e32 v50, v11, v10
	v_lshlrev_b32_e64 v52, v11, 0x100000
	v_add_nc_u32_e32 v11, v11, v9
	v_and_b32_e32 v10, v22, v10
	v_bfe_u32 v51, v50, 21, 1
	v_cmp_eq_u32_e64 s17, v10, v52
	v_add_nc_u32_e32 v22, -1, v51
	v_cndmask_b32_e64 v10, 0, v22, s17
	v_lshrrev_b32_e32 v22, 23, v50
	s_mov_b32 s17, exec_lo
	v_add_nc_u32_e32 v10, v10, v50
	v_xor_b32_e32 v22, 1, v22
	v_and_b32_e32 v9, 0x1fffff, v10
	v_add_nc_u32_e32 v10, v9, v50
                                        ; implicit-def: $vgpr9
	v_cmpx_ne_u32_e64 v11, v22
	s_xor_b32 s17, exec_lo, s17
; %bb.6022:                             ;   in Loop: Header=BB6_5795 Depth=4
	v_cmp_lt_u32_e32 vcc_lo, 0xffffff, v10
	v_sub_nc_u32_e32 v9, v11, v22
	v_cndmask_b32_e64 v11, 0, 1, vcc_lo
	v_add_co_ci_u32_e64 v9, null, 0, v9, vcc_lo
	v_lshrrev_b32_e32 v10, v11, v10
; %bb.6023:                             ;   in Loop: Header=BB6_5795 Depth=4
	s_andn2_saveexec_b32 s17, s17
; %bb.6024:                             ;   in Loop: Header=BB6_5795 Depth=4
	v_bfe_u32 v9, v10, 23, 1
; %bb.6025:                             ;   in Loop: Header=BB6_5795 Depth=4
	s_or_b32 exec_lo, exec_lo, s17
	v_lshrrev_b32_e32 v10, 21, v10
	v_min_i32_e32 v11, 31, v9
	v_cmp_gt_i32_e32 vcc_lo, 32, v9
	v_and_b32_sdwa v8, v8, v117 dst_sel:DWORD dst_unused:UNUSED_PAD src0_sel:BYTE_3 src1_sel:DWORD
	v_lshlrev_b32_e32 v11, 2, v11
	v_cndmask_b32_e32 v10, 3, v10, vcc_lo
	v_and_b32_e32 v11, 0xfc, v11
	v_and_b32_e32 v22, 3, v10
	v_or_b32_e32 v9, v9, v10
	v_or3_b32 v8, v8, v11, v22
	v_cmp_ne_u32_e32 vcc_lo, 0, v9
	v_lshlrev_b32_e32 v8, 8, v8
	v_cndmask_b32_e32 v22, 0, v8, vcc_lo
.LBB6_6026:                             ;   in Loop: Header=BB6_5795 Depth=4
	s_or_b32 exec_lo, exec_lo, s75
.LBB6_6027:                             ;   in Loop: Header=BB6_5795 Depth=4
	s_or_b32 exec_lo, exec_lo, s74
	global_load_dwordx4 v[8:11], v[16:17], off slc
	v_or_b32_e32 v50, v21, v18
	s_mov_b32 s17, 0
	v_cmp_gt_i16_sdwa s74, v50, v116 src0_sel:BYTE_0 src1_sel:DWORD
	s_and_saveexec_b32 s75, s74
	s_xor_b32 s74, exec_lo, s75
	s_cbranch_execz .LBB6_6377
; %bb.6028:                             ;   in Loop: Header=BB6_5795 Depth=4
	v_cmp_eq_u16_sdwa s76, v50, v117 src0_sel:BYTE_0 src1_sel:DWORD
	s_mov_b32 s17, -1
	s_and_saveexec_b32 s75, s76
; %bb.6029:                             ;   in Loop: Header=BB6_5795 Depth=4
	s_xor_b32 s17, exec_lo, -1
; %bb.6030:                             ;   in Loop: Header=BB6_5795 Depth=4
	s_or_b32 exec_lo, exec_lo, s75
	s_and_b32 s17, s17, exec_lo
	s_or_saveexec_b32 s74, s74
	v_mov_b32_e32 v18, 0x7f800001
	s_xor_b32 exec_lo, exec_lo, s74
	s_cbranch_execnz .LBB6_6378
.LBB6_6031:                             ;   in Loop: Header=BB6_5795 Depth=4
	s_or_b32 exec_lo, exec_lo, s74
	s_and_saveexec_b32 s74, s17
	s_cbranch_execz .LBB6_6033
.LBB6_6032:                             ;   in Loop: Header=BB6_5795 Depth=4
	v_and_b32_e32 v18, 3, v50
	v_bfe_u32 v52, v50, 2, 5
	v_lshlrev_b32_e32 v53, 24, v50
	v_ffbh_u32_e32 v21, v18
	v_cmp_eq_u32_e32 vcc_lo, 0, v52
	v_min_u32_e32 v21, 32, v21
	v_subrev_nc_u32_e32 v51, 29, v21
	v_sub_nc_u32_e32 v21, 30, v21
	v_lshlrev_b32_e32 v51, v51, v50
	v_cndmask_b32_e32 v21, v52, v21, vcc_lo
	v_and_b32_e32 v51, 3, v51
	v_lshl_add_u32 v21, v21, 23, 0x37800000
	v_cndmask_b32_e32 v18, v18, v51, vcc_lo
	v_and_b32_e32 v51, 0x80000000, v53
	v_lshlrev_b32_e32 v18, 21, v18
	v_or3_b32 v18, v51, v21, v18
.LBB6_6033:                             ;   in Loop: Header=BB6_5795 Depth=4
	s_or_b32 exec_lo, exec_lo, s74
	s_waitcnt vmcnt(0)
	v_cmp_gt_i16_sdwa s74, v8, v116 src0_sel:BYTE_0 src1_sel:DWORD
	s_mov_b32 s17, 0
	s_and_saveexec_b32 s75, s74
	s_xor_b32 s74, exec_lo, s75
	s_cbranch_execz .LBB6_6379
; %bb.6034:                             ;   in Loop: Header=BB6_5795 Depth=4
	v_cmp_eq_u16_sdwa s76, v8, v117 src0_sel:BYTE_0 src1_sel:DWORD
	s_mov_b32 s17, -1
	s_and_saveexec_b32 s75, s76
; %bb.6035:                             ;   in Loop: Header=BB6_5795 Depth=4
	s_xor_b32 s17, exec_lo, -1
; %bb.6036:                             ;   in Loop: Header=BB6_5795 Depth=4
	s_or_b32 exec_lo, exec_lo, s75
	s_and_b32 s17, s17, exec_lo
	s_or_saveexec_b32 s74, s74
	v_mov_b32_e32 v21, 0x7f800001
	s_xor_b32 exec_lo, exec_lo, s74
	s_cbranch_execnz .LBB6_6380
.LBB6_6037:                             ;   in Loop: Header=BB6_5795 Depth=4
	s_or_b32 exec_lo, exec_lo, s74
	s_and_saveexec_b32 s74, s17
	s_cbranch_execz .LBB6_6039
.LBB6_6038:                             ;   in Loop: Header=BB6_5795 Depth=4
	v_and_b32_e32 v21, 3, v8
	v_bfe_u32 v53, v8, 2, 5
	v_lshlrev_b32_e32 v54, 24, v8
	v_ffbh_u32_e32 v51, v21
	v_cmp_eq_u32_e32 vcc_lo, 0, v53
	v_min_u32_e32 v51, 32, v51
	v_subrev_nc_u32_e32 v52, 29, v51
	v_sub_nc_u32_e32 v51, 30, v51
	v_lshlrev_b32_e32 v52, v52, v8
	v_cndmask_b32_e32 v51, v53, v51, vcc_lo
	v_and_b32_e32 v52, 3, v52
	v_lshl_add_u32 v51, v51, 23, 0x37800000
	v_cndmask_b32_e32 v21, v21, v52, vcc_lo
	v_and_b32_e32 v52, 0x80000000, v54
	v_lshlrev_b32_e32 v21, 21, v21
	v_or3_b32 v21, v52, v51, v21
.LBB6_6039:                             ;   in Loop: Header=BB6_5795 Depth=4
	s_or_b32 exec_lo, exec_lo, s74
	v_add_f32_e32 v21, v18, v21
	v_and_b32_e32 v18, 0x7f800000, v21
	v_cmp_ne_u32_e32 vcc_lo, 0x7f800000, v18
	v_mov_b32_e32 v18, 0x80
	s_and_saveexec_b32 s74, vcc_lo
	s_cbranch_execz .LBB6_6047
; %bb.6040:                             ;   in Loop: Header=BB6_5795 Depth=4
	v_mov_b32_e32 v18, 0
	s_mov_b32 s75, exec_lo
	v_cmpx_ne_u32_e32 0, v21
	s_cbranch_execz .LBB6_6046
; %bb.6041:                             ;   in Loop: Header=BB6_5795 Depth=4
	v_bfe_u32 v18, v21, 23, 8
	v_and_b32_e32 v51, 0x7fffff, v21
	v_sub_nc_u32_e32 v52, 0x70, v18
	v_cmp_gt_u32_e32 vcc_lo, 0x71, v18
	v_or_b32_e32 v53, 0x800000, v51
	v_cndmask_b32_e32 v52, 0, v52, vcc_lo
	v_cmp_eq_u32_e32 vcc_lo, 0, v18
	v_add_nc_u32_e32 v18, 0xffffff91, v18
	v_cndmask_b32_e64 v52, v52, 0x6f, vcc_lo
	v_cndmask_b32_e32 v51, v53, v51, vcc_lo
	v_cndmask_b32_e64 v18, v18, 0xffffff92, vcc_lo
	v_lshl_add_u32 v53, 0x200000, v52, -1
	v_lshrrev_b32_e32 v54, v52, v51
	v_lshlrev_b32_e64 v66, v52, 0x100000
	v_add_nc_u32_e32 v52, v52, v18
	v_and_b32_e32 v51, v53, v51
	v_bfe_u32 v55, v54, 21, 1
	v_cmp_eq_u32_e64 s17, v51, v66
	v_add_nc_u32_e32 v53, -1, v55
	v_cndmask_b32_e64 v51, 0, v53, s17
	v_lshrrev_b32_e32 v53, 23, v54
	s_mov_b32 s17, exec_lo
	v_add_nc_u32_e32 v51, v51, v54
	v_xor_b32_e32 v53, 1, v53
	v_and_b32_e32 v18, 0x1fffff, v51
	v_add_nc_u32_e32 v51, v18, v54
                                        ; implicit-def: $vgpr18
	v_cmpx_ne_u32_e64 v52, v53
	s_xor_b32 s17, exec_lo, s17
; %bb.6042:                             ;   in Loop: Header=BB6_5795 Depth=4
	v_cmp_lt_u32_e32 vcc_lo, 0xffffff, v51
	v_sub_nc_u32_e32 v18, v52, v53
	v_cndmask_b32_e64 v52, 0, 1, vcc_lo
	v_add_co_ci_u32_e64 v18, null, 0, v18, vcc_lo
	v_lshrrev_b32_e32 v51, v52, v51
; %bb.6043:                             ;   in Loop: Header=BB6_5795 Depth=4
	s_andn2_saveexec_b32 s17, s17
; %bb.6044:                             ;   in Loop: Header=BB6_5795 Depth=4
	v_bfe_u32 v18, v51, 23, 1
; %bb.6045:                             ;   in Loop: Header=BB6_5795 Depth=4
	s_or_b32 exec_lo, exec_lo, s17
	v_lshrrev_b32_e32 v51, 21, v51
	v_min_i32_e32 v52, 31, v18
	v_cmp_gt_i32_e32 vcc_lo, 32, v18
	v_and_b32_sdwa v21, v21, v117 dst_sel:DWORD dst_unused:UNUSED_PAD src0_sel:BYTE_3 src1_sel:DWORD
	v_lshlrev_b32_e32 v52, 2, v52
	v_cndmask_b32_e32 v51, 3, v51, vcc_lo
	v_and_b32_e32 v52, 0xfc, v52
	v_and_b32_e32 v53, 3, v51
	v_or_b32_e32 v18, v18, v51
	v_or3_b32 v21, v52, v21, v53
	v_cmp_ne_u32_e32 vcc_lo, 0, v18
	v_cndmask_b32_e32 v18, 0, v21, vcc_lo
.LBB6_6046:                             ;   in Loop: Header=BB6_5795 Depth=4
	s_or_b32 exec_lo, exec_lo, s75
.LBB6_6047:                             ;   in Loop: Header=BB6_5795 Depth=4
	s_or_b32 exec_lo, exec_lo, s74
	v_cmp_gt_i16_sdwa s74, v50, v116 src0_sel:BYTE_1 src1_sel:DWORD
	s_mov_b32 s17, 0
	s_and_saveexec_b32 s75, s74
	s_xor_b32 s74, exec_lo, s75
	s_cbranch_execz .LBB6_6381
; %bb.6048:                             ;   in Loop: Header=BB6_5795 Depth=4
	v_cmp_eq_u16_sdwa s76, v50, v117 src0_sel:BYTE_1 src1_sel:DWORD
	s_mov_b32 s17, -1
	s_and_saveexec_b32 s75, s76
; %bb.6049:                             ;   in Loop: Header=BB6_5795 Depth=4
	s_xor_b32 s17, exec_lo, -1
; %bb.6050:                             ;   in Loop: Header=BB6_5795 Depth=4
	s_or_b32 exec_lo, exec_lo, s75
	s_and_b32 s17, s17, exec_lo
	s_or_saveexec_b32 s74, s74
	v_mov_b32_e32 v21, 0x7f800001
	s_xor_b32 exec_lo, exec_lo, s74
	s_cbranch_execnz .LBB6_6382
.LBB6_6051:                             ;   in Loop: Header=BB6_5795 Depth=4
	s_or_b32 exec_lo, exec_lo, s74
	s_and_saveexec_b32 s74, s17
	s_cbranch_execz .LBB6_6053
.LBB6_6052:                             ;   in Loop: Header=BB6_5795 Depth=4
	v_and_b32_sdwa v21, v118, v50 dst_sel:DWORD dst_unused:UNUSED_PAD src0_sel:DWORD src1_sel:BYTE_1
	v_and_b32_e32 v51, 3, v21
	v_bfe_u32 v54, v21, 2, 5
	v_ffbh_u32_e32 v52, v51
	v_cmp_eq_u32_e32 vcc_lo, 0, v54
	v_min_u32_e32 v52, 32, v52
	v_subrev_nc_u32_e32 v53, 29, v52
	v_sub_nc_u32_e32 v52, 30, v52
	v_lshlrev_b32_e32 v21, v53, v21
	v_lshlrev_b32_sdwa v53, v119, v50 dst_sel:DWORD dst_unused:UNUSED_PAD src0_sel:DWORD src1_sel:BYTE_1
	v_cndmask_b32_e32 v52, v54, v52, vcc_lo
	v_and_b32_e32 v21, 3, v21
	v_lshl_add_u32 v52, v52, 23, 0x37800000
	v_cndmask_b32_e32 v21, v51, v21, vcc_lo
	v_and_b32_e32 v51, 0x80000000, v53
	v_lshlrev_b32_e32 v21, 21, v21
	v_or3_b32 v21, v51, v52, v21
.LBB6_6053:                             ;   in Loop: Header=BB6_5795 Depth=4
	s_or_b32 exec_lo, exec_lo, s74
	v_cmp_gt_i16_sdwa s74, v8, v116 src0_sel:BYTE_1 src1_sel:DWORD
	s_mov_b32 s17, 0
	s_and_saveexec_b32 s75, s74
	s_xor_b32 s74, exec_lo, s75
	s_cbranch_execz .LBB6_6383
; %bb.6054:                             ;   in Loop: Header=BB6_5795 Depth=4
	v_cmp_eq_u16_sdwa s76, v8, v117 src0_sel:BYTE_1 src1_sel:DWORD
	s_mov_b32 s17, -1
	s_and_saveexec_b32 s75, s76
; %bb.6055:                             ;   in Loop: Header=BB6_5795 Depth=4
	s_xor_b32 s17, exec_lo, -1
; %bb.6056:                             ;   in Loop: Header=BB6_5795 Depth=4
	s_or_b32 exec_lo, exec_lo, s75
	s_and_b32 s17, s17, exec_lo
	s_or_saveexec_b32 s74, s74
	v_mov_b32_e32 v51, 0x7f800001
	s_xor_b32 exec_lo, exec_lo, s74
	s_cbranch_execnz .LBB6_6384
.LBB6_6057:                             ;   in Loop: Header=BB6_5795 Depth=4
	s_or_b32 exec_lo, exec_lo, s74
	s_and_saveexec_b32 s74, s17
	s_cbranch_execz .LBB6_6059
.LBB6_6058:                             ;   in Loop: Header=BB6_5795 Depth=4
	v_and_b32_sdwa v51, v118, v8 dst_sel:DWORD dst_unused:UNUSED_PAD src0_sel:DWORD src1_sel:BYTE_1
	v_and_b32_e32 v52, 3, v51
	v_bfe_u32 v55, v51, 2, 5
	v_ffbh_u32_e32 v53, v52
	v_cmp_eq_u32_e32 vcc_lo, 0, v55
	v_min_u32_e32 v53, 32, v53
	v_subrev_nc_u32_e32 v54, 29, v53
	v_sub_nc_u32_e32 v53, 30, v53
	v_lshlrev_b32_e32 v51, v54, v51
	v_lshlrev_b32_sdwa v54, v119, v8 dst_sel:DWORD dst_unused:UNUSED_PAD src0_sel:DWORD src1_sel:BYTE_1
	v_cndmask_b32_e32 v53, v55, v53, vcc_lo
	v_and_b32_e32 v51, 3, v51
	v_lshl_add_u32 v53, v53, 23, 0x37800000
	v_cndmask_b32_e32 v51, v52, v51, vcc_lo
	v_and_b32_e32 v52, 0x80000000, v54
	v_lshlrev_b32_e32 v51, 21, v51
	v_or3_b32 v51, v52, v53, v51
.LBB6_6059:                             ;   in Loop: Header=BB6_5795 Depth=4
	s_or_b32 exec_lo, exec_lo, s74
	v_add_f32_e32 v51, v21, v51
	v_and_b32_e32 v21, 0x7f800000, v51
	v_cmp_ne_u32_e32 vcc_lo, 0x7f800000, v21
	v_mov_b32_e32 v21, 0x8000
	s_and_saveexec_b32 s74, vcc_lo
	s_cbranch_execz .LBB6_6067
; %bb.6060:                             ;   in Loop: Header=BB6_5795 Depth=4
	v_mov_b32_e32 v21, 0
	s_mov_b32 s75, exec_lo
	v_cmpx_ne_u32_e32 0, v51
	s_cbranch_execz .LBB6_6066
; %bb.6061:                             ;   in Loop: Header=BB6_5795 Depth=4
	v_bfe_u32 v21, v51, 23, 8
	v_and_b32_e32 v52, 0x7fffff, v51
	v_sub_nc_u32_e32 v53, 0x70, v21
	v_cmp_gt_u32_e32 vcc_lo, 0x71, v21
	v_or_b32_e32 v54, 0x800000, v52
	v_cndmask_b32_e32 v53, 0, v53, vcc_lo
	v_cmp_eq_u32_e32 vcc_lo, 0, v21
	v_add_nc_u32_e32 v21, 0xffffff91, v21
	v_cndmask_b32_e64 v53, v53, 0x6f, vcc_lo
	v_cndmask_b32_e32 v52, v54, v52, vcc_lo
	v_cndmask_b32_e64 v21, v21, 0xffffff92, vcc_lo
	v_lshl_add_u32 v54, 0x200000, v53, -1
	v_lshrrev_b32_e32 v55, v53, v52
	v_lshlrev_b32_e64 v67, v53, 0x100000
	v_add_nc_u32_e32 v53, v53, v21
	v_and_b32_e32 v52, v54, v52
	v_bfe_u32 v66, v55, 21, 1
	v_cmp_eq_u32_e64 s17, v52, v67
	v_add_nc_u32_e32 v54, -1, v66
	v_cndmask_b32_e64 v52, 0, v54, s17
	v_lshrrev_b32_e32 v54, 23, v55
	s_mov_b32 s17, exec_lo
	v_add_nc_u32_e32 v52, v52, v55
	v_xor_b32_e32 v54, 1, v54
	v_and_b32_e32 v21, 0x1fffff, v52
	v_add_nc_u32_e32 v52, v21, v55
                                        ; implicit-def: $vgpr21
	v_cmpx_ne_u32_e64 v53, v54
	s_xor_b32 s17, exec_lo, s17
; %bb.6062:                             ;   in Loop: Header=BB6_5795 Depth=4
	v_cmp_lt_u32_e32 vcc_lo, 0xffffff, v52
	v_sub_nc_u32_e32 v21, v53, v54
	v_cndmask_b32_e64 v53, 0, 1, vcc_lo
	v_add_co_ci_u32_e64 v21, null, 0, v21, vcc_lo
	v_lshrrev_b32_e32 v52, v53, v52
; %bb.6063:                             ;   in Loop: Header=BB6_5795 Depth=4
	s_andn2_saveexec_b32 s17, s17
; %bb.6064:                             ;   in Loop: Header=BB6_5795 Depth=4
	v_bfe_u32 v21, v52, 23, 1
; %bb.6065:                             ;   in Loop: Header=BB6_5795 Depth=4
	s_or_b32 exec_lo, exec_lo, s17
	v_lshrrev_b32_e32 v52, 21, v52
	v_min_i32_e32 v53, 31, v21
	v_cmp_gt_i32_e32 vcc_lo, 32, v21
	v_and_b32_sdwa v51, v51, v117 dst_sel:DWORD dst_unused:UNUSED_PAD src0_sel:BYTE_3 src1_sel:DWORD
	v_lshlrev_b32_e32 v53, 2, v53
	v_cndmask_b32_e32 v52, 3, v52, vcc_lo
	v_and_b32_e32 v53, 0xfc, v53
	v_and_b32_e32 v54, 3, v52
	v_or_b32_e32 v21, v21, v52
	v_or3_b32 v51, v51, v53, v54
	v_cmp_ne_u32_e32 vcc_lo, 0, v21
	v_lshlrev_b32_e32 v51, 8, v51
	v_cndmask_b32_e32 v21, 0, v51, vcc_lo
.LBB6_6066:                             ;   in Loop: Header=BB6_5795 Depth=4
	s_or_b32 exec_lo, exec_lo, s75
.LBB6_6067:                             ;   in Loop: Header=BB6_5795 Depth=4
	s_or_b32 exec_lo, exec_lo, s74
	v_or_b32_e32 v37, v37, v26
	s_mov_b32 s17, 0
	v_cmp_gt_i16_sdwa s74, v37, v116 src0_sel:BYTE_0 src1_sel:DWORD
	s_and_saveexec_b32 s75, s74
	s_xor_b32 s74, exec_lo, s75
	s_cbranch_execz .LBB6_6385
; %bb.6068:                             ;   in Loop: Header=BB6_5795 Depth=4
	v_cmp_eq_u16_sdwa s76, v37, v117 src0_sel:BYTE_0 src1_sel:DWORD
	s_mov_b32 s17, -1
	s_and_saveexec_b32 s75, s76
; %bb.6069:                             ;   in Loop: Header=BB6_5795 Depth=4
	s_xor_b32 s17, exec_lo, -1
; %bb.6070:                             ;   in Loop: Header=BB6_5795 Depth=4
	s_or_b32 exec_lo, exec_lo, s75
	s_and_b32 s17, s17, exec_lo
	s_or_saveexec_b32 s74, s74
	v_mov_b32_e32 v26, 0x7f800001
	s_xor_b32 exec_lo, exec_lo, s74
	s_cbranch_execnz .LBB6_6386
.LBB6_6071:                             ;   in Loop: Header=BB6_5795 Depth=4
	s_or_b32 exec_lo, exec_lo, s74
	v_lshl_or_b32 v37, v37, 16, v50
	s_and_saveexec_b32 s74, s17
	s_cbranch_execz .LBB6_6073
.LBB6_6072:                             ;   in Loop: Header=BB6_5795 Depth=4
	v_bfe_u32 v26, v37, 16, 2
	v_bfe_u32 v52, v37, 18, 5
	v_lshlrev_b32_e32 v53, 8, v37
	v_ffbh_u32_e32 v50, v26
	v_cmp_eq_u32_e32 vcc_lo, 0, v52
	v_min_u32_e32 v50, 32, v50
	v_subrev_nc_u32_e32 v51, 29, v50
	v_sub_nc_u32_e32 v50, 30, v50
	v_lshlrev_b32_sdwa v51, v51, v37 dst_sel:DWORD dst_unused:UNUSED_PAD src0_sel:DWORD src1_sel:WORD_1
	v_cndmask_b32_e32 v50, v52, v50, vcc_lo
	v_and_b32_e32 v51, 3, v51
	v_lshl_add_u32 v50, v50, 23, 0x37800000
	v_cndmask_b32_e32 v26, v26, v51, vcc_lo
	v_and_b32_e32 v51, 0x80000000, v53
	v_lshlrev_b32_e32 v26, 21, v26
	v_or3_b32 v26, v51, v50, v26
.LBB6_6073:                             ;   in Loop: Header=BB6_5795 Depth=4
	s_or_b32 exec_lo, exec_lo, s74
	v_and_b32_sdwa v51, v8, v40 dst_sel:DWORD dst_unused:UNUSED_PAD src0_sel:WORD_1 src1_sel:DWORD
	s_mov_b32 s17, 0
	s_mov_b32 s74, exec_lo
	v_cmpx_lt_i16_e32 0x7f, v51
	s_xor_b32 s74, exec_lo, s74
	s_cbranch_execz .LBB6_6387
; %bb.6074:                             ;   in Loop: Header=BB6_5795 Depth=4
	s_mov_b32 s17, -1
	s_mov_b32 s75, exec_lo
	v_cmpx_eq_u16_e32 0x80, v51
; %bb.6075:                             ;   in Loop: Header=BB6_5795 Depth=4
	s_xor_b32 s17, exec_lo, -1
; %bb.6076:                             ;   in Loop: Header=BB6_5795 Depth=4
	s_or_b32 exec_lo, exec_lo, s75
	s_and_b32 s17, s17, exec_lo
                                        ; implicit-def: $vgpr51
	s_or_saveexec_b32 s74, s74
	v_mov_b32_e32 v50, 0x7f800001
	s_xor_b32 exec_lo, exec_lo, s74
	s_cbranch_execnz .LBB6_6388
.LBB6_6077:                             ;   in Loop: Header=BB6_5795 Depth=4
	s_or_b32 exec_lo, exec_lo, s74
	s_and_saveexec_b32 s74, s17
	s_cbranch_execz .LBB6_6079
.LBB6_6078:                             ;   in Loop: Header=BB6_5795 Depth=4
	v_mov_b32_e32 v50, 3
	v_bfe_u32 v53, v8, 18, 5
	v_lshlrev_b32_sdwa v54, v119, v8 dst_sel:DWORD dst_unused:UNUSED_PAD src0_sel:DWORD src1_sel:WORD_1
	v_and_b32_sdwa v50, v8, v50 dst_sel:DWORD dst_unused:UNUSED_PAD src0_sel:WORD_1 src1_sel:DWORD
	v_cmp_eq_u32_e32 vcc_lo, 0, v53
	v_ffbh_u32_e32 v51, v50
	v_min_u32_e32 v51, 32, v51
	v_subrev_nc_u32_e32 v52, 29, v51
	v_sub_nc_u32_e32 v51, 30, v51
	v_lshlrev_b32_sdwa v52, v52, v8 dst_sel:DWORD dst_unused:UNUSED_PAD src0_sel:DWORD src1_sel:WORD_1
	v_cndmask_b32_e32 v51, v53, v51, vcc_lo
	v_and_b32_e32 v52, 3, v52
	v_lshl_add_u32 v51, v51, 23, 0x37800000
	v_cndmask_b32_e32 v50, v50, v52, vcc_lo
	v_and_b32_e32 v52, 0x80000000, v54
	v_lshlrev_b32_e32 v50, 21, v50
	v_or3_b32 v50, v52, v51, v50
.LBB6_6079:                             ;   in Loop: Header=BB6_5795 Depth=4
	s_or_b32 exec_lo, exec_lo, s74
	v_add_f32_e32 v50, v26, v50
	v_and_b32_e32 v26, 0x7f800000, v50
	v_cmp_ne_u32_e32 vcc_lo, 0x7f800000, v26
	v_mov_b32_e32 v26, 0x80
	s_and_saveexec_b32 s74, vcc_lo
	s_cbranch_execz .LBB6_6087
; %bb.6080:                             ;   in Loop: Header=BB6_5795 Depth=4
	v_mov_b32_e32 v26, 0
	s_mov_b32 s75, exec_lo
	v_cmpx_ne_u32_e32 0, v50
	s_cbranch_execz .LBB6_6086
; %bb.6081:                             ;   in Loop: Header=BB6_5795 Depth=4
	v_bfe_u32 v26, v50, 23, 8
	v_and_b32_e32 v51, 0x7fffff, v50
	v_sub_nc_u32_e32 v52, 0x70, v26
	v_cmp_gt_u32_e32 vcc_lo, 0x71, v26
	v_or_b32_e32 v53, 0x800000, v51
	v_cndmask_b32_e32 v52, 0, v52, vcc_lo
	v_cmp_eq_u32_e32 vcc_lo, 0, v26
	v_add_nc_u32_e32 v26, 0xffffff91, v26
	v_cndmask_b32_e64 v52, v52, 0x6f, vcc_lo
	v_cndmask_b32_e32 v51, v53, v51, vcc_lo
	v_cndmask_b32_e64 v26, v26, 0xffffff92, vcc_lo
	v_lshl_add_u32 v53, 0x200000, v52, -1
	v_lshrrev_b32_e32 v54, v52, v51
	v_lshlrev_b32_e64 v66, v52, 0x100000
	v_add_nc_u32_e32 v52, v52, v26
	v_and_b32_e32 v51, v53, v51
	v_bfe_u32 v55, v54, 21, 1
	v_cmp_eq_u32_e64 s17, v51, v66
	v_add_nc_u32_e32 v53, -1, v55
	v_cndmask_b32_e64 v51, 0, v53, s17
	v_lshrrev_b32_e32 v53, 23, v54
	s_mov_b32 s17, exec_lo
	v_add_nc_u32_e32 v51, v51, v54
	v_xor_b32_e32 v53, 1, v53
	v_and_b32_e32 v26, 0x1fffff, v51
	v_add_nc_u32_e32 v51, v26, v54
                                        ; implicit-def: $vgpr26
	v_cmpx_ne_u32_e64 v52, v53
	s_xor_b32 s17, exec_lo, s17
; %bb.6082:                             ;   in Loop: Header=BB6_5795 Depth=4
	v_cmp_lt_u32_e32 vcc_lo, 0xffffff, v51
	v_sub_nc_u32_e32 v26, v52, v53
	v_cndmask_b32_e64 v52, 0, 1, vcc_lo
	v_add_co_ci_u32_e64 v26, null, 0, v26, vcc_lo
	v_lshrrev_b32_e32 v51, v52, v51
; %bb.6083:                             ;   in Loop: Header=BB6_5795 Depth=4
	s_andn2_saveexec_b32 s17, s17
; %bb.6084:                             ;   in Loop: Header=BB6_5795 Depth=4
	v_bfe_u32 v26, v51, 23, 1
; %bb.6085:                             ;   in Loop: Header=BB6_5795 Depth=4
	s_or_b32 exec_lo, exec_lo, s17
	v_lshrrev_b32_e32 v51, 21, v51
	v_min_i32_e32 v52, 31, v26
	v_cmp_gt_i32_e32 vcc_lo, 32, v26
	v_and_b32_sdwa v50, v50, v117 dst_sel:DWORD dst_unused:UNUSED_PAD src0_sel:BYTE_3 src1_sel:DWORD
	v_lshlrev_b32_e32 v52, 2, v52
	v_cndmask_b32_e32 v51, 3, v51, vcc_lo
	v_and_b32_e32 v52, 0xfc, v52
	v_and_b32_e32 v53, 3, v51
	v_or_b32_e32 v26, v26, v51
	v_or3_b32 v50, v52, v50, v53
	v_cmp_ne_u32_e32 vcc_lo, 0, v26
	v_cndmask_b32_e32 v26, 0, v50, vcc_lo
.LBB6_6086:                             ;   in Loop: Header=BB6_5795 Depth=4
	s_or_b32 exec_lo, exec_lo, s75
.LBB6_6087:                             ;   in Loop: Header=BB6_5795 Depth=4
	s_or_b32 exec_lo, exec_lo, s74
	v_cmp_gt_i16_sdwa s74, v37, v116 src0_sel:BYTE_3 src1_sel:DWORD
	s_mov_b32 s17, 0
	s_and_saveexec_b32 s75, s74
	s_xor_b32 s74, exec_lo, s75
	s_cbranch_execz .LBB6_6389
; %bb.6088:                             ;   in Loop: Header=BB6_5795 Depth=4
	v_cmp_eq_u16_sdwa s76, v37, v117 src0_sel:BYTE_3 src1_sel:DWORD
	s_mov_b32 s17, -1
	s_and_saveexec_b32 s75, s76
; %bb.6089:                             ;   in Loop: Header=BB6_5795 Depth=4
	s_xor_b32 s17, exec_lo, -1
; %bb.6090:                             ;   in Loop: Header=BB6_5795 Depth=4
	s_or_b32 exec_lo, exec_lo, s75
	s_and_b32 s17, s17, exec_lo
	s_or_saveexec_b32 s74, s74
	v_mov_b32_e32 v50, 0x7f800001
	s_xor_b32 exec_lo, exec_lo, s74
	s_cbranch_execnz .LBB6_6390
.LBB6_6091:                             ;   in Loop: Header=BB6_5795 Depth=4
	s_or_b32 exec_lo, exec_lo, s74
	s_and_saveexec_b32 s74, s17
	s_cbranch_execz .LBB6_6093
.LBB6_6092:                             ;   in Loop: Header=BB6_5795 Depth=4
	v_bfe_u32 v50, v37, 24, 2
	v_bfe_u32 v53, v37, 26, 5
	v_ffbh_u32_e32 v51, v50
	v_cmp_eq_u32_e32 vcc_lo, 0, v53
	v_min_u32_e32 v51, 32, v51
	v_subrev_nc_u32_e32 v52, 29, v51
	v_sub_nc_u32_e32 v51, 30, v51
	v_lshlrev_b32_sdwa v52, v52, v37 dst_sel:DWORD dst_unused:UNUSED_PAD src0_sel:DWORD src1_sel:BYTE_3
	v_cndmask_b32_e32 v51, v53, v51, vcc_lo
	v_and_b32_e32 v37, 0x80000000, v37
	v_and_b32_e32 v52, 3, v52
	v_lshl_add_u32 v51, v51, 23, 0x37800000
	v_cndmask_b32_e32 v50, v50, v52, vcc_lo
	v_lshlrev_b32_e32 v50, 21, v50
	v_or3_b32 v50, v37, v51, v50
.LBB6_6093:                             ;   in Loop: Header=BB6_5795 Depth=4
	s_or_b32 exec_lo, exec_lo, s74
	v_cmp_gt_i16_sdwa s74, v8, v116 src0_sel:BYTE_3 src1_sel:DWORD
	s_mov_b32 s17, 0
	s_and_saveexec_b32 s75, s74
	s_xor_b32 s74, exec_lo, s75
	s_cbranch_execz .LBB6_6391
; %bb.6094:                             ;   in Loop: Header=BB6_5795 Depth=4
	v_cmp_eq_u16_sdwa s76, v8, v117 src0_sel:BYTE_3 src1_sel:DWORD
	s_mov_b32 s17, -1
	s_and_saveexec_b32 s75, s76
; %bb.6095:                             ;   in Loop: Header=BB6_5795 Depth=4
	s_xor_b32 s17, exec_lo, -1
; %bb.6096:                             ;   in Loop: Header=BB6_5795 Depth=4
	s_or_b32 exec_lo, exec_lo, s75
	s_and_b32 s17, s17, exec_lo
	s_or_saveexec_b32 s74, s74
	v_mov_b32_e32 v37, 0x7f800001
	s_xor_b32 exec_lo, exec_lo, s74
	s_cbranch_execnz .LBB6_6392
.LBB6_6097:                             ;   in Loop: Header=BB6_5795 Depth=4
	s_or_b32 exec_lo, exec_lo, s74
	s_and_saveexec_b32 s74, s17
	s_cbranch_execz .LBB6_6099
.LBB6_6098:                             ;   in Loop: Header=BB6_5795 Depth=4
	v_mov_b32_e32 v37, 3
	v_bfe_u32 v53, v8, 26, 5
	v_and_b32_sdwa v37, v8, v37 dst_sel:DWORD dst_unused:UNUSED_PAD src0_sel:BYTE_3 src1_sel:DWORD
	v_cmp_eq_u32_e32 vcc_lo, 0, v53
	v_ffbh_u32_e32 v51, v37
	v_min_u32_e32 v51, 32, v51
	v_subrev_nc_u32_e32 v52, 29, v51
	v_sub_nc_u32_e32 v51, 30, v51
	v_lshlrev_b32_sdwa v52, v52, v8 dst_sel:DWORD dst_unused:UNUSED_PAD src0_sel:DWORD src1_sel:BYTE_3
	v_cndmask_b32_e32 v51, v53, v51, vcc_lo
	v_and_b32_e32 v8, 0x80000000, v8
	v_and_b32_e32 v52, 3, v52
	v_lshl_add_u32 v51, v51, 23, 0x37800000
	v_cndmask_b32_e32 v37, v37, v52, vcc_lo
	v_lshlrev_b32_e32 v37, 21, v37
	v_or3_b32 v37, v8, v51, v37
.LBB6_6099:                             ;   in Loop: Header=BB6_5795 Depth=4
	s_or_b32 exec_lo, exec_lo, s74
	v_add_f32_e32 v37, v50, v37
	v_and_b32_e32 v8, 0x7f800000, v37
	v_cmp_ne_u32_e32 vcc_lo, 0x7f800000, v8
	v_mov_b32_e32 v8, 0x8000
	s_and_saveexec_b32 s74, vcc_lo
	s_cbranch_execz .LBB6_6107
; %bb.6100:                             ;   in Loop: Header=BB6_5795 Depth=4
	v_mov_b32_e32 v8, 0
	s_mov_b32 s75, exec_lo
	v_cmpx_ne_u32_e32 0, v37
	s_cbranch_execz .LBB6_6106
; %bb.6101:                             ;   in Loop: Header=BB6_5795 Depth=4
	v_bfe_u32 v8, v37, 23, 8
	v_and_b32_e32 v50, 0x7fffff, v37
	v_sub_nc_u32_e32 v51, 0x70, v8
	v_cmp_gt_u32_e32 vcc_lo, 0x71, v8
	v_or_b32_e32 v52, 0x800000, v50
	v_cndmask_b32_e32 v51, 0, v51, vcc_lo
	v_cmp_eq_u32_e32 vcc_lo, 0, v8
	v_add_nc_u32_e32 v8, 0xffffff91, v8
	v_cndmask_b32_e64 v51, v51, 0x6f, vcc_lo
	v_cndmask_b32_e32 v50, v52, v50, vcc_lo
	v_cndmask_b32_e64 v8, v8, 0xffffff92, vcc_lo
	v_lshl_add_u32 v52, 0x200000, v51, -1
	v_lshrrev_b32_e32 v53, v51, v50
	v_lshlrev_b32_e64 v55, v51, 0x100000
	v_add_nc_u32_e32 v51, v51, v8
	v_and_b32_e32 v50, v52, v50
	v_bfe_u32 v54, v53, 21, 1
	v_cmp_eq_u32_e64 s17, v50, v55
	v_add_nc_u32_e32 v52, -1, v54
	v_cndmask_b32_e64 v50, 0, v52, s17
	v_lshrrev_b32_e32 v52, 23, v53
	s_mov_b32 s17, exec_lo
	v_add_nc_u32_e32 v50, v50, v53
	v_xor_b32_e32 v52, 1, v52
	v_and_b32_e32 v8, 0x1fffff, v50
	v_add_nc_u32_e32 v50, v8, v53
                                        ; implicit-def: $vgpr8
	v_cmpx_ne_u32_e64 v51, v52
	s_xor_b32 s17, exec_lo, s17
; %bb.6102:                             ;   in Loop: Header=BB6_5795 Depth=4
	v_cmp_lt_u32_e32 vcc_lo, 0xffffff, v50
	v_sub_nc_u32_e32 v8, v51, v52
	v_cndmask_b32_e64 v51, 0, 1, vcc_lo
	v_add_co_ci_u32_e64 v8, null, 0, v8, vcc_lo
	v_lshrrev_b32_e32 v50, v51, v50
; %bb.6103:                             ;   in Loop: Header=BB6_5795 Depth=4
	s_andn2_saveexec_b32 s17, s17
; %bb.6104:                             ;   in Loop: Header=BB6_5795 Depth=4
	v_bfe_u32 v8, v50, 23, 1
; %bb.6105:                             ;   in Loop: Header=BB6_5795 Depth=4
	s_or_b32 exec_lo, exec_lo, s17
	v_lshrrev_b32_e32 v50, 21, v50
	v_min_i32_e32 v51, 31, v8
	v_cmp_gt_i32_e32 vcc_lo, 32, v8
	v_and_b32_sdwa v37, v37, v117 dst_sel:DWORD dst_unused:UNUSED_PAD src0_sel:BYTE_3 src1_sel:DWORD
	v_lshlrev_b32_e32 v51, 2, v51
	v_cndmask_b32_e32 v50, 3, v50, vcc_lo
	v_and_b32_e32 v51, 0xfc, v51
	v_and_b32_e32 v52, 3, v50
	v_or_b32_e32 v8, v8, v50
	v_or3_b32 v37, v37, v51, v52
	v_cmp_ne_u32_e32 vcc_lo, 0, v8
	v_lshlrev_b32_e32 v37, 8, v37
	v_cndmask_b32_e32 v8, 0, v37, vcc_lo
.LBB6_6106:                             ;   in Loop: Header=BB6_5795 Depth=4
	s_or_b32 exec_lo, exec_lo, s75
.LBB6_6107:                             ;   in Loop: Header=BB6_5795 Depth=4
	s_or_b32 exec_lo, exec_lo, s74
	v_or_b32_e32 v37, v36, v30
	s_mov_b32 s17, 0
	v_cmp_gt_i16_sdwa s74, v37, v116 src0_sel:BYTE_0 src1_sel:DWORD
	s_and_saveexec_b32 s75, s74
	s_xor_b32 s74, exec_lo, s75
	s_cbranch_execz .LBB6_6393
; %bb.6108:                             ;   in Loop: Header=BB6_5795 Depth=4
	v_cmp_eq_u16_sdwa s76, v37, v117 src0_sel:BYTE_0 src1_sel:DWORD
	s_mov_b32 s17, -1
	s_and_saveexec_b32 s75, s76
; %bb.6109:                             ;   in Loop: Header=BB6_5795 Depth=4
	s_xor_b32 s17, exec_lo, -1
; %bb.6110:                             ;   in Loop: Header=BB6_5795 Depth=4
	s_or_b32 exec_lo, exec_lo, s75
	s_and_b32 s17, s17, exec_lo
	s_or_saveexec_b32 s74, s74
	v_mov_b32_e32 v30, 0x7f800001
	s_xor_b32 exec_lo, exec_lo, s74
	s_cbranch_execnz .LBB6_6394
.LBB6_6111:                             ;   in Loop: Header=BB6_5795 Depth=4
	s_or_b32 exec_lo, exec_lo, s74
	s_and_saveexec_b32 s74, s17
	s_cbranch_execz .LBB6_6113
.LBB6_6112:                             ;   in Loop: Header=BB6_5795 Depth=4
	v_and_b32_e32 v30, 3, v37
	v_bfe_u32 v51, v37, 2, 5
	v_lshlrev_b32_e32 v52, 24, v37
	v_ffbh_u32_e32 v36, v30
	v_cmp_eq_u32_e32 vcc_lo, 0, v51
	v_min_u32_e32 v36, 32, v36
	v_subrev_nc_u32_e32 v50, 29, v36
	v_sub_nc_u32_e32 v36, 30, v36
	v_lshlrev_b32_e32 v50, v50, v37
	v_cndmask_b32_e32 v36, v51, v36, vcc_lo
	v_and_b32_e32 v50, 3, v50
	v_lshl_add_u32 v36, v36, 23, 0x37800000
	v_cndmask_b32_e32 v30, v30, v50, vcc_lo
	v_and_b32_e32 v50, 0x80000000, v52
	v_lshlrev_b32_e32 v30, 21, v30
	v_or3_b32 v30, v50, v36, v30
.LBB6_6113:                             ;   in Loop: Header=BB6_5795 Depth=4
	s_or_b32 exec_lo, exec_lo, s74
	v_cmp_gt_i16_sdwa s74, v9, v116 src0_sel:BYTE_0 src1_sel:DWORD
	s_mov_b32 s17, 0
	s_and_saveexec_b32 s75, s74
	s_xor_b32 s74, exec_lo, s75
	s_cbranch_execz .LBB6_6395
; %bb.6114:                             ;   in Loop: Header=BB6_5795 Depth=4
	v_cmp_eq_u16_sdwa s76, v9, v117 src0_sel:BYTE_0 src1_sel:DWORD
	s_mov_b32 s17, -1
	s_and_saveexec_b32 s75, s76
; %bb.6115:                             ;   in Loop: Header=BB6_5795 Depth=4
	s_xor_b32 s17, exec_lo, -1
; %bb.6116:                             ;   in Loop: Header=BB6_5795 Depth=4
	s_or_b32 exec_lo, exec_lo, s75
	s_and_b32 s17, s17, exec_lo
	s_or_saveexec_b32 s74, s74
	v_mov_b32_e32 v36, 0x7f800001
	s_xor_b32 exec_lo, exec_lo, s74
	s_cbranch_execnz .LBB6_6396
.LBB6_6117:                             ;   in Loop: Header=BB6_5795 Depth=4
	s_or_b32 exec_lo, exec_lo, s74
	s_and_saveexec_b32 s74, s17
	s_cbranch_execz .LBB6_6119
.LBB6_6118:                             ;   in Loop: Header=BB6_5795 Depth=4
	v_and_b32_e32 v36, 3, v9
	v_bfe_u32 v52, v9, 2, 5
	v_lshlrev_b32_e32 v53, 24, v9
	v_ffbh_u32_e32 v50, v36
	v_cmp_eq_u32_e32 vcc_lo, 0, v52
	v_min_u32_e32 v50, 32, v50
	v_subrev_nc_u32_e32 v51, 29, v50
	v_sub_nc_u32_e32 v50, 30, v50
	v_lshlrev_b32_e32 v51, v51, v9
	v_cndmask_b32_e32 v50, v52, v50, vcc_lo
	v_and_b32_e32 v51, 3, v51
	v_lshl_add_u32 v50, v50, 23, 0x37800000
	v_cndmask_b32_e32 v36, v36, v51, vcc_lo
	v_and_b32_e32 v51, 0x80000000, v53
	v_lshlrev_b32_e32 v36, 21, v36
	v_or3_b32 v36, v51, v50, v36
.LBB6_6119:                             ;   in Loop: Header=BB6_5795 Depth=4
	s_or_b32 exec_lo, exec_lo, s74
	v_add_f32_e32 v36, v30, v36
	v_and_b32_e32 v30, 0x7f800000, v36
	v_cmp_ne_u32_e32 vcc_lo, 0x7f800000, v30
	v_mov_b32_e32 v30, 0x80
	s_and_saveexec_b32 s74, vcc_lo
	s_cbranch_execz .LBB6_6127
; %bb.6120:                             ;   in Loop: Header=BB6_5795 Depth=4
	v_mov_b32_e32 v30, 0
	s_mov_b32 s75, exec_lo
	v_cmpx_ne_u32_e32 0, v36
	s_cbranch_execz .LBB6_6126
; %bb.6121:                             ;   in Loop: Header=BB6_5795 Depth=4
	v_bfe_u32 v30, v36, 23, 8
	v_and_b32_e32 v50, 0x7fffff, v36
	v_sub_nc_u32_e32 v51, 0x70, v30
	v_cmp_gt_u32_e32 vcc_lo, 0x71, v30
	v_or_b32_e32 v52, 0x800000, v50
	v_cndmask_b32_e32 v51, 0, v51, vcc_lo
	v_cmp_eq_u32_e32 vcc_lo, 0, v30
	v_add_nc_u32_e32 v30, 0xffffff91, v30
	v_cndmask_b32_e64 v51, v51, 0x6f, vcc_lo
	v_cndmask_b32_e32 v50, v52, v50, vcc_lo
	v_cndmask_b32_e64 v30, v30, 0xffffff92, vcc_lo
	v_lshl_add_u32 v52, 0x200000, v51, -1
	v_lshrrev_b32_e32 v53, v51, v50
	v_lshlrev_b32_e64 v55, v51, 0x100000
	v_add_nc_u32_e32 v51, v51, v30
	v_and_b32_e32 v50, v52, v50
	v_bfe_u32 v54, v53, 21, 1
	v_cmp_eq_u32_e64 s17, v50, v55
	v_add_nc_u32_e32 v52, -1, v54
	v_cndmask_b32_e64 v50, 0, v52, s17
	v_lshrrev_b32_e32 v52, 23, v53
	s_mov_b32 s17, exec_lo
	v_add_nc_u32_e32 v50, v50, v53
	v_xor_b32_e32 v52, 1, v52
	v_and_b32_e32 v30, 0x1fffff, v50
	v_add_nc_u32_e32 v50, v30, v53
                                        ; implicit-def: $vgpr30
	v_cmpx_ne_u32_e64 v51, v52
	s_xor_b32 s17, exec_lo, s17
; %bb.6122:                             ;   in Loop: Header=BB6_5795 Depth=4
	v_cmp_lt_u32_e32 vcc_lo, 0xffffff, v50
	v_sub_nc_u32_e32 v30, v51, v52
	v_cndmask_b32_e64 v51, 0, 1, vcc_lo
	v_add_co_ci_u32_e64 v30, null, 0, v30, vcc_lo
	v_lshrrev_b32_e32 v50, v51, v50
; %bb.6123:                             ;   in Loop: Header=BB6_5795 Depth=4
	s_andn2_saveexec_b32 s17, s17
; %bb.6124:                             ;   in Loop: Header=BB6_5795 Depth=4
	v_bfe_u32 v30, v50, 23, 1
; %bb.6125:                             ;   in Loop: Header=BB6_5795 Depth=4
	s_or_b32 exec_lo, exec_lo, s17
	v_lshrrev_b32_e32 v50, 21, v50
	v_min_i32_e32 v51, 31, v30
	v_cmp_gt_i32_e32 vcc_lo, 32, v30
	v_and_b32_sdwa v36, v36, v117 dst_sel:DWORD dst_unused:UNUSED_PAD src0_sel:BYTE_3 src1_sel:DWORD
	v_lshlrev_b32_e32 v51, 2, v51
	v_cndmask_b32_e32 v50, 3, v50, vcc_lo
	v_and_b32_e32 v51, 0xfc, v51
	v_and_b32_e32 v52, 3, v50
	v_or_b32_e32 v30, v30, v50
	v_or3_b32 v36, v51, v36, v52
	v_cmp_ne_u32_e32 vcc_lo, 0, v30
	v_cndmask_b32_e32 v30, 0, v36, vcc_lo
.LBB6_6126:                             ;   in Loop: Header=BB6_5795 Depth=4
	s_or_b32 exec_lo, exec_lo, s75
.LBB6_6127:                             ;   in Loop: Header=BB6_5795 Depth=4
	s_or_b32 exec_lo, exec_lo, s74
	v_cmp_gt_i16_sdwa s74, v37, v116 src0_sel:BYTE_1 src1_sel:DWORD
	s_mov_b32 s17, 0
	s_and_saveexec_b32 s75, s74
	s_xor_b32 s74, exec_lo, s75
	s_cbranch_execz .LBB6_6397
; %bb.6128:                             ;   in Loop: Header=BB6_5795 Depth=4
	v_cmp_eq_u16_sdwa s76, v37, v117 src0_sel:BYTE_1 src1_sel:DWORD
	s_mov_b32 s17, -1
	s_and_saveexec_b32 s75, s76
; %bb.6129:                             ;   in Loop: Header=BB6_5795 Depth=4
	s_xor_b32 s17, exec_lo, -1
; %bb.6130:                             ;   in Loop: Header=BB6_5795 Depth=4
	s_or_b32 exec_lo, exec_lo, s75
	s_and_b32 s17, s17, exec_lo
	s_or_saveexec_b32 s74, s74
	v_mov_b32_e32 v36, 0x7f800001
	s_xor_b32 exec_lo, exec_lo, s74
	s_cbranch_execnz .LBB6_6398
.LBB6_6131:                             ;   in Loop: Header=BB6_5795 Depth=4
	s_or_b32 exec_lo, exec_lo, s74
	s_and_saveexec_b32 s74, s17
	s_cbranch_execz .LBB6_6133
.LBB6_6132:                             ;   in Loop: Header=BB6_5795 Depth=4
	v_and_b32_sdwa v36, v118, v37 dst_sel:DWORD dst_unused:UNUSED_PAD src0_sel:DWORD src1_sel:BYTE_1
	v_and_b32_e32 v50, 3, v36
	v_bfe_u32 v53, v36, 2, 5
	v_ffbh_u32_e32 v51, v50
	v_cmp_eq_u32_e32 vcc_lo, 0, v53
	v_min_u32_e32 v51, 32, v51
	v_subrev_nc_u32_e32 v52, 29, v51
	v_sub_nc_u32_e32 v51, 30, v51
	v_lshlrev_b32_e32 v36, v52, v36
	v_lshlrev_b32_sdwa v52, v119, v37 dst_sel:DWORD dst_unused:UNUSED_PAD src0_sel:DWORD src1_sel:BYTE_1
	v_cndmask_b32_e32 v51, v53, v51, vcc_lo
	v_and_b32_e32 v36, 3, v36
	v_lshl_add_u32 v51, v51, 23, 0x37800000
	v_cndmask_b32_e32 v36, v50, v36, vcc_lo
	v_and_b32_e32 v50, 0x80000000, v52
	v_lshlrev_b32_e32 v36, 21, v36
	v_or3_b32 v36, v50, v51, v36
.LBB6_6133:                             ;   in Loop: Header=BB6_5795 Depth=4
	s_or_b32 exec_lo, exec_lo, s74
	v_cmp_gt_i16_sdwa s74, v9, v116 src0_sel:BYTE_1 src1_sel:DWORD
	s_mov_b32 s17, 0
	s_and_saveexec_b32 s75, s74
	s_xor_b32 s74, exec_lo, s75
	s_cbranch_execz .LBB6_6399
; %bb.6134:                             ;   in Loop: Header=BB6_5795 Depth=4
	v_cmp_eq_u16_sdwa s76, v9, v117 src0_sel:BYTE_1 src1_sel:DWORD
	s_mov_b32 s17, -1
	s_and_saveexec_b32 s75, s76
; %bb.6135:                             ;   in Loop: Header=BB6_5795 Depth=4
	s_xor_b32 s17, exec_lo, -1
; %bb.6136:                             ;   in Loop: Header=BB6_5795 Depth=4
	s_or_b32 exec_lo, exec_lo, s75
	s_and_b32 s17, s17, exec_lo
	s_or_saveexec_b32 s74, s74
	v_mov_b32_e32 v50, 0x7f800001
	s_xor_b32 exec_lo, exec_lo, s74
	s_cbranch_execnz .LBB6_6400
.LBB6_6137:                             ;   in Loop: Header=BB6_5795 Depth=4
	s_or_b32 exec_lo, exec_lo, s74
	s_and_saveexec_b32 s74, s17
	s_cbranch_execz .LBB6_6139
.LBB6_6138:                             ;   in Loop: Header=BB6_5795 Depth=4
	v_and_b32_sdwa v50, v118, v9 dst_sel:DWORD dst_unused:UNUSED_PAD src0_sel:DWORD src1_sel:BYTE_1
	v_and_b32_e32 v51, 3, v50
	v_bfe_u32 v54, v50, 2, 5
	v_ffbh_u32_e32 v52, v51
	v_cmp_eq_u32_e32 vcc_lo, 0, v54
	v_min_u32_e32 v52, 32, v52
	v_subrev_nc_u32_e32 v53, 29, v52
	v_sub_nc_u32_e32 v52, 30, v52
	v_lshlrev_b32_e32 v50, v53, v50
	v_lshlrev_b32_sdwa v53, v119, v9 dst_sel:DWORD dst_unused:UNUSED_PAD src0_sel:DWORD src1_sel:BYTE_1
	v_cndmask_b32_e32 v52, v54, v52, vcc_lo
	v_and_b32_e32 v50, 3, v50
	v_lshl_add_u32 v52, v52, 23, 0x37800000
	v_cndmask_b32_e32 v50, v51, v50, vcc_lo
	v_and_b32_e32 v51, 0x80000000, v53
	v_lshlrev_b32_e32 v50, 21, v50
	v_or3_b32 v50, v51, v52, v50
.LBB6_6139:                             ;   in Loop: Header=BB6_5795 Depth=4
	s_or_b32 exec_lo, exec_lo, s74
	v_add_f32_e32 v50, v36, v50
	v_and_b32_e32 v36, 0x7f800000, v50
	v_cmp_ne_u32_e32 vcc_lo, 0x7f800000, v36
	v_mov_b32_e32 v36, 0x8000
	s_and_saveexec_b32 s74, vcc_lo
	s_cbranch_execz .LBB6_6147
; %bb.6140:                             ;   in Loop: Header=BB6_5795 Depth=4
	v_mov_b32_e32 v36, 0
	s_mov_b32 s75, exec_lo
	v_cmpx_ne_u32_e32 0, v50
	s_cbranch_execz .LBB6_6146
; %bb.6141:                             ;   in Loop: Header=BB6_5795 Depth=4
	v_bfe_u32 v36, v50, 23, 8
	v_and_b32_e32 v51, 0x7fffff, v50
	v_sub_nc_u32_e32 v52, 0x70, v36
	v_cmp_gt_u32_e32 vcc_lo, 0x71, v36
	v_or_b32_e32 v53, 0x800000, v51
	v_cndmask_b32_e32 v52, 0, v52, vcc_lo
	v_cmp_eq_u32_e32 vcc_lo, 0, v36
	v_add_nc_u32_e32 v36, 0xffffff91, v36
	v_cndmask_b32_e64 v52, v52, 0x6f, vcc_lo
	v_cndmask_b32_e32 v51, v53, v51, vcc_lo
	v_cndmask_b32_e64 v36, v36, 0xffffff92, vcc_lo
	v_lshl_add_u32 v53, 0x200000, v52, -1
	v_lshrrev_b32_e32 v54, v52, v51
	v_lshlrev_b32_e64 v66, v52, 0x100000
	v_add_nc_u32_e32 v52, v52, v36
	v_and_b32_e32 v51, v53, v51
	v_bfe_u32 v55, v54, 21, 1
	v_cmp_eq_u32_e64 s17, v51, v66
	v_add_nc_u32_e32 v53, -1, v55
	v_cndmask_b32_e64 v51, 0, v53, s17
	v_lshrrev_b32_e32 v53, 23, v54
	s_mov_b32 s17, exec_lo
	v_add_nc_u32_e32 v51, v51, v54
	v_xor_b32_e32 v53, 1, v53
	v_and_b32_e32 v36, 0x1fffff, v51
	v_add_nc_u32_e32 v51, v36, v54
                                        ; implicit-def: $vgpr36
	v_cmpx_ne_u32_e64 v52, v53
	s_xor_b32 s17, exec_lo, s17
; %bb.6142:                             ;   in Loop: Header=BB6_5795 Depth=4
	v_cmp_lt_u32_e32 vcc_lo, 0xffffff, v51
	v_sub_nc_u32_e32 v36, v52, v53
	v_cndmask_b32_e64 v52, 0, 1, vcc_lo
	v_add_co_ci_u32_e64 v36, null, 0, v36, vcc_lo
	v_lshrrev_b32_e32 v51, v52, v51
; %bb.6143:                             ;   in Loop: Header=BB6_5795 Depth=4
	s_andn2_saveexec_b32 s17, s17
; %bb.6144:                             ;   in Loop: Header=BB6_5795 Depth=4
	v_bfe_u32 v36, v51, 23, 1
; %bb.6145:                             ;   in Loop: Header=BB6_5795 Depth=4
	s_or_b32 exec_lo, exec_lo, s17
	v_lshrrev_b32_e32 v51, 21, v51
	v_min_i32_e32 v52, 31, v36
	v_cmp_gt_i32_e32 vcc_lo, 32, v36
	v_and_b32_sdwa v50, v50, v117 dst_sel:DWORD dst_unused:UNUSED_PAD src0_sel:BYTE_3 src1_sel:DWORD
	v_lshlrev_b32_e32 v52, 2, v52
	v_cndmask_b32_e32 v51, 3, v51, vcc_lo
	v_and_b32_e32 v52, 0xfc, v52
	v_and_b32_e32 v53, 3, v51
	v_or_b32_e32 v36, v36, v51
	v_or3_b32 v50, v50, v52, v53
	v_cmp_ne_u32_e32 vcc_lo, 0, v36
	v_lshlrev_b32_e32 v50, 8, v50
	v_cndmask_b32_e32 v36, 0, v50, vcc_lo
.LBB6_6146:                             ;   in Loop: Header=BB6_5795 Depth=4
	s_or_b32 exec_lo, exec_lo, s75
.LBB6_6147:                             ;   in Loop: Header=BB6_5795 Depth=4
	s_or_b32 exec_lo, exec_lo, s74
	v_or_b32_e32 v31, v31, v28
	s_mov_b32 s17, 0
	v_cmp_gt_i16_sdwa s74, v31, v116 src0_sel:BYTE_0 src1_sel:DWORD
	s_and_saveexec_b32 s75, s74
	s_xor_b32 s74, exec_lo, s75
	s_cbranch_execz .LBB6_6401
; %bb.6148:                             ;   in Loop: Header=BB6_5795 Depth=4
	v_cmp_eq_u16_sdwa s76, v31, v117 src0_sel:BYTE_0 src1_sel:DWORD
	s_mov_b32 s17, -1
	s_and_saveexec_b32 s75, s76
; %bb.6149:                             ;   in Loop: Header=BB6_5795 Depth=4
	s_xor_b32 s17, exec_lo, -1
; %bb.6150:                             ;   in Loop: Header=BB6_5795 Depth=4
	s_or_b32 exec_lo, exec_lo, s75
	s_and_b32 s17, s17, exec_lo
	s_or_saveexec_b32 s74, s74
	v_mov_b32_e32 v28, 0x7f800001
	s_xor_b32 exec_lo, exec_lo, s74
	s_cbranch_execnz .LBB6_6402
.LBB6_6151:                             ;   in Loop: Header=BB6_5795 Depth=4
	s_or_b32 exec_lo, exec_lo, s74
	v_lshl_or_b32 v31, v31, 16, v37
	s_and_saveexec_b32 s74, s17
	s_cbranch_execz .LBB6_6153
.LBB6_6152:                             ;   in Loop: Header=BB6_5795 Depth=4
	v_bfe_u32 v28, v31, 16, 2
	v_bfe_u32 v51, v31, 18, 5
	v_lshlrev_b32_e32 v52, 8, v31
	v_ffbh_u32_e32 v37, v28
	v_cmp_eq_u32_e32 vcc_lo, 0, v51
	v_min_u32_e32 v37, 32, v37
	v_subrev_nc_u32_e32 v50, 29, v37
	v_sub_nc_u32_e32 v37, 30, v37
	v_lshlrev_b32_sdwa v50, v50, v31 dst_sel:DWORD dst_unused:UNUSED_PAD src0_sel:DWORD src1_sel:WORD_1
	v_cndmask_b32_e32 v37, v51, v37, vcc_lo
	v_and_b32_e32 v50, 3, v50
	v_lshl_add_u32 v37, v37, 23, 0x37800000
	v_cndmask_b32_e32 v28, v28, v50, vcc_lo
	v_and_b32_e32 v50, 0x80000000, v52
	v_lshlrev_b32_e32 v28, 21, v28
	v_or3_b32 v28, v50, v37, v28
.LBB6_6153:                             ;   in Loop: Header=BB6_5795 Depth=4
	s_or_b32 exec_lo, exec_lo, s74
	v_and_b32_sdwa v50, v9, v40 dst_sel:DWORD dst_unused:UNUSED_PAD src0_sel:WORD_1 src1_sel:DWORD
	s_mov_b32 s17, 0
	s_mov_b32 s74, exec_lo
	v_cmpx_lt_i16_e32 0x7f, v50
	s_xor_b32 s74, exec_lo, s74
	s_cbranch_execz .LBB6_6403
; %bb.6154:                             ;   in Loop: Header=BB6_5795 Depth=4
	s_mov_b32 s17, -1
	s_mov_b32 s75, exec_lo
	v_cmpx_eq_u16_e32 0x80, v50
; %bb.6155:                             ;   in Loop: Header=BB6_5795 Depth=4
	s_xor_b32 s17, exec_lo, -1
; %bb.6156:                             ;   in Loop: Header=BB6_5795 Depth=4
	s_or_b32 exec_lo, exec_lo, s75
	s_and_b32 s17, s17, exec_lo
                                        ; implicit-def: $vgpr50
	s_or_saveexec_b32 s74, s74
	v_mov_b32_e32 v37, 0x7f800001
	s_xor_b32 exec_lo, exec_lo, s74
	s_cbranch_execnz .LBB6_6404
.LBB6_6157:                             ;   in Loop: Header=BB6_5795 Depth=4
	s_or_b32 exec_lo, exec_lo, s74
	s_and_saveexec_b32 s74, s17
	s_cbranch_execz .LBB6_6159
.LBB6_6158:                             ;   in Loop: Header=BB6_5795 Depth=4
	v_mov_b32_e32 v37, 3
	v_bfe_u32 v52, v9, 18, 5
	v_lshlrev_b32_sdwa v53, v119, v9 dst_sel:DWORD dst_unused:UNUSED_PAD src0_sel:DWORD src1_sel:WORD_1
	v_and_b32_sdwa v37, v9, v37 dst_sel:DWORD dst_unused:UNUSED_PAD src0_sel:WORD_1 src1_sel:DWORD
	v_cmp_eq_u32_e32 vcc_lo, 0, v52
	v_ffbh_u32_e32 v50, v37
	v_min_u32_e32 v50, 32, v50
	v_subrev_nc_u32_e32 v51, 29, v50
	v_sub_nc_u32_e32 v50, 30, v50
	v_lshlrev_b32_sdwa v51, v51, v9 dst_sel:DWORD dst_unused:UNUSED_PAD src0_sel:DWORD src1_sel:WORD_1
	v_cndmask_b32_e32 v50, v52, v50, vcc_lo
	v_and_b32_e32 v51, 3, v51
	v_lshl_add_u32 v50, v50, 23, 0x37800000
	v_cndmask_b32_e32 v37, v37, v51, vcc_lo
	v_and_b32_e32 v51, 0x80000000, v53
	v_lshlrev_b32_e32 v37, 21, v37
	v_or3_b32 v37, v51, v50, v37
.LBB6_6159:                             ;   in Loop: Header=BB6_5795 Depth=4
	s_or_b32 exec_lo, exec_lo, s74
	v_add_f32_e32 v37, v28, v37
	v_and_b32_e32 v28, 0x7f800000, v37
	v_cmp_ne_u32_e32 vcc_lo, 0x7f800000, v28
	v_mov_b32_e32 v28, 0x80
	s_and_saveexec_b32 s74, vcc_lo
	s_cbranch_execz .LBB6_6167
; %bb.6160:                             ;   in Loop: Header=BB6_5795 Depth=4
	v_mov_b32_e32 v28, 0
	s_mov_b32 s75, exec_lo
	v_cmpx_ne_u32_e32 0, v37
	s_cbranch_execz .LBB6_6166
; %bb.6161:                             ;   in Loop: Header=BB6_5795 Depth=4
	v_bfe_u32 v28, v37, 23, 8
	v_and_b32_e32 v50, 0x7fffff, v37
	v_sub_nc_u32_e32 v51, 0x70, v28
	v_cmp_gt_u32_e32 vcc_lo, 0x71, v28
	v_or_b32_e32 v52, 0x800000, v50
	v_cndmask_b32_e32 v51, 0, v51, vcc_lo
	v_cmp_eq_u32_e32 vcc_lo, 0, v28
	v_add_nc_u32_e32 v28, 0xffffff91, v28
	v_cndmask_b32_e64 v51, v51, 0x6f, vcc_lo
	v_cndmask_b32_e32 v50, v52, v50, vcc_lo
	v_cndmask_b32_e64 v28, v28, 0xffffff92, vcc_lo
	v_lshl_add_u32 v52, 0x200000, v51, -1
	v_lshrrev_b32_e32 v53, v51, v50
	v_lshlrev_b32_e64 v55, v51, 0x100000
	v_add_nc_u32_e32 v51, v51, v28
	v_and_b32_e32 v50, v52, v50
	v_bfe_u32 v54, v53, 21, 1
	v_cmp_eq_u32_e64 s17, v50, v55
	v_add_nc_u32_e32 v52, -1, v54
	v_cndmask_b32_e64 v50, 0, v52, s17
	v_lshrrev_b32_e32 v52, 23, v53
	s_mov_b32 s17, exec_lo
	v_add_nc_u32_e32 v50, v50, v53
	v_xor_b32_e32 v52, 1, v52
	v_and_b32_e32 v28, 0x1fffff, v50
	v_add_nc_u32_e32 v50, v28, v53
                                        ; implicit-def: $vgpr28
	v_cmpx_ne_u32_e64 v51, v52
	s_xor_b32 s17, exec_lo, s17
; %bb.6162:                             ;   in Loop: Header=BB6_5795 Depth=4
	v_cmp_lt_u32_e32 vcc_lo, 0xffffff, v50
	v_sub_nc_u32_e32 v28, v51, v52
	v_cndmask_b32_e64 v51, 0, 1, vcc_lo
	v_add_co_ci_u32_e64 v28, null, 0, v28, vcc_lo
	v_lshrrev_b32_e32 v50, v51, v50
; %bb.6163:                             ;   in Loop: Header=BB6_5795 Depth=4
	s_andn2_saveexec_b32 s17, s17
; %bb.6164:                             ;   in Loop: Header=BB6_5795 Depth=4
	v_bfe_u32 v28, v50, 23, 1
; %bb.6165:                             ;   in Loop: Header=BB6_5795 Depth=4
	s_or_b32 exec_lo, exec_lo, s17
	v_lshrrev_b32_e32 v50, 21, v50
	v_min_i32_e32 v51, 31, v28
	v_cmp_gt_i32_e32 vcc_lo, 32, v28
	v_and_b32_sdwa v37, v37, v117 dst_sel:DWORD dst_unused:UNUSED_PAD src0_sel:BYTE_3 src1_sel:DWORD
	v_lshlrev_b32_e32 v51, 2, v51
	v_cndmask_b32_e32 v50, 3, v50, vcc_lo
	v_and_b32_e32 v51, 0xfc, v51
	v_and_b32_e32 v52, 3, v50
	v_or_b32_e32 v28, v28, v50
	v_or3_b32 v37, v51, v37, v52
	v_cmp_ne_u32_e32 vcc_lo, 0, v28
	v_cndmask_b32_e32 v28, 0, v37, vcc_lo
.LBB6_6166:                             ;   in Loop: Header=BB6_5795 Depth=4
	s_or_b32 exec_lo, exec_lo, s75
.LBB6_6167:                             ;   in Loop: Header=BB6_5795 Depth=4
	s_or_b32 exec_lo, exec_lo, s74
	v_cmp_gt_i16_sdwa s74, v31, v116 src0_sel:BYTE_3 src1_sel:DWORD
	s_mov_b32 s17, 0
	s_and_saveexec_b32 s75, s74
	s_xor_b32 s74, exec_lo, s75
	s_cbranch_execz .LBB6_6405
; %bb.6168:                             ;   in Loop: Header=BB6_5795 Depth=4
	v_cmp_eq_u16_sdwa s76, v31, v117 src0_sel:BYTE_3 src1_sel:DWORD
	s_mov_b32 s17, -1
	s_and_saveexec_b32 s75, s76
; %bb.6169:                             ;   in Loop: Header=BB6_5795 Depth=4
	s_xor_b32 s17, exec_lo, -1
; %bb.6170:                             ;   in Loop: Header=BB6_5795 Depth=4
	s_or_b32 exec_lo, exec_lo, s75
	s_and_b32 s17, s17, exec_lo
	s_or_saveexec_b32 s74, s74
	v_mov_b32_e32 v37, 0x7f800001
	s_xor_b32 exec_lo, exec_lo, s74
	s_cbranch_execnz .LBB6_6406
.LBB6_6171:                             ;   in Loop: Header=BB6_5795 Depth=4
	s_or_b32 exec_lo, exec_lo, s74
	s_and_saveexec_b32 s74, s17
	s_cbranch_execz .LBB6_6173
.LBB6_6172:                             ;   in Loop: Header=BB6_5795 Depth=4
	v_bfe_u32 v37, v31, 24, 2
	v_bfe_u32 v52, v31, 26, 5
	v_ffbh_u32_e32 v50, v37
	v_cmp_eq_u32_e32 vcc_lo, 0, v52
	v_min_u32_e32 v50, 32, v50
	v_subrev_nc_u32_e32 v51, 29, v50
	v_sub_nc_u32_e32 v50, 30, v50
	v_lshlrev_b32_sdwa v51, v51, v31 dst_sel:DWORD dst_unused:UNUSED_PAD src0_sel:DWORD src1_sel:BYTE_3
	v_cndmask_b32_e32 v50, v52, v50, vcc_lo
	v_and_b32_e32 v31, 0x80000000, v31
	v_and_b32_e32 v51, 3, v51
	v_lshl_add_u32 v50, v50, 23, 0x37800000
	v_cndmask_b32_e32 v37, v37, v51, vcc_lo
	v_lshlrev_b32_e32 v37, 21, v37
	v_or3_b32 v37, v31, v50, v37
.LBB6_6173:                             ;   in Loop: Header=BB6_5795 Depth=4
	s_or_b32 exec_lo, exec_lo, s74
	v_cmp_gt_i16_sdwa s74, v9, v116 src0_sel:BYTE_3 src1_sel:DWORD
	s_mov_b32 s17, 0
	s_and_saveexec_b32 s75, s74
	s_xor_b32 s74, exec_lo, s75
	s_cbranch_execz .LBB6_6407
; %bb.6174:                             ;   in Loop: Header=BB6_5795 Depth=4
	v_cmp_eq_u16_sdwa s76, v9, v117 src0_sel:BYTE_3 src1_sel:DWORD
	s_mov_b32 s17, -1
	s_and_saveexec_b32 s75, s76
; %bb.6175:                             ;   in Loop: Header=BB6_5795 Depth=4
	s_xor_b32 s17, exec_lo, -1
; %bb.6176:                             ;   in Loop: Header=BB6_5795 Depth=4
	s_or_b32 exec_lo, exec_lo, s75
	s_and_b32 s17, s17, exec_lo
	s_or_saveexec_b32 s74, s74
	v_mov_b32_e32 v31, 0x7f800001
	s_xor_b32 exec_lo, exec_lo, s74
	s_cbranch_execnz .LBB6_6408
.LBB6_6177:                             ;   in Loop: Header=BB6_5795 Depth=4
	s_or_b32 exec_lo, exec_lo, s74
	s_and_saveexec_b32 s74, s17
	s_cbranch_execz .LBB6_6179
.LBB6_6178:                             ;   in Loop: Header=BB6_5795 Depth=4
	v_mov_b32_e32 v31, 3
	v_bfe_u32 v52, v9, 26, 5
	v_and_b32_sdwa v31, v9, v31 dst_sel:DWORD dst_unused:UNUSED_PAD src0_sel:BYTE_3 src1_sel:DWORD
	v_cmp_eq_u32_e32 vcc_lo, 0, v52
	v_ffbh_u32_e32 v50, v31
	v_min_u32_e32 v50, 32, v50
	v_subrev_nc_u32_e32 v51, 29, v50
	v_sub_nc_u32_e32 v50, 30, v50
	v_lshlrev_b32_sdwa v51, v51, v9 dst_sel:DWORD dst_unused:UNUSED_PAD src0_sel:DWORD src1_sel:BYTE_3
	v_cndmask_b32_e32 v50, v52, v50, vcc_lo
	v_and_b32_e32 v9, 0x80000000, v9
	v_and_b32_e32 v51, 3, v51
	v_lshl_add_u32 v50, v50, 23, 0x37800000
	v_cndmask_b32_e32 v31, v31, v51, vcc_lo
	v_lshlrev_b32_e32 v31, 21, v31
	v_or3_b32 v31, v9, v50, v31
.LBB6_6179:                             ;   in Loop: Header=BB6_5795 Depth=4
	s_or_b32 exec_lo, exec_lo, s74
	v_add_f32_e32 v31, v37, v31
	v_and_b32_e32 v9, 0x7f800000, v31
	v_cmp_ne_u32_e32 vcc_lo, 0x7f800000, v9
	v_mov_b32_e32 v9, 0x8000
	s_and_saveexec_b32 s74, vcc_lo
	s_cbranch_execz .LBB6_6187
; %bb.6180:                             ;   in Loop: Header=BB6_5795 Depth=4
	v_mov_b32_e32 v9, 0
	s_mov_b32 s75, exec_lo
	v_cmpx_ne_u32_e32 0, v31
	s_cbranch_execz .LBB6_6186
; %bb.6181:                             ;   in Loop: Header=BB6_5795 Depth=4
	v_bfe_u32 v9, v31, 23, 8
	v_and_b32_e32 v37, 0x7fffff, v31
	v_sub_nc_u32_e32 v50, 0x70, v9
	v_cmp_gt_u32_e32 vcc_lo, 0x71, v9
	v_or_b32_e32 v51, 0x800000, v37
	v_cndmask_b32_e32 v50, 0, v50, vcc_lo
	v_cmp_eq_u32_e32 vcc_lo, 0, v9
	v_add_nc_u32_e32 v9, 0xffffff91, v9
	v_cndmask_b32_e64 v50, v50, 0x6f, vcc_lo
	v_cndmask_b32_e32 v37, v51, v37, vcc_lo
	v_cndmask_b32_e64 v9, v9, 0xffffff92, vcc_lo
	v_lshl_add_u32 v51, 0x200000, v50, -1
	v_lshrrev_b32_e32 v52, v50, v37
	v_lshlrev_b32_e64 v54, v50, 0x100000
	v_add_nc_u32_e32 v50, v50, v9
	v_and_b32_e32 v37, v51, v37
	v_bfe_u32 v53, v52, 21, 1
	v_cmp_eq_u32_e64 s17, v37, v54
	v_add_nc_u32_e32 v51, -1, v53
	v_cndmask_b32_e64 v37, 0, v51, s17
	v_lshrrev_b32_e32 v51, 23, v52
	s_mov_b32 s17, exec_lo
	v_add_nc_u32_e32 v37, v37, v52
	v_xor_b32_e32 v51, 1, v51
	v_and_b32_e32 v9, 0x1fffff, v37
	v_add_nc_u32_e32 v37, v9, v52
                                        ; implicit-def: $vgpr9
	v_cmpx_ne_u32_e64 v50, v51
	s_xor_b32 s17, exec_lo, s17
; %bb.6182:                             ;   in Loop: Header=BB6_5795 Depth=4
	v_cmp_lt_u32_e32 vcc_lo, 0xffffff, v37
	v_sub_nc_u32_e32 v9, v50, v51
	v_cndmask_b32_e64 v50, 0, 1, vcc_lo
	v_add_co_ci_u32_e64 v9, null, 0, v9, vcc_lo
	v_lshrrev_b32_e32 v37, v50, v37
; %bb.6183:                             ;   in Loop: Header=BB6_5795 Depth=4
	s_andn2_saveexec_b32 s17, s17
; %bb.6184:                             ;   in Loop: Header=BB6_5795 Depth=4
	v_bfe_u32 v9, v37, 23, 1
; %bb.6185:                             ;   in Loop: Header=BB6_5795 Depth=4
	s_or_b32 exec_lo, exec_lo, s17
	v_lshrrev_b32_e32 v37, 21, v37
	v_min_i32_e32 v50, 31, v9
	v_cmp_gt_i32_e32 vcc_lo, 32, v9
	v_and_b32_sdwa v31, v31, v117 dst_sel:DWORD dst_unused:UNUSED_PAD src0_sel:BYTE_3 src1_sel:DWORD
	v_lshlrev_b32_e32 v50, 2, v50
	v_cndmask_b32_e32 v37, 3, v37, vcc_lo
	v_and_b32_e32 v50, 0xfc, v50
	v_and_b32_e32 v51, 3, v37
	v_or_b32_e32 v9, v9, v37
	v_or3_b32 v31, v31, v50, v51
	v_cmp_ne_u32_e32 vcc_lo, 0, v9
	v_lshlrev_b32_e32 v31, 8, v31
	v_cndmask_b32_e32 v9, 0, v31, vcc_lo
.LBB6_6186:                             ;   in Loop: Header=BB6_5795 Depth=4
	s_or_b32 exec_lo, exec_lo, s75
.LBB6_6187:                             ;   in Loop: Header=BB6_5795 Depth=4
	s_or_b32 exec_lo, exec_lo, s74
	v_or_b32_e32 v31, v29, v25
	s_mov_b32 s17, 0
	v_cmp_gt_i16_sdwa s74, v31, v116 src0_sel:BYTE_0 src1_sel:DWORD
	s_and_saveexec_b32 s75, s74
	s_xor_b32 s74, exec_lo, s75
	s_cbranch_execz .LBB6_6409
; %bb.6188:                             ;   in Loop: Header=BB6_5795 Depth=4
	v_cmp_eq_u16_sdwa s76, v31, v117 src0_sel:BYTE_0 src1_sel:DWORD
	s_mov_b32 s17, -1
	s_and_saveexec_b32 s75, s76
; %bb.6189:                             ;   in Loop: Header=BB6_5795 Depth=4
	s_xor_b32 s17, exec_lo, -1
; %bb.6190:                             ;   in Loop: Header=BB6_5795 Depth=4
	s_or_b32 exec_lo, exec_lo, s75
	s_and_b32 s17, s17, exec_lo
	s_or_saveexec_b32 s74, s74
	v_mov_b32_e32 v25, 0x7f800001
	s_xor_b32 exec_lo, exec_lo, s74
	s_cbranch_execnz .LBB6_6410
.LBB6_6191:                             ;   in Loop: Header=BB6_5795 Depth=4
	s_or_b32 exec_lo, exec_lo, s74
	s_and_saveexec_b32 s74, s17
	s_cbranch_execz .LBB6_6193
.LBB6_6192:                             ;   in Loop: Header=BB6_5795 Depth=4
	v_and_b32_e32 v25, 3, v31
	v_bfe_u32 v50, v31, 2, 5
	v_lshlrev_b32_e32 v51, 24, v31
	v_ffbh_u32_e32 v29, v25
	v_cmp_eq_u32_e32 vcc_lo, 0, v50
	v_min_u32_e32 v29, 32, v29
	v_subrev_nc_u32_e32 v37, 29, v29
	v_sub_nc_u32_e32 v29, 30, v29
	v_lshlrev_b32_e32 v37, v37, v31
	v_cndmask_b32_e32 v29, v50, v29, vcc_lo
	v_and_b32_e32 v37, 3, v37
	v_lshl_add_u32 v29, v29, 23, 0x37800000
	v_cndmask_b32_e32 v25, v25, v37, vcc_lo
	v_and_b32_e32 v37, 0x80000000, v51
	v_lshlrev_b32_e32 v25, 21, v25
	v_or3_b32 v25, v37, v29, v25
.LBB6_6193:                             ;   in Loop: Header=BB6_5795 Depth=4
	s_or_b32 exec_lo, exec_lo, s74
	v_cmp_gt_i16_sdwa s74, v10, v116 src0_sel:BYTE_0 src1_sel:DWORD
	s_mov_b32 s17, 0
	s_and_saveexec_b32 s75, s74
	s_xor_b32 s74, exec_lo, s75
	s_cbranch_execz .LBB6_6411
; %bb.6194:                             ;   in Loop: Header=BB6_5795 Depth=4
	v_cmp_eq_u16_sdwa s76, v10, v117 src0_sel:BYTE_0 src1_sel:DWORD
	s_mov_b32 s17, -1
	s_and_saveexec_b32 s75, s76
; %bb.6195:                             ;   in Loop: Header=BB6_5795 Depth=4
	s_xor_b32 s17, exec_lo, -1
; %bb.6196:                             ;   in Loop: Header=BB6_5795 Depth=4
	s_or_b32 exec_lo, exec_lo, s75
	s_and_b32 s17, s17, exec_lo
	s_or_saveexec_b32 s74, s74
	v_mov_b32_e32 v29, 0x7f800001
	s_xor_b32 exec_lo, exec_lo, s74
	s_cbranch_execnz .LBB6_6412
.LBB6_6197:                             ;   in Loop: Header=BB6_5795 Depth=4
	s_or_b32 exec_lo, exec_lo, s74
	s_and_saveexec_b32 s74, s17
	s_cbranch_execz .LBB6_6199
.LBB6_6198:                             ;   in Loop: Header=BB6_5795 Depth=4
	v_and_b32_e32 v29, 3, v10
	v_bfe_u32 v51, v10, 2, 5
	v_lshlrev_b32_e32 v52, 24, v10
	v_ffbh_u32_e32 v37, v29
	v_cmp_eq_u32_e32 vcc_lo, 0, v51
	v_min_u32_e32 v37, 32, v37
	v_subrev_nc_u32_e32 v50, 29, v37
	v_sub_nc_u32_e32 v37, 30, v37
	v_lshlrev_b32_e32 v50, v50, v10
	v_cndmask_b32_e32 v37, v51, v37, vcc_lo
	v_and_b32_e32 v50, 3, v50
	v_lshl_add_u32 v37, v37, 23, 0x37800000
	v_cndmask_b32_e32 v29, v29, v50, vcc_lo
	v_and_b32_e32 v50, 0x80000000, v52
	v_lshlrev_b32_e32 v29, 21, v29
	v_or3_b32 v29, v50, v37, v29
.LBB6_6199:                             ;   in Loop: Header=BB6_5795 Depth=4
	s_or_b32 exec_lo, exec_lo, s74
	v_add_f32_e32 v29, v25, v29
	v_and_b32_e32 v25, 0x7f800000, v29
	v_cmp_ne_u32_e32 vcc_lo, 0x7f800000, v25
	v_mov_b32_e32 v25, 0x80
	s_and_saveexec_b32 s74, vcc_lo
	s_cbranch_execz .LBB6_6207
; %bb.6200:                             ;   in Loop: Header=BB6_5795 Depth=4
	v_mov_b32_e32 v25, 0
	s_mov_b32 s75, exec_lo
	v_cmpx_ne_u32_e32 0, v29
	s_cbranch_execz .LBB6_6206
; %bb.6201:                             ;   in Loop: Header=BB6_5795 Depth=4
	v_bfe_u32 v25, v29, 23, 8
	v_and_b32_e32 v37, 0x7fffff, v29
	v_sub_nc_u32_e32 v50, 0x70, v25
	v_cmp_gt_u32_e32 vcc_lo, 0x71, v25
	v_or_b32_e32 v51, 0x800000, v37
	v_cndmask_b32_e32 v50, 0, v50, vcc_lo
	v_cmp_eq_u32_e32 vcc_lo, 0, v25
	v_add_nc_u32_e32 v25, 0xffffff91, v25
	v_cndmask_b32_e64 v50, v50, 0x6f, vcc_lo
	v_cndmask_b32_e32 v37, v51, v37, vcc_lo
	v_cndmask_b32_e64 v25, v25, 0xffffff92, vcc_lo
	v_lshl_add_u32 v51, 0x200000, v50, -1
	v_lshrrev_b32_e32 v52, v50, v37
	v_lshlrev_b32_e64 v54, v50, 0x100000
	v_add_nc_u32_e32 v50, v50, v25
	v_and_b32_e32 v37, v51, v37
	v_bfe_u32 v53, v52, 21, 1
	v_cmp_eq_u32_e64 s17, v37, v54
	v_add_nc_u32_e32 v51, -1, v53
	v_cndmask_b32_e64 v37, 0, v51, s17
	v_lshrrev_b32_e32 v51, 23, v52
	s_mov_b32 s17, exec_lo
	v_add_nc_u32_e32 v37, v37, v52
	v_xor_b32_e32 v51, 1, v51
	v_and_b32_e32 v25, 0x1fffff, v37
	v_add_nc_u32_e32 v37, v25, v52
                                        ; implicit-def: $vgpr25
	v_cmpx_ne_u32_e64 v50, v51
	s_xor_b32 s17, exec_lo, s17
; %bb.6202:                             ;   in Loop: Header=BB6_5795 Depth=4
	v_cmp_lt_u32_e32 vcc_lo, 0xffffff, v37
	v_sub_nc_u32_e32 v25, v50, v51
	v_cndmask_b32_e64 v50, 0, 1, vcc_lo
	v_add_co_ci_u32_e64 v25, null, 0, v25, vcc_lo
	v_lshrrev_b32_e32 v37, v50, v37
; %bb.6203:                             ;   in Loop: Header=BB6_5795 Depth=4
	s_andn2_saveexec_b32 s17, s17
; %bb.6204:                             ;   in Loop: Header=BB6_5795 Depth=4
	v_bfe_u32 v25, v37, 23, 1
; %bb.6205:                             ;   in Loop: Header=BB6_5795 Depth=4
	s_or_b32 exec_lo, exec_lo, s17
	v_lshrrev_b32_e32 v37, 21, v37
	v_min_i32_e32 v50, 31, v25
	v_cmp_gt_i32_e32 vcc_lo, 32, v25
	v_and_b32_sdwa v29, v29, v117 dst_sel:DWORD dst_unused:UNUSED_PAD src0_sel:BYTE_3 src1_sel:DWORD
	v_lshlrev_b32_e32 v50, 2, v50
	v_cndmask_b32_e32 v37, 3, v37, vcc_lo
	v_and_b32_e32 v50, 0xfc, v50
	v_and_b32_e32 v51, 3, v37
	v_or_b32_e32 v25, v25, v37
	v_or3_b32 v29, v50, v29, v51
	v_cmp_ne_u32_e32 vcc_lo, 0, v25
	v_cndmask_b32_e32 v25, 0, v29, vcc_lo
.LBB6_6206:                             ;   in Loop: Header=BB6_5795 Depth=4
	s_or_b32 exec_lo, exec_lo, s75
.LBB6_6207:                             ;   in Loop: Header=BB6_5795 Depth=4
	s_or_b32 exec_lo, exec_lo, s74
	v_cmp_gt_i16_sdwa s74, v31, v116 src0_sel:BYTE_1 src1_sel:DWORD
	s_mov_b32 s17, 0
	s_and_saveexec_b32 s75, s74
	s_xor_b32 s74, exec_lo, s75
	s_cbranch_execz .LBB6_6413
; %bb.6208:                             ;   in Loop: Header=BB6_5795 Depth=4
	v_cmp_eq_u16_sdwa s76, v31, v117 src0_sel:BYTE_1 src1_sel:DWORD
	s_mov_b32 s17, -1
	s_and_saveexec_b32 s75, s76
; %bb.6209:                             ;   in Loop: Header=BB6_5795 Depth=4
	s_xor_b32 s17, exec_lo, -1
; %bb.6210:                             ;   in Loop: Header=BB6_5795 Depth=4
	s_or_b32 exec_lo, exec_lo, s75
	s_and_b32 s17, s17, exec_lo
	s_or_saveexec_b32 s74, s74
	v_mov_b32_e32 v29, 0x7f800001
	s_xor_b32 exec_lo, exec_lo, s74
	s_cbranch_execnz .LBB6_6414
.LBB6_6211:                             ;   in Loop: Header=BB6_5795 Depth=4
	s_or_b32 exec_lo, exec_lo, s74
	s_and_saveexec_b32 s74, s17
	s_cbranch_execz .LBB6_6213
.LBB6_6212:                             ;   in Loop: Header=BB6_5795 Depth=4
	v_and_b32_sdwa v29, v118, v31 dst_sel:DWORD dst_unused:UNUSED_PAD src0_sel:DWORD src1_sel:BYTE_1
	v_and_b32_e32 v37, 3, v29
	v_bfe_u32 v52, v29, 2, 5
	v_ffbh_u32_e32 v50, v37
	v_cmp_eq_u32_e32 vcc_lo, 0, v52
	v_min_u32_e32 v50, 32, v50
	v_subrev_nc_u32_e32 v51, 29, v50
	v_sub_nc_u32_e32 v50, 30, v50
	v_lshlrev_b32_e32 v29, v51, v29
	v_lshlrev_b32_sdwa v51, v119, v31 dst_sel:DWORD dst_unused:UNUSED_PAD src0_sel:DWORD src1_sel:BYTE_1
	v_cndmask_b32_e32 v50, v52, v50, vcc_lo
	v_and_b32_e32 v29, 3, v29
	v_lshl_add_u32 v50, v50, 23, 0x37800000
	v_cndmask_b32_e32 v29, v37, v29, vcc_lo
	v_and_b32_e32 v37, 0x80000000, v51
	v_lshlrev_b32_e32 v29, 21, v29
	v_or3_b32 v29, v37, v50, v29
.LBB6_6213:                             ;   in Loop: Header=BB6_5795 Depth=4
	s_or_b32 exec_lo, exec_lo, s74
	v_cmp_gt_i16_sdwa s74, v10, v116 src0_sel:BYTE_1 src1_sel:DWORD
	s_mov_b32 s17, 0
	s_and_saveexec_b32 s75, s74
	s_xor_b32 s74, exec_lo, s75
	s_cbranch_execz .LBB6_6415
; %bb.6214:                             ;   in Loop: Header=BB6_5795 Depth=4
	v_cmp_eq_u16_sdwa s76, v10, v117 src0_sel:BYTE_1 src1_sel:DWORD
	s_mov_b32 s17, -1
	s_and_saveexec_b32 s75, s76
; %bb.6215:                             ;   in Loop: Header=BB6_5795 Depth=4
	s_xor_b32 s17, exec_lo, -1
; %bb.6216:                             ;   in Loop: Header=BB6_5795 Depth=4
	s_or_b32 exec_lo, exec_lo, s75
	s_and_b32 s17, s17, exec_lo
	s_or_saveexec_b32 s74, s74
	v_mov_b32_e32 v37, 0x7f800001
	s_xor_b32 exec_lo, exec_lo, s74
	s_cbranch_execnz .LBB6_6416
.LBB6_6217:                             ;   in Loop: Header=BB6_5795 Depth=4
	s_or_b32 exec_lo, exec_lo, s74
	s_and_saveexec_b32 s74, s17
	s_cbranch_execz .LBB6_6219
.LBB6_6218:                             ;   in Loop: Header=BB6_5795 Depth=4
	v_and_b32_sdwa v37, v118, v10 dst_sel:DWORD dst_unused:UNUSED_PAD src0_sel:DWORD src1_sel:BYTE_1
	v_and_b32_e32 v50, 3, v37
	v_bfe_u32 v53, v37, 2, 5
	v_ffbh_u32_e32 v51, v50
	v_cmp_eq_u32_e32 vcc_lo, 0, v53
	v_min_u32_e32 v51, 32, v51
	v_subrev_nc_u32_e32 v52, 29, v51
	v_sub_nc_u32_e32 v51, 30, v51
	v_lshlrev_b32_e32 v37, v52, v37
	v_lshlrev_b32_sdwa v52, v119, v10 dst_sel:DWORD dst_unused:UNUSED_PAD src0_sel:DWORD src1_sel:BYTE_1
	v_cndmask_b32_e32 v51, v53, v51, vcc_lo
	v_and_b32_e32 v37, 3, v37
	v_lshl_add_u32 v51, v51, 23, 0x37800000
	v_cndmask_b32_e32 v37, v50, v37, vcc_lo
	v_and_b32_e32 v50, 0x80000000, v52
	v_lshlrev_b32_e32 v37, 21, v37
	v_or3_b32 v37, v50, v51, v37
.LBB6_6219:                             ;   in Loop: Header=BB6_5795 Depth=4
	s_or_b32 exec_lo, exec_lo, s74
	v_add_f32_e32 v37, v29, v37
	v_and_b32_e32 v29, 0x7f800000, v37
	v_cmp_ne_u32_e32 vcc_lo, 0x7f800000, v29
	v_mov_b32_e32 v29, 0x8000
	s_and_saveexec_b32 s74, vcc_lo
	s_cbranch_execz .LBB6_6227
; %bb.6220:                             ;   in Loop: Header=BB6_5795 Depth=4
	v_mov_b32_e32 v29, 0
	s_mov_b32 s75, exec_lo
	v_cmpx_ne_u32_e32 0, v37
	s_cbranch_execz .LBB6_6226
; %bb.6221:                             ;   in Loop: Header=BB6_5795 Depth=4
	v_bfe_u32 v29, v37, 23, 8
	v_and_b32_e32 v50, 0x7fffff, v37
	v_sub_nc_u32_e32 v51, 0x70, v29
	v_cmp_gt_u32_e32 vcc_lo, 0x71, v29
	v_or_b32_e32 v52, 0x800000, v50
	v_cndmask_b32_e32 v51, 0, v51, vcc_lo
	v_cmp_eq_u32_e32 vcc_lo, 0, v29
	v_add_nc_u32_e32 v29, 0xffffff91, v29
	v_cndmask_b32_e64 v51, v51, 0x6f, vcc_lo
	v_cndmask_b32_e32 v50, v52, v50, vcc_lo
	v_cndmask_b32_e64 v29, v29, 0xffffff92, vcc_lo
	v_lshl_add_u32 v52, 0x200000, v51, -1
	v_lshrrev_b32_e32 v53, v51, v50
	v_lshlrev_b32_e64 v55, v51, 0x100000
	v_add_nc_u32_e32 v51, v51, v29
	v_and_b32_e32 v50, v52, v50
	v_bfe_u32 v54, v53, 21, 1
	v_cmp_eq_u32_e64 s17, v50, v55
	v_add_nc_u32_e32 v52, -1, v54
	v_cndmask_b32_e64 v50, 0, v52, s17
	v_lshrrev_b32_e32 v52, 23, v53
	s_mov_b32 s17, exec_lo
	v_add_nc_u32_e32 v50, v50, v53
	v_xor_b32_e32 v52, 1, v52
	v_and_b32_e32 v29, 0x1fffff, v50
	v_add_nc_u32_e32 v50, v29, v53
                                        ; implicit-def: $vgpr29
	v_cmpx_ne_u32_e64 v51, v52
	s_xor_b32 s17, exec_lo, s17
; %bb.6222:                             ;   in Loop: Header=BB6_5795 Depth=4
	v_cmp_lt_u32_e32 vcc_lo, 0xffffff, v50
	v_sub_nc_u32_e32 v29, v51, v52
	v_cndmask_b32_e64 v51, 0, 1, vcc_lo
	v_add_co_ci_u32_e64 v29, null, 0, v29, vcc_lo
	v_lshrrev_b32_e32 v50, v51, v50
; %bb.6223:                             ;   in Loop: Header=BB6_5795 Depth=4
	s_andn2_saveexec_b32 s17, s17
; %bb.6224:                             ;   in Loop: Header=BB6_5795 Depth=4
	v_bfe_u32 v29, v50, 23, 1
; %bb.6225:                             ;   in Loop: Header=BB6_5795 Depth=4
	s_or_b32 exec_lo, exec_lo, s17
	v_lshrrev_b32_e32 v50, 21, v50
	v_min_i32_e32 v51, 31, v29
	v_cmp_gt_i32_e32 vcc_lo, 32, v29
	v_and_b32_sdwa v37, v37, v117 dst_sel:DWORD dst_unused:UNUSED_PAD src0_sel:BYTE_3 src1_sel:DWORD
	v_lshlrev_b32_e32 v51, 2, v51
	v_cndmask_b32_e32 v50, 3, v50, vcc_lo
	v_and_b32_e32 v51, 0xfc, v51
	v_and_b32_e32 v52, 3, v50
	v_or_b32_e32 v29, v29, v50
	v_or3_b32 v37, v37, v51, v52
	v_cmp_ne_u32_e32 vcc_lo, 0, v29
	v_lshlrev_b32_e32 v37, 8, v37
	v_cndmask_b32_e32 v29, 0, v37, vcc_lo
.LBB6_6226:                             ;   in Loop: Header=BB6_5795 Depth=4
	s_or_b32 exec_lo, exec_lo, s75
.LBB6_6227:                             ;   in Loop: Header=BB6_5795 Depth=4
	s_or_b32 exec_lo, exec_lo, s74
	v_or_b32_e32 v27, v27, v23
	s_mov_b32 s17, 0
	v_cmp_gt_i16_sdwa s74, v27, v116 src0_sel:BYTE_0 src1_sel:DWORD
	s_and_saveexec_b32 s75, s74
	s_xor_b32 s74, exec_lo, s75
	s_cbranch_execz .LBB6_6417
; %bb.6228:                             ;   in Loop: Header=BB6_5795 Depth=4
	v_cmp_eq_u16_sdwa s76, v27, v117 src0_sel:BYTE_0 src1_sel:DWORD
	s_mov_b32 s17, -1
	s_and_saveexec_b32 s75, s76
; %bb.6229:                             ;   in Loop: Header=BB6_5795 Depth=4
	s_xor_b32 s17, exec_lo, -1
; %bb.6230:                             ;   in Loop: Header=BB6_5795 Depth=4
	s_or_b32 exec_lo, exec_lo, s75
	s_and_b32 s17, s17, exec_lo
	s_or_saveexec_b32 s74, s74
	v_mov_b32_e32 v23, 0x7f800001
	s_xor_b32 exec_lo, exec_lo, s74
	s_cbranch_execnz .LBB6_6418
.LBB6_6231:                             ;   in Loop: Header=BB6_5795 Depth=4
	s_or_b32 exec_lo, exec_lo, s74
	v_lshl_or_b32 v27, v27, 16, v31
	s_and_saveexec_b32 s74, s17
	s_cbranch_execz .LBB6_6233
.LBB6_6232:                             ;   in Loop: Header=BB6_5795 Depth=4
	v_bfe_u32 v23, v27, 16, 2
	v_bfe_u32 v50, v27, 18, 5
	v_lshlrev_b32_e32 v51, 8, v27
	v_ffbh_u32_e32 v31, v23
	v_cmp_eq_u32_e32 vcc_lo, 0, v50
	v_min_u32_e32 v31, 32, v31
	v_subrev_nc_u32_e32 v37, 29, v31
	v_sub_nc_u32_e32 v31, 30, v31
	v_lshlrev_b32_sdwa v37, v37, v27 dst_sel:DWORD dst_unused:UNUSED_PAD src0_sel:DWORD src1_sel:WORD_1
	v_cndmask_b32_e32 v31, v50, v31, vcc_lo
	v_and_b32_e32 v37, 3, v37
	v_lshl_add_u32 v31, v31, 23, 0x37800000
	v_cndmask_b32_e32 v23, v23, v37, vcc_lo
	v_and_b32_e32 v37, 0x80000000, v51
	v_lshlrev_b32_e32 v23, 21, v23
	v_or3_b32 v23, v37, v31, v23
.LBB6_6233:                             ;   in Loop: Header=BB6_5795 Depth=4
	s_or_b32 exec_lo, exec_lo, s74
	v_and_b32_sdwa v37, v10, v40 dst_sel:DWORD dst_unused:UNUSED_PAD src0_sel:WORD_1 src1_sel:DWORD
	s_mov_b32 s17, 0
	s_mov_b32 s74, exec_lo
	v_cmpx_lt_i16_e32 0x7f, v37
	s_xor_b32 s74, exec_lo, s74
	s_cbranch_execz .LBB6_6419
; %bb.6234:                             ;   in Loop: Header=BB6_5795 Depth=4
	s_mov_b32 s17, -1
	s_mov_b32 s75, exec_lo
	v_cmpx_eq_u16_e32 0x80, v37
; %bb.6235:                             ;   in Loop: Header=BB6_5795 Depth=4
	s_xor_b32 s17, exec_lo, -1
; %bb.6236:                             ;   in Loop: Header=BB6_5795 Depth=4
	s_or_b32 exec_lo, exec_lo, s75
	s_and_b32 s17, s17, exec_lo
                                        ; implicit-def: $vgpr37
	s_or_saveexec_b32 s74, s74
	v_mov_b32_e32 v31, 0x7f800001
	s_xor_b32 exec_lo, exec_lo, s74
	s_cbranch_execnz .LBB6_6420
.LBB6_6237:                             ;   in Loop: Header=BB6_5795 Depth=4
	s_or_b32 exec_lo, exec_lo, s74
	s_and_saveexec_b32 s74, s17
	s_cbranch_execz .LBB6_6239
.LBB6_6238:                             ;   in Loop: Header=BB6_5795 Depth=4
	v_mov_b32_e32 v31, 3
	v_bfe_u32 v51, v10, 18, 5
	v_lshlrev_b32_sdwa v52, v119, v10 dst_sel:DWORD dst_unused:UNUSED_PAD src0_sel:DWORD src1_sel:WORD_1
	v_and_b32_sdwa v31, v10, v31 dst_sel:DWORD dst_unused:UNUSED_PAD src0_sel:WORD_1 src1_sel:DWORD
	v_cmp_eq_u32_e32 vcc_lo, 0, v51
	v_ffbh_u32_e32 v37, v31
	v_min_u32_e32 v37, 32, v37
	v_subrev_nc_u32_e32 v50, 29, v37
	v_sub_nc_u32_e32 v37, 30, v37
	v_lshlrev_b32_sdwa v50, v50, v10 dst_sel:DWORD dst_unused:UNUSED_PAD src0_sel:DWORD src1_sel:WORD_1
	v_cndmask_b32_e32 v37, v51, v37, vcc_lo
	v_and_b32_e32 v50, 3, v50
	v_lshl_add_u32 v37, v37, 23, 0x37800000
	v_cndmask_b32_e32 v31, v31, v50, vcc_lo
	v_and_b32_e32 v50, 0x80000000, v52
	v_lshlrev_b32_e32 v31, 21, v31
	v_or3_b32 v31, v50, v37, v31
.LBB6_6239:                             ;   in Loop: Header=BB6_5795 Depth=4
	s_or_b32 exec_lo, exec_lo, s74
	v_add_f32_e32 v31, v23, v31
	v_and_b32_e32 v23, 0x7f800000, v31
	v_cmp_ne_u32_e32 vcc_lo, 0x7f800000, v23
	v_mov_b32_e32 v23, 0x80
	s_and_saveexec_b32 s74, vcc_lo
	s_cbranch_execz .LBB6_6247
; %bb.6240:                             ;   in Loop: Header=BB6_5795 Depth=4
	v_mov_b32_e32 v23, 0
	s_mov_b32 s75, exec_lo
	v_cmpx_ne_u32_e32 0, v31
	s_cbranch_execz .LBB6_6246
; %bb.6241:                             ;   in Loop: Header=BB6_5795 Depth=4
	v_bfe_u32 v23, v31, 23, 8
	v_and_b32_e32 v37, 0x7fffff, v31
	v_sub_nc_u32_e32 v50, 0x70, v23
	v_cmp_gt_u32_e32 vcc_lo, 0x71, v23
	v_or_b32_e32 v51, 0x800000, v37
	v_cndmask_b32_e32 v50, 0, v50, vcc_lo
	v_cmp_eq_u32_e32 vcc_lo, 0, v23
	v_add_nc_u32_e32 v23, 0xffffff91, v23
	v_cndmask_b32_e64 v50, v50, 0x6f, vcc_lo
	v_cndmask_b32_e32 v37, v51, v37, vcc_lo
	v_cndmask_b32_e64 v23, v23, 0xffffff92, vcc_lo
	v_lshl_add_u32 v51, 0x200000, v50, -1
	v_lshrrev_b32_e32 v52, v50, v37
	v_lshlrev_b32_e64 v54, v50, 0x100000
	v_add_nc_u32_e32 v50, v50, v23
	v_and_b32_e32 v37, v51, v37
	v_bfe_u32 v53, v52, 21, 1
	v_cmp_eq_u32_e64 s17, v37, v54
	v_add_nc_u32_e32 v51, -1, v53
	v_cndmask_b32_e64 v37, 0, v51, s17
	v_lshrrev_b32_e32 v51, 23, v52
	s_mov_b32 s17, exec_lo
	v_add_nc_u32_e32 v37, v37, v52
	v_xor_b32_e32 v51, 1, v51
	v_and_b32_e32 v23, 0x1fffff, v37
	v_add_nc_u32_e32 v37, v23, v52
                                        ; implicit-def: $vgpr23
	v_cmpx_ne_u32_e64 v50, v51
	s_xor_b32 s17, exec_lo, s17
; %bb.6242:                             ;   in Loop: Header=BB6_5795 Depth=4
	v_cmp_lt_u32_e32 vcc_lo, 0xffffff, v37
	v_sub_nc_u32_e32 v23, v50, v51
	v_cndmask_b32_e64 v50, 0, 1, vcc_lo
	v_add_co_ci_u32_e64 v23, null, 0, v23, vcc_lo
	v_lshrrev_b32_e32 v37, v50, v37
; %bb.6243:                             ;   in Loop: Header=BB6_5795 Depth=4
	s_andn2_saveexec_b32 s17, s17
; %bb.6244:                             ;   in Loop: Header=BB6_5795 Depth=4
	v_bfe_u32 v23, v37, 23, 1
; %bb.6245:                             ;   in Loop: Header=BB6_5795 Depth=4
	s_or_b32 exec_lo, exec_lo, s17
	v_lshrrev_b32_e32 v37, 21, v37
	v_min_i32_e32 v50, 31, v23
	v_cmp_gt_i32_e32 vcc_lo, 32, v23
	v_and_b32_sdwa v31, v31, v117 dst_sel:DWORD dst_unused:UNUSED_PAD src0_sel:BYTE_3 src1_sel:DWORD
	v_lshlrev_b32_e32 v50, 2, v50
	v_cndmask_b32_e32 v37, 3, v37, vcc_lo
	v_and_b32_e32 v50, 0xfc, v50
	v_and_b32_e32 v51, 3, v37
	v_or_b32_e32 v23, v23, v37
	v_or3_b32 v31, v50, v31, v51
	v_cmp_ne_u32_e32 vcc_lo, 0, v23
	v_cndmask_b32_e32 v23, 0, v31, vcc_lo
.LBB6_6246:                             ;   in Loop: Header=BB6_5795 Depth=4
	s_or_b32 exec_lo, exec_lo, s75
.LBB6_6247:                             ;   in Loop: Header=BB6_5795 Depth=4
	s_or_b32 exec_lo, exec_lo, s74
	v_cmp_gt_i16_sdwa s74, v27, v116 src0_sel:BYTE_3 src1_sel:DWORD
	s_mov_b32 s17, 0
	s_and_saveexec_b32 s75, s74
	s_xor_b32 s74, exec_lo, s75
	s_cbranch_execz .LBB6_6421
; %bb.6248:                             ;   in Loop: Header=BB6_5795 Depth=4
	v_cmp_eq_u16_sdwa s76, v27, v117 src0_sel:BYTE_3 src1_sel:DWORD
	s_mov_b32 s17, -1
	s_and_saveexec_b32 s75, s76
; %bb.6249:                             ;   in Loop: Header=BB6_5795 Depth=4
	s_xor_b32 s17, exec_lo, -1
; %bb.6250:                             ;   in Loop: Header=BB6_5795 Depth=4
	s_or_b32 exec_lo, exec_lo, s75
	s_and_b32 s17, s17, exec_lo
	s_or_saveexec_b32 s74, s74
	v_mov_b32_e32 v31, 0x7f800001
	s_xor_b32 exec_lo, exec_lo, s74
	s_cbranch_execnz .LBB6_6422
.LBB6_6251:                             ;   in Loop: Header=BB6_5795 Depth=4
	s_or_b32 exec_lo, exec_lo, s74
	s_and_saveexec_b32 s74, s17
	s_cbranch_execz .LBB6_6253
.LBB6_6252:                             ;   in Loop: Header=BB6_5795 Depth=4
	v_bfe_u32 v31, v27, 24, 2
	v_bfe_u32 v51, v27, 26, 5
	v_ffbh_u32_e32 v37, v31
	v_cmp_eq_u32_e32 vcc_lo, 0, v51
	v_min_u32_e32 v37, 32, v37
	v_subrev_nc_u32_e32 v50, 29, v37
	v_sub_nc_u32_e32 v37, 30, v37
	v_lshlrev_b32_sdwa v50, v50, v27 dst_sel:DWORD dst_unused:UNUSED_PAD src0_sel:DWORD src1_sel:BYTE_3
	v_cndmask_b32_e32 v37, v51, v37, vcc_lo
	v_and_b32_e32 v27, 0x80000000, v27
	v_and_b32_e32 v50, 3, v50
	v_lshl_add_u32 v37, v37, 23, 0x37800000
	v_cndmask_b32_e32 v31, v31, v50, vcc_lo
	v_lshlrev_b32_e32 v31, 21, v31
	v_or3_b32 v31, v27, v37, v31
.LBB6_6253:                             ;   in Loop: Header=BB6_5795 Depth=4
	s_or_b32 exec_lo, exec_lo, s74
	v_cmp_gt_i16_sdwa s74, v10, v116 src0_sel:BYTE_3 src1_sel:DWORD
	s_mov_b32 s17, 0
	s_and_saveexec_b32 s75, s74
	s_xor_b32 s74, exec_lo, s75
	s_cbranch_execz .LBB6_6423
; %bb.6254:                             ;   in Loop: Header=BB6_5795 Depth=4
	v_cmp_eq_u16_sdwa s76, v10, v117 src0_sel:BYTE_3 src1_sel:DWORD
	s_mov_b32 s17, -1
	s_and_saveexec_b32 s75, s76
; %bb.6255:                             ;   in Loop: Header=BB6_5795 Depth=4
	s_xor_b32 s17, exec_lo, -1
; %bb.6256:                             ;   in Loop: Header=BB6_5795 Depth=4
	s_or_b32 exec_lo, exec_lo, s75
	s_and_b32 s17, s17, exec_lo
	s_or_saveexec_b32 s74, s74
	v_mov_b32_e32 v27, 0x7f800001
	s_xor_b32 exec_lo, exec_lo, s74
	s_cbranch_execnz .LBB6_6424
.LBB6_6257:                             ;   in Loop: Header=BB6_5795 Depth=4
	s_or_b32 exec_lo, exec_lo, s74
	s_and_saveexec_b32 s74, s17
	s_cbranch_execz .LBB6_6259
.LBB6_6258:                             ;   in Loop: Header=BB6_5795 Depth=4
	v_mov_b32_e32 v27, 3
	v_bfe_u32 v51, v10, 26, 5
	v_and_b32_sdwa v27, v10, v27 dst_sel:DWORD dst_unused:UNUSED_PAD src0_sel:BYTE_3 src1_sel:DWORD
	v_cmp_eq_u32_e32 vcc_lo, 0, v51
	v_ffbh_u32_e32 v37, v27
	v_min_u32_e32 v37, 32, v37
	v_subrev_nc_u32_e32 v50, 29, v37
	v_sub_nc_u32_e32 v37, 30, v37
	v_lshlrev_b32_sdwa v50, v50, v10 dst_sel:DWORD dst_unused:UNUSED_PAD src0_sel:DWORD src1_sel:BYTE_3
	v_cndmask_b32_e32 v37, v51, v37, vcc_lo
	v_and_b32_e32 v10, 0x80000000, v10
	v_and_b32_e32 v50, 3, v50
	v_lshl_add_u32 v37, v37, 23, 0x37800000
	v_cndmask_b32_e32 v27, v27, v50, vcc_lo
	v_lshlrev_b32_e32 v27, 21, v27
	v_or3_b32 v27, v10, v37, v27
.LBB6_6259:                             ;   in Loop: Header=BB6_5795 Depth=4
	s_or_b32 exec_lo, exec_lo, s74
	v_add_f32_e32 v27, v31, v27
	v_and_b32_e32 v10, 0x7f800000, v27
	v_cmp_ne_u32_e32 vcc_lo, 0x7f800000, v10
	v_mov_b32_e32 v10, 0x8000
	s_and_saveexec_b32 s74, vcc_lo
	s_cbranch_execz .LBB6_6267
; %bb.6260:                             ;   in Loop: Header=BB6_5795 Depth=4
	v_mov_b32_e32 v10, 0
	s_mov_b32 s75, exec_lo
	v_cmpx_ne_u32_e32 0, v27
	s_cbranch_execz .LBB6_6266
; %bb.6261:                             ;   in Loop: Header=BB6_5795 Depth=4
	v_bfe_u32 v10, v27, 23, 8
	v_and_b32_e32 v31, 0x7fffff, v27
	v_sub_nc_u32_e32 v37, 0x70, v10
	v_cmp_gt_u32_e32 vcc_lo, 0x71, v10
	v_or_b32_e32 v50, 0x800000, v31
	v_cndmask_b32_e32 v37, 0, v37, vcc_lo
	v_cmp_eq_u32_e32 vcc_lo, 0, v10
	v_add_nc_u32_e32 v10, 0xffffff91, v10
	v_cndmask_b32_e64 v37, v37, 0x6f, vcc_lo
	v_cndmask_b32_e32 v31, v50, v31, vcc_lo
	v_cndmask_b32_e64 v10, v10, 0xffffff92, vcc_lo
	v_lshl_add_u32 v50, 0x200000, v37, -1
	v_lshrrev_b32_e32 v51, v37, v31
	v_lshlrev_b32_e64 v53, v37, 0x100000
	v_add_nc_u32_e32 v37, v37, v10
	v_and_b32_e32 v31, v50, v31
	v_bfe_u32 v52, v51, 21, 1
	v_cmp_eq_u32_e64 s17, v31, v53
	v_add_nc_u32_e32 v50, -1, v52
	v_cndmask_b32_e64 v31, 0, v50, s17
	v_lshrrev_b32_e32 v50, 23, v51
	s_mov_b32 s17, exec_lo
	v_add_nc_u32_e32 v31, v31, v51
	v_xor_b32_e32 v50, 1, v50
	v_and_b32_e32 v10, 0x1fffff, v31
	v_add_nc_u32_e32 v31, v10, v51
                                        ; implicit-def: $vgpr10
	v_cmpx_ne_u32_e64 v37, v50
	s_xor_b32 s17, exec_lo, s17
; %bb.6262:                             ;   in Loop: Header=BB6_5795 Depth=4
	v_cmp_lt_u32_e32 vcc_lo, 0xffffff, v31
	v_sub_nc_u32_e32 v10, v37, v50
	v_cndmask_b32_e64 v37, 0, 1, vcc_lo
	v_add_co_ci_u32_e64 v10, null, 0, v10, vcc_lo
	v_lshrrev_b32_e32 v31, v37, v31
; %bb.6263:                             ;   in Loop: Header=BB6_5795 Depth=4
	s_andn2_saveexec_b32 s17, s17
; %bb.6264:                             ;   in Loop: Header=BB6_5795 Depth=4
	v_bfe_u32 v10, v31, 23, 1
; %bb.6265:                             ;   in Loop: Header=BB6_5795 Depth=4
	s_or_b32 exec_lo, exec_lo, s17
	v_lshrrev_b32_e32 v31, 21, v31
	v_min_i32_e32 v37, 31, v10
	v_cmp_gt_i32_e32 vcc_lo, 32, v10
	v_and_b32_sdwa v27, v27, v117 dst_sel:DWORD dst_unused:UNUSED_PAD src0_sel:BYTE_3 src1_sel:DWORD
	v_lshlrev_b32_e32 v37, 2, v37
	v_cndmask_b32_e32 v31, 3, v31, vcc_lo
	v_and_b32_e32 v37, 0xfc, v37
	v_and_b32_e32 v50, 3, v31
	v_or_b32_e32 v10, v10, v31
	v_or3_b32 v27, v27, v37, v50
	v_cmp_ne_u32_e32 vcc_lo, 0, v10
	v_lshlrev_b32_e32 v27, 8, v27
	v_cndmask_b32_e32 v10, 0, v27, vcc_lo
.LBB6_6266:                             ;   in Loop: Header=BB6_5795 Depth=4
	s_or_b32 exec_lo, exec_lo, s75
.LBB6_6267:                             ;   in Loop: Header=BB6_5795 Depth=4
	s_or_b32 exec_lo, exec_lo, s74
	v_or_b32_e32 v24, v24, v20
	s_mov_b32 s17, 0
	v_cmp_gt_i16_sdwa s74, v24, v116 src0_sel:BYTE_0 src1_sel:DWORD
	s_and_saveexec_b32 s75, s74
	s_xor_b32 s74, exec_lo, s75
	s_cbranch_execz .LBB6_6425
; %bb.6268:                             ;   in Loop: Header=BB6_5795 Depth=4
	v_cmp_eq_u16_sdwa s76, v24, v117 src0_sel:BYTE_0 src1_sel:DWORD
	s_mov_b32 s17, -1
	s_and_saveexec_b32 s75, s76
; %bb.6269:                             ;   in Loop: Header=BB6_5795 Depth=4
	s_xor_b32 s17, exec_lo, -1
; %bb.6270:                             ;   in Loop: Header=BB6_5795 Depth=4
	s_or_b32 exec_lo, exec_lo, s75
	s_and_b32 s17, s17, exec_lo
	s_or_saveexec_b32 s74, s74
	v_mov_b32_e32 v20, 0x7f800001
	s_xor_b32 exec_lo, exec_lo, s74
	s_cbranch_execnz .LBB6_6426
.LBB6_6271:                             ;   in Loop: Header=BB6_5795 Depth=4
	s_or_b32 exec_lo, exec_lo, s74
	s_and_saveexec_b32 s74, s17
	s_cbranch_execz .LBB6_6273
.LBB6_6272:                             ;   in Loop: Header=BB6_5795 Depth=4
	v_and_b32_e32 v20, 3, v24
	v_bfe_u32 v37, v24, 2, 5
	v_lshlrev_b32_e32 v50, 24, v24
	v_ffbh_u32_e32 v27, v20
	v_cmp_eq_u32_e32 vcc_lo, 0, v37
	v_min_u32_e32 v27, 32, v27
	v_subrev_nc_u32_e32 v31, 29, v27
	v_sub_nc_u32_e32 v27, 30, v27
	v_lshlrev_b32_e32 v31, v31, v24
	v_cndmask_b32_e32 v27, v37, v27, vcc_lo
	v_and_b32_e32 v31, 3, v31
	v_lshl_add_u32 v27, v27, 23, 0x37800000
	v_cndmask_b32_e32 v20, v20, v31, vcc_lo
	v_and_b32_e32 v31, 0x80000000, v50
	v_lshlrev_b32_e32 v20, 21, v20
	v_or3_b32 v20, v31, v27, v20
.LBB6_6273:                             ;   in Loop: Header=BB6_5795 Depth=4
	s_or_b32 exec_lo, exec_lo, s74
	v_cmp_gt_i16_sdwa s74, v11, v116 src0_sel:BYTE_0 src1_sel:DWORD
	s_mov_b32 s17, 0
	s_and_saveexec_b32 s75, s74
	s_xor_b32 s74, exec_lo, s75
	s_cbranch_execz .LBB6_6427
; %bb.6274:                             ;   in Loop: Header=BB6_5795 Depth=4
	v_cmp_eq_u16_sdwa s76, v11, v117 src0_sel:BYTE_0 src1_sel:DWORD
	s_mov_b32 s17, -1
	s_and_saveexec_b32 s75, s76
; %bb.6275:                             ;   in Loop: Header=BB6_5795 Depth=4
	s_xor_b32 s17, exec_lo, -1
; %bb.6276:                             ;   in Loop: Header=BB6_5795 Depth=4
	s_or_b32 exec_lo, exec_lo, s75
	s_and_b32 s17, s17, exec_lo
	s_or_saveexec_b32 s74, s74
	v_mov_b32_e32 v27, 0x7f800001
	s_xor_b32 exec_lo, exec_lo, s74
	s_cbranch_execnz .LBB6_6428
.LBB6_6277:                             ;   in Loop: Header=BB6_5795 Depth=4
	s_or_b32 exec_lo, exec_lo, s74
	s_and_saveexec_b32 s74, s17
	s_cbranch_execz .LBB6_6279
.LBB6_6278:                             ;   in Loop: Header=BB6_5795 Depth=4
	v_and_b32_e32 v27, 3, v11
	v_bfe_u32 v50, v11, 2, 5
	v_lshlrev_b32_e32 v51, 24, v11
	v_ffbh_u32_e32 v31, v27
	v_cmp_eq_u32_e32 vcc_lo, 0, v50
	v_min_u32_e32 v31, 32, v31
	v_subrev_nc_u32_e32 v37, 29, v31
	v_sub_nc_u32_e32 v31, 30, v31
	v_lshlrev_b32_e32 v37, v37, v11
	v_cndmask_b32_e32 v31, v50, v31, vcc_lo
	v_and_b32_e32 v37, 3, v37
	v_lshl_add_u32 v31, v31, 23, 0x37800000
	v_cndmask_b32_e32 v27, v27, v37, vcc_lo
	v_and_b32_e32 v37, 0x80000000, v51
	v_lshlrev_b32_e32 v27, 21, v27
	v_or3_b32 v27, v37, v31, v27
.LBB6_6279:                             ;   in Loop: Header=BB6_5795 Depth=4
	s_or_b32 exec_lo, exec_lo, s74
	v_add_f32_e32 v27, v20, v27
	v_and_b32_e32 v20, 0x7f800000, v27
	v_cmp_ne_u32_e32 vcc_lo, 0x7f800000, v20
	v_mov_b32_e32 v20, 0x80
	s_and_saveexec_b32 s74, vcc_lo
	s_cbranch_execz .LBB6_6287
; %bb.6280:                             ;   in Loop: Header=BB6_5795 Depth=4
	v_mov_b32_e32 v20, 0
	s_mov_b32 s75, exec_lo
	v_cmpx_ne_u32_e32 0, v27
	s_cbranch_execz .LBB6_6286
; %bb.6281:                             ;   in Loop: Header=BB6_5795 Depth=4
	v_bfe_u32 v20, v27, 23, 8
	v_and_b32_e32 v31, 0x7fffff, v27
	v_sub_nc_u32_e32 v37, 0x70, v20
	v_cmp_gt_u32_e32 vcc_lo, 0x71, v20
	v_or_b32_e32 v50, 0x800000, v31
	v_cndmask_b32_e32 v37, 0, v37, vcc_lo
	v_cmp_eq_u32_e32 vcc_lo, 0, v20
	v_add_nc_u32_e32 v20, 0xffffff91, v20
	v_cndmask_b32_e64 v37, v37, 0x6f, vcc_lo
	v_cndmask_b32_e32 v31, v50, v31, vcc_lo
	v_cndmask_b32_e64 v20, v20, 0xffffff92, vcc_lo
	v_lshl_add_u32 v50, 0x200000, v37, -1
	v_lshrrev_b32_e32 v51, v37, v31
	v_lshlrev_b32_e64 v53, v37, 0x100000
	v_add_nc_u32_e32 v37, v37, v20
	v_and_b32_e32 v31, v50, v31
	v_bfe_u32 v52, v51, 21, 1
	v_cmp_eq_u32_e64 s17, v31, v53
	v_add_nc_u32_e32 v50, -1, v52
	v_cndmask_b32_e64 v31, 0, v50, s17
	v_lshrrev_b32_e32 v50, 23, v51
	s_mov_b32 s17, exec_lo
	v_add_nc_u32_e32 v31, v31, v51
	v_xor_b32_e32 v50, 1, v50
	v_and_b32_e32 v20, 0x1fffff, v31
	v_add_nc_u32_e32 v31, v20, v51
                                        ; implicit-def: $vgpr20
	v_cmpx_ne_u32_e64 v37, v50
	s_xor_b32 s17, exec_lo, s17
; %bb.6282:                             ;   in Loop: Header=BB6_5795 Depth=4
	v_cmp_lt_u32_e32 vcc_lo, 0xffffff, v31
	v_sub_nc_u32_e32 v20, v37, v50
	v_cndmask_b32_e64 v37, 0, 1, vcc_lo
	v_add_co_ci_u32_e64 v20, null, 0, v20, vcc_lo
	v_lshrrev_b32_e32 v31, v37, v31
; %bb.6283:                             ;   in Loop: Header=BB6_5795 Depth=4
	s_andn2_saveexec_b32 s17, s17
; %bb.6284:                             ;   in Loop: Header=BB6_5795 Depth=4
	v_bfe_u32 v20, v31, 23, 1
; %bb.6285:                             ;   in Loop: Header=BB6_5795 Depth=4
	s_or_b32 exec_lo, exec_lo, s17
	v_lshrrev_b32_e32 v31, 21, v31
	v_min_i32_e32 v37, 31, v20
	v_cmp_gt_i32_e32 vcc_lo, 32, v20
	v_and_b32_sdwa v27, v27, v117 dst_sel:DWORD dst_unused:UNUSED_PAD src0_sel:BYTE_3 src1_sel:DWORD
	v_lshlrev_b32_e32 v37, 2, v37
	v_cndmask_b32_e32 v31, 3, v31, vcc_lo
	v_and_b32_e32 v37, 0xfc, v37
	v_and_b32_e32 v50, 3, v31
	v_or_b32_e32 v20, v20, v31
	v_or3_b32 v27, v37, v27, v50
	v_cmp_ne_u32_e32 vcc_lo, 0, v20
	v_cndmask_b32_e32 v20, 0, v27, vcc_lo
.LBB6_6286:                             ;   in Loop: Header=BB6_5795 Depth=4
	s_or_b32 exec_lo, exec_lo, s75
.LBB6_6287:                             ;   in Loop: Header=BB6_5795 Depth=4
	s_or_b32 exec_lo, exec_lo, s74
	v_cmp_gt_i16_sdwa s74, v24, v116 src0_sel:BYTE_1 src1_sel:DWORD
	s_mov_b32 s17, 0
	s_and_saveexec_b32 s75, s74
	s_xor_b32 s74, exec_lo, s75
	s_cbranch_execz .LBB6_6429
; %bb.6288:                             ;   in Loop: Header=BB6_5795 Depth=4
	v_cmp_eq_u16_sdwa s76, v24, v117 src0_sel:BYTE_1 src1_sel:DWORD
	s_mov_b32 s17, -1
	s_and_saveexec_b32 s75, s76
; %bb.6289:                             ;   in Loop: Header=BB6_5795 Depth=4
	s_xor_b32 s17, exec_lo, -1
; %bb.6290:                             ;   in Loop: Header=BB6_5795 Depth=4
	s_or_b32 exec_lo, exec_lo, s75
	s_and_b32 s17, s17, exec_lo
	s_or_saveexec_b32 s74, s74
	v_mov_b32_e32 v27, 0x7f800001
	s_xor_b32 exec_lo, exec_lo, s74
	s_cbranch_execnz .LBB6_6430
.LBB6_6291:                             ;   in Loop: Header=BB6_5795 Depth=4
	s_or_b32 exec_lo, exec_lo, s74
	s_and_saveexec_b32 s74, s17
	s_cbranch_execz .LBB6_6293
.LBB6_6292:                             ;   in Loop: Header=BB6_5795 Depth=4
	v_and_b32_sdwa v27, v118, v24 dst_sel:DWORD dst_unused:UNUSED_PAD src0_sel:DWORD src1_sel:BYTE_1
	v_and_b32_e32 v31, 3, v27
	v_bfe_u32 v51, v27, 2, 5
	v_ffbh_u32_e32 v37, v31
	v_cmp_eq_u32_e32 vcc_lo, 0, v51
	v_min_u32_e32 v37, 32, v37
	v_subrev_nc_u32_e32 v50, 29, v37
	v_sub_nc_u32_e32 v37, 30, v37
	v_lshlrev_b32_e32 v27, v50, v27
	v_lshlrev_b32_sdwa v50, v119, v24 dst_sel:DWORD dst_unused:UNUSED_PAD src0_sel:DWORD src1_sel:BYTE_1
	v_cndmask_b32_e32 v37, v51, v37, vcc_lo
	v_and_b32_e32 v27, 3, v27
	v_lshl_add_u32 v37, v37, 23, 0x37800000
	v_cndmask_b32_e32 v27, v31, v27, vcc_lo
	v_and_b32_e32 v31, 0x80000000, v50
	v_lshlrev_b32_e32 v27, 21, v27
	v_or3_b32 v27, v31, v37, v27
.LBB6_6293:                             ;   in Loop: Header=BB6_5795 Depth=4
	s_or_b32 exec_lo, exec_lo, s74
	v_cmp_gt_i16_sdwa s74, v11, v116 src0_sel:BYTE_1 src1_sel:DWORD
	s_mov_b32 s17, 0
	s_and_saveexec_b32 s75, s74
	s_xor_b32 s74, exec_lo, s75
	s_cbranch_execz .LBB6_6431
; %bb.6294:                             ;   in Loop: Header=BB6_5795 Depth=4
	v_cmp_eq_u16_sdwa s76, v11, v117 src0_sel:BYTE_1 src1_sel:DWORD
	s_mov_b32 s17, -1
	s_and_saveexec_b32 s75, s76
; %bb.6295:                             ;   in Loop: Header=BB6_5795 Depth=4
	s_xor_b32 s17, exec_lo, -1
; %bb.6296:                             ;   in Loop: Header=BB6_5795 Depth=4
	s_or_b32 exec_lo, exec_lo, s75
	s_and_b32 s17, s17, exec_lo
	s_or_saveexec_b32 s74, s74
	v_mov_b32_e32 v31, 0x7f800001
	s_xor_b32 exec_lo, exec_lo, s74
	s_cbranch_execnz .LBB6_6432
.LBB6_6297:                             ;   in Loop: Header=BB6_5795 Depth=4
	s_or_b32 exec_lo, exec_lo, s74
	s_and_saveexec_b32 s74, s17
	s_cbranch_execz .LBB6_6299
.LBB6_6298:                             ;   in Loop: Header=BB6_5795 Depth=4
	v_and_b32_sdwa v31, v118, v11 dst_sel:DWORD dst_unused:UNUSED_PAD src0_sel:DWORD src1_sel:BYTE_1
	v_and_b32_e32 v37, 3, v31
	v_bfe_u32 v52, v31, 2, 5
	v_ffbh_u32_e32 v50, v37
	v_cmp_eq_u32_e32 vcc_lo, 0, v52
	v_min_u32_e32 v50, 32, v50
	v_subrev_nc_u32_e32 v51, 29, v50
	v_sub_nc_u32_e32 v50, 30, v50
	v_lshlrev_b32_e32 v31, v51, v31
	v_lshlrev_b32_sdwa v51, v119, v11 dst_sel:DWORD dst_unused:UNUSED_PAD src0_sel:DWORD src1_sel:BYTE_1
	v_cndmask_b32_e32 v50, v52, v50, vcc_lo
	v_and_b32_e32 v31, 3, v31
	v_lshl_add_u32 v50, v50, 23, 0x37800000
	v_cndmask_b32_e32 v31, v37, v31, vcc_lo
	v_and_b32_e32 v37, 0x80000000, v51
	v_lshlrev_b32_e32 v31, 21, v31
	v_or3_b32 v31, v37, v50, v31
.LBB6_6299:                             ;   in Loop: Header=BB6_5795 Depth=4
	s_or_b32 exec_lo, exec_lo, s74
	v_add_f32_e32 v31, v27, v31
	v_and_b32_e32 v27, 0x7f800000, v31
	v_cmp_ne_u32_e32 vcc_lo, 0x7f800000, v27
	v_mov_b32_e32 v27, 0x8000
	s_and_saveexec_b32 s74, vcc_lo
	s_cbranch_execz .LBB6_6307
; %bb.6300:                             ;   in Loop: Header=BB6_5795 Depth=4
	v_mov_b32_e32 v27, 0
	s_mov_b32 s75, exec_lo
	v_cmpx_ne_u32_e32 0, v31
	s_cbranch_execz .LBB6_6306
; %bb.6301:                             ;   in Loop: Header=BB6_5795 Depth=4
	v_bfe_u32 v27, v31, 23, 8
	v_and_b32_e32 v37, 0x7fffff, v31
	v_sub_nc_u32_e32 v50, 0x70, v27
	v_cmp_gt_u32_e32 vcc_lo, 0x71, v27
	v_or_b32_e32 v51, 0x800000, v37
	v_cndmask_b32_e32 v50, 0, v50, vcc_lo
	v_cmp_eq_u32_e32 vcc_lo, 0, v27
	v_add_nc_u32_e32 v27, 0xffffff91, v27
	v_cndmask_b32_e64 v50, v50, 0x6f, vcc_lo
	v_cndmask_b32_e32 v37, v51, v37, vcc_lo
	v_cndmask_b32_e64 v27, v27, 0xffffff92, vcc_lo
	v_lshl_add_u32 v51, 0x200000, v50, -1
	v_lshrrev_b32_e32 v52, v50, v37
	v_lshlrev_b32_e64 v54, v50, 0x100000
	v_add_nc_u32_e32 v50, v50, v27
	v_and_b32_e32 v37, v51, v37
	v_bfe_u32 v53, v52, 21, 1
	v_cmp_eq_u32_e64 s17, v37, v54
	v_add_nc_u32_e32 v51, -1, v53
	v_cndmask_b32_e64 v37, 0, v51, s17
	v_lshrrev_b32_e32 v51, 23, v52
	s_mov_b32 s17, exec_lo
	v_add_nc_u32_e32 v37, v37, v52
	v_xor_b32_e32 v51, 1, v51
	v_and_b32_e32 v27, 0x1fffff, v37
	v_add_nc_u32_e32 v37, v27, v52
                                        ; implicit-def: $vgpr27
	v_cmpx_ne_u32_e64 v50, v51
	s_xor_b32 s17, exec_lo, s17
; %bb.6302:                             ;   in Loop: Header=BB6_5795 Depth=4
	v_cmp_lt_u32_e32 vcc_lo, 0xffffff, v37
	v_sub_nc_u32_e32 v27, v50, v51
	v_cndmask_b32_e64 v50, 0, 1, vcc_lo
	v_add_co_ci_u32_e64 v27, null, 0, v27, vcc_lo
	v_lshrrev_b32_e32 v37, v50, v37
; %bb.6303:                             ;   in Loop: Header=BB6_5795 Depth=4
	s_andn2_saveexec_b32 s17, s17
; %bb.6304:                             ;   in Loop: Header=BB6_5795 Depth=4
	v_bfe_u32 v27, v37, 23, 1
; %bb.6305:                             ;   in Loop: Header=BB6_5795 Depth=4
	s_or_b32 exec_lo, exec_lo, s17
	v_lshrrev_b32_e32 v37, 21, v37
	v_min_i32_e32 v50, 31, v27
	v_cmp_gt_i32_e32 vcc_lo, 32, v27
	v_and_b32_sdwa v31, v31, v117 dst_sel:DWORD dst_unused:UNUSED_PAD src0_sel:BYTE_3 src1_sel:DWORD
	v_lshlrev_b32_e32 v50, 2, v50
	v_cndmask_b32_e32 v37, 3, v37, vcc_lo
	v_and_b32_e32 v50, 0xfc, v50
	v_and_b32_e32 v51, 3, v37
	v_or_b32_e32 v27, v27, v37
	v_or3_b32 v31, v31, v50, v51
	v_cmp_ne_u32_e32 vcc_lo, 0, v27
	v_lshlrev_b32_e32 v31, 8, v31
	v_cndmask_b32_e32 v27, 0, v31, vcc_lo
.LBB6_6306:                             ;   in Loop: Header=BB6_5795 Depth=4
	s_or_b32 exec_lo, exec_lo, s75
.LBB6_6307:                             ;   in Loop: Header=BB6_5795 Depth=4
	s_or_b32 exec_lo, exec_lo, s74
	v_or_b32_e32 v22, v22, v19
	s_mov_b32 s17, 0
	v_cmp_gt_i16_sdwa s74, v22, v116 src0_sel:BYTE_0 src1_sel:DWORD
	s_and_saveexec_b32 s75, s74
	s_xor_b32 s74, exec_lo, s75
	s_cbranch_execz .LBB6_6433
; %bb.6308:                             ;   in Loop: Header=BB6_5795 Depth=4
	v_cmp_eq_u16_sdwa s76, v22, v117 src0_sel:BYTE_0 src1_sel:DWORD
	s_mov_b32 s17, -1
	s_and_saveexec_b32 s75, s76
; %bb.6309:                             ;   in Loop: Header=BB6_5795 Depth=4
	s_xor_b32 s17, exec_lo, -1
; %bb.6310:                             ;   in Loop: Header=BB6_5795 Depth=4
	s_or_b32 exec_lo, exec_lo, s75
	s_and_b32 s17, s17, exec_lo
	s_or_saveexec_b32 s74, s74
	v_mov_b32_e32 v19, 0x7f800001
	s_xor_b32 exec_lo, exec_lo, s74
	s_cbranch_execnz .LBB6_6434
.LBB6_6311:                             ;   in Loop: Header=BB6_5795 Depth=4
	s_or_b32 exec_lo, exec_lo, s74
	v_lshl_or_b32 v22, v22, 16, v24
	s_and_saveexec_b32 s74, s17
	s_cbranch_execz .LBB6_6313
.LBB6_6312:                             ;   in Loop: Header=BB6_5795 Depth=4
	v_bfe_u32 v19, v22, 16, 2
	v_bfe_u32 v37, v22, 18, 5
	v_lshlrev_b32_e32 v50, 8, v22
	v_ffbh_u32_e32 v24, v19
	v_cmp_eq_u32_e32 vcc_lo, 0, v37
	v_min_u32_e32 v24, 32, v24
	v_subrev_nc_u32_e32 v31, 29, v24
	v_sub_nc_u32_e32 v24, 30, v24
	v_lshlrev_b32_sdwa v31, v31, v22 dst_sel:DWORD dst_unused:UNUSED_PAD src0_sel:DWORD src1_sel:WORD_1
	v_cndmask_b32_e32 v24, v37, v24, vcc_lo
	v_and_b32_e32 v31, 3, v31
	v_lshl_add_u32 v24, v24, 23, 0x37800000
	v_cndmask_b32_e32 v19, v19, v31, vcc_lo
	v_and_b32_e32 v31, 0x80000000, v50
	v_lshlrev_b32_e32 v19, 21, v19
	v_or3_b32 v19, v31, v24, v19
.LBB6_6313:                             ;   in Loop: Header=BB6_5795 Depth=4
	s_or_b32 exec_lo, exec_lo, s74
	v_and_b32_sdwa v31, v11, v40 dst_sel:DWORD dst_unused:UNUSED_PAD src0_sel:WORD_1 src1_sel:DWORD
	s_mov_b32 s17, 0
	s_mov_b32 s74, exec_lo
	v_cmpx_lt_i16_e32 0x7f, v31
	s_xor_b32 s74, exec_lo, s74
	s_cbranch_execz .LBB6_6435
; %bb.6314:                             ;   in Loop: Header=BB6_5795 Depth=4
	s_mov_b32 s17, -1
	s_mov_b32 s75, exec_lo
	v_cmpx_eq_u16_e32 0x80, v31
; %bb.6315:                             ;   in Loop: Header=BB6_5795 Depth=4
	s_xor_b32 s17, exec_lo, -1
; %bb.6316:                             ;   in Loop: Header=BB6_5795 Depth=4
	s_or_b32 exec_lo, exec_lo, s75
	s_and_b32 s17, s17, exec_lo
                                        ; implicit-def: $vgpr31
	s_or_saveexec_b32 s74, s74
	v_mov_b32_e32 v24, 0x7f800001
	s_xor_b32 exec_lo, exec_lo, s74
	s_cbranch_execnz .LBB6_6436
.LBB6_6317:                             ;   in Loop: Header=BB6_5795 Depth=4
	s_or_b32 exec_lo, exec_lo, s74
	s_and_saveexec_b32 s74, s17
	s_cbranch_execz .LBB6_6319
.LBB6_6318:                             ;   in Loop: Header=BB6_5795 Depth=4
	v_mov_b32_e32 v24, 3
	v_bfe_u32 v50, v11, 18, 5
	v_lshlrev_b32_sdwa v51, v119, v11 dst_sel:DWORD dst_unused:UNUSED_PAD src0_sel:DWORD src1_sel:WORD_1
	v_and_b32_sdwa v24, v11, v24 dst_sel:DWORD dst_unused:UNUSED_PAD src0_sel:WORD_1 src1_sel:DWORD
	v_cmp_eq_u32_e32 vcc_lo, 0, v50
	v_ffbh_u32_e32 v31, v24
	v_min_u32_e32 v31, 32, v31
	v_subrev_nc_u32_e32 v37, 29, v31
	v_sub_nc_u32_e32 v31, 30, v31
	v_lshlrev_b32_sdwa v37, v37, v11 dst_sel:DWORD dst_unused:UNUSED_PAD src0_sel:DWORD src1_sel:WORD_1
	v_cndmask_b32_e32 v31, v50, v31, vcc_lo
	v_and_b32_e32 v37, 3, v37
	v_lshl_add_u32 v31, v31, 23, 0x37800000
	v_cndmask_b32_e32 v24, v24, v37, vcc_lo
	v_and_b32_e32 v37, 0x80000000, v51
	v_lshlrev_b32_e32 v24, 21, v24
	v_or3_b32 v24, v37, v31, v24
.LBB6_6319:                             ;   in Loop: Header=BB6_5795 Depth=4
	s_or_b32 exec_lo, exec_lo, s74
	v_add_f32_e32 v24, v19, v24
	v_and_b32_e32 v19, 0x7f800000, v24
	v_cmp_ne_u32_e32 vcc_lo, 0x7f800000, v19
	v_mov_b32_e32 v19, 0x80
	s_and_saveexec_b32 s74, vcc_lo
	s_cbranch_execz .LBB6_6327
; %bb.6320:                             ;   in Loop: Header=BB6_5795 Depth=4
	v_mov_b32_e32 v19, 0
	s_mov_b32 s75, exec_lo
	v_cmpx_ne_u32_e32 0, v24
	s_cbranch_execz .LBB6_6326
; %bb.6321:                             ;   in Loop: Header=BB6_5795 Depth=4
	v_bfe_u32 v19, v24, 23, 8
	v_and_b32_e32 v31, 0x7fffff, v24
	v_sub_nc_u32_e32 v37, 0x70, v19
	v_cmp_gt_u32_e32 vcc_lo, 0x71, v19
	v_or_b32_e32 v50, 0x800000, v31
	v_cndmask_b32_e32 v37, 0, v37, vcc_lo
	v_cmp_eq_u32_e32 vcc_lo, 0, v19
	v_add_nc_u32_e32 v19, 0xffffff91, v19
	v_cndmask_b32_e64 v37, v37, 0x6f, vcc_lo
	v_cndmask_b32_e32 v31, v50, v31, vcc_lo
	v_cndmask_b32_e64 v19, v19, 0xffffff92, vcc_lo
	v_lshl_add_u32 v50, 0x200000, v37, -1
	v_lshrrev_b32_e32 v51, v37, v31
	v_lshlrev_b32_e64 v53, v37, 0x100000
	v_add_nc_u32_e32 v37, v37, v19
	v_and_b32_e32 v31, v50, v31
	v_bfe_u32 v52, v51, 21, 1
	v_cmp_eq_u32_e64 s17, v31, v53
	v_add_nc_u32_e32 v50, -1, v52
	v_cndmask_b32_e64 v31, 0, v50, s17
	v_lshrrev_b32_e32 v50, 23, v51
	s_mov_b32 s17, exec_lo
	v_add_nc_u32_e32 v31, v31, v51
	v_xor_b32_e32 v50, 1, v50
	v_and_b32_e32 v19, 0x1fffff, v31
	v_add_nc_u32_e32 v31, v19, v51
                                        ; implicit-def: $vgpr19
	v_cmpx_ne_u32_e64 v37, v50
	s_xor_b32 s17, exec_lo, s17
; %bb.6322:                             ;   in Loop: Header=BB6_5795 Depth=4
	v_cmp_lt_u32_e32 vcc_lo, 0xffffff, v31
	v_sub_nc_u32_e32 v19, v37, v50
	v_cndmask_b32_e64 v37, 0, 1, vcc_lo
	v_add_co_ci_u32_e64 v19, null, 0, v19, vcc_lo
	v_lshrrev_b32_e32 v31, v37, v31
; %bb.6323:                             ;   in Loop: Header=BB6_5795 Depth=4
	s_andn2_saveexec_b32 s17, s17
; %bb.6324:                             ;   in Loop: Header=BB6_5795 Depth=4
	v_bfe_u32 v19, v31, 23, 1
; %bb.6325:                             ;   in Loop: Header=BB6_5795 Depth=4
	s_or_b32 exec_lo, exec_lo, s17
	v_lshrrev_b32_e32 v31, 21, v31
	v_min_i32_e32 v37, 31, v19
	v_cmp_gt_i32_e32 vcc_lo, 32, v19
	v_and_b32_sdwa v24, v24, v117 dst_sel:DWORD dst_unused:UNUSED_PAD src0_sel:BYTE_3 src1_sel:DWORD
	v_lshlrev_b32_e32 v37, 2, v37
	v_cndmask_b32_e32 v31, 3, v31, vcc_lo
	v_and_b32_e32 v37, 0xfc, v37
	v_and_b32_e32 v50, 3, v31
	v_or_b32_e32 v19, v19, v31
	v_or3_b32 v24, v37, v24, v50
	v_cmp_ne_u32_e32 vcc_lo, 0, v19
	v_cndmask_b32_e32 v19, 0, v24, vcc_lo
.LBB6_6326:                             ;   in Loop: Header=BB6_5795 Depth=4
	s_or_b32 exec_lo, exec_lo, s75
.LBB6_6327:                             ;   in Loop: Header=BB6_5795 Depth=4
	s_or_b32 exec_lo, exec_lo, s74
	v_cmp_gt_i16_sdwa s74, v22, v116 src0_sel:BYTE_3 src1_sel:DWORD
	s_mov_b32 s17, 0
	s_and_saveexec_b32 s75, s74
	s_xor_b32 s74, exec_lo, s75
	s_cbranch_execz .LBB6_6437
; %bb.6328:                             ;   in Loop: Header=BB6_5795 Depth=4
	v_cmp_eq_u16_sdwa s76, v22, v117 src0_sel:BYTE_3 src1_sel:DWORD
	s_mov_b32 s17, -1
	s_and_saveexec_b32 s75, s76
; %bb.6329:                             ;   in Loop: Header=BB6_5795 Depth=4
	s_xor_b32 s17, exec_lo, -1
; %bb.6330:                             ;   in Loop: Header=BB6_5795 Depth=4
	s_or_b32 exec_lo, exec_lo, s75
	s_and_b32 s17, s17, exec_lo
	s_or_saveexec_b32 s74, s74
	v_mov_b32_e32 v24, 0x7f800001
	s_xor_b32 exec_lo, exec_lo, s74
	s_cbranch_execnz .LBB6_6438
.LBB6_6331:                             ;   in Loop: Header=BB6_5795 Depth=4
	s_or_b32 exec_lo, exec_lo, s74
	s_and_saveexec_b32 s74, s17
	s_cbranch_execz .LBB6_6333
.LBB6_6332:                             ;   in Loop: Header=BB6_5795 Depth=4
	v_bfe_u32 v24, v22, 24, 2
	v_bfe_u32 v50, v22, 26, 5
	v_ffbh_u32_e32 v31, v24
	v_cmp_eq_u32_e32 vcc_lo, 0, v50
	v_min_u32_e32 v31, 32, v31
	v_subrev_nc_u32_e32 v37, 29, v31
	v_sub_nc_u32_e32 v31, 30, v31
	v_lshlrev_b32_sdwa v37, v37, v22 dst_sel:DWORD dst_unused:UNUSED_PAD src0_sel:DWORD src1_sel:BYTE_3
	v_cndmask_b32_e32 v31, v50, v31, vcc_lo
	v_and_b32_e32 v22, 0x80000000, v22
	v_and_b32_e32 v37, 3, v37
	v_lshl_add_u32 v31, v31, 23, 0x37800000
	v_cndmask_b32_e32 v24, v24, v37, vcc_lo
	v_lshlrev_b32_e32 v24, 21, v24
	v_or3_b32 v24, v22, v31, v24
.LBB6_6333:                             ;   in Loop: Header=BB6_5795 Depth=4
	s_or_b32 exec_lo, exec_lo, s74
	v_cmp_gt_i16_sdwa s74, v11, v116 src0_sel:BYTE_3 src1_sel:DWORD
	s_mov_b32 s17, 0
	s_and_saveexec_b32 s75, s74
	s_xor_b32 s74, exec_lo, s75
	s_cbranch_execz .LBB6_6439
; %bb.6334:                             ;   in Loop: Header=BB6_5795 Depth=4
	v_cmp_eq_u16_sdwa s76, v11, v117 src0_sel:BYTE_3 src1_sel:DWORD
	s_mov_b32 s17, -1
	s_and_saveexec_b32 s75, s76
; %bb.6335:                             ;   in Loop: Header=BB6_5795 Depth=4
	s_xor_b32 s17, exec_lo, -1
; %bb.6336:                             ;   in Loop: Header=BB6_5795 Depth=4
	s_or_b32 exec_lo, exec_lo, s75
	s_and_b32 s17, s17, exec_lo
	s_or_saveexec_b32 s74, s74
	v_mov_b32_e32 v22, 0x7f800001
	s_xor_b32 exec_lo, exec_lo, s74
	s_cbranch_execnz .LBB6_6440
.LBB6_6337:                             ;   in Loop: Header=BB6_5795 Depth=4
	s_or_b32 exec_lo, exec_lo, s74
	s_and_saveexec_b32 s74, s17
	s_cbranch_execz .LBB6_6339
.LBB6_6338:                             ;   in Loop: Header=BB6_5795 Depth=4
	v_mov_b32_e32 v22, 3
	v_bfe_u32 v50, v11, 26, 5
	v_and_b32_sdwa v22, v11, v22 dst_sel:DWORD dst_unused:UNUSED_PAD src0_sel:BYTE_3 src1_sel:DWORD
	v_cmp_eq_u32_e32 vcc_lo, 0, v50
	v_ffbh_u32_e32 v31, v22
	v_min_u32_e32 v31, 32, v31
	v_subrev_nc_u32_e32 v37, 29, v31
	v_sub_nc_u32_e32 v31, 30, v31
	v_lshlrev_b32_sdwa v37, v37, v11 dst_sel:DWORD dst_unused:UNUSED_PAD src0_sel:DWORD src1_sel:BYTE_3
	v_cndmask_b32_e32 v31, v50, v31, vcc_lo
	v_and_b32_e32 v11, 0x80000000, v11
	v_and_b32_e32 v37, 3, v37
	v_lshl_add_u32 v31, v31, 23, 0x37800000
	v_cndmask_b32_e32 v22, v22, v37, vcc_lo
	v_lshlrev_b32_e32 v22, 21, v22
	v_or3_b32 v22, v11, v31, v22
.LBB6_6339:                             ;   in Loop: Header=BB6_5795 Depth=4
	s_or_b32 exec_lo, exec_lo, s74
	v_add_f32_e32 v11, v24, v22
	v_and_b32_e32 v22, 0x7f800000, v11
	v_cmp_ne_u32_e32 vcc_lo, 0x7f800000, v22
	v_mov_b32_e32 v22, 0x8000
	s_and_saveexec_b32 s74, vcc_lo
	s_cbranch_execz .LBB6_5794
; %bb.6340:                             ;   in Loop: Header=BB6_5795 Depth=4
	v_mov_b32_e32 v22, 0
	s_mov_b32 s75, exec_lo
	v_cmpx_ne_u32_e32 0, v11
	s_cbranch_execz .LBB6_5793
; %bb.6341:                             ;   in Loop: Header=BB6_5795 Depth=4
	v_bfe_u32 v22, v11, 23, 8
	v_and_b32_e32 v24, 0x7fffff, v11
	v_sub_nc_u32_e32 v31, 0x70, v22
	v_cmp_gt_u32_e32 vcc_lo, 0x71, v22
	v_or_b32_e32 v37, 0x800000, v24
	v_cndmask_b32_e32 v31, 0, v31, vcc_lo
	v_cmp_eq_u32_e32 vcc_lo, 0, v22
	v_add_nc_u32_e32 v22, 0xffffff91, v22
	v_cndmask_b32_e64 v31, v31, 0x6f, vcc_lo
	v_cndmask_b32_e32 v24, v37, v24, vcc_lo
	v_cndmask_b32_e64 v22, v22, 0xffffff92, vcc_lo
	v_lshl_add_u32 v37, 0x200000, v31, -1
	v_lshrrev_b32_e32 v50, v31, v24
	v_lshlrev_b32_e64 v52, v31, 0x100000
	v_add_nc_u32_e32 v31, v31, v22
	v_and_b32_e32 v24, v37, v24
	v_bfe_u32 v51, v50, 21, 1
	v_cmp_eq_u32_e64 s17, v24, v52
	v_add_nc_u32_e32 v37, -1, v51
	v_cndmask_b32_e64 v24, 0, v37, s17
	v_lshrrev_b32_e32 v37, 23, v50
	s_mov_b32 s17, exec_lo
	v_add_nc_u32_e32 v24, v24, v50
	v_xor_b32_e32 v37, 1, v37
	v_and_b32_e32 v22, 0x1fffff, v24
	v_add_nc_u32_e32 v24, v22, v50
                                        ; implicit-def: $vgpr22
	v_cmpx_ne_u32_e64 v31, v37
	s_xor_b32 s17, exec_lo, s17
; %bb.6342:                             ;   in Loop: Header=BB6_5795 Depth=4
	v_cmp_lt_u32_e32 vcc_lo, 0xffffff, v24
	v_sub_nc_u32_e32 v22, v31, v37
	v_cndmask_b32_e64 v31, 0, 1, vcc_lo
	v_add_co_ci_u32_e64 v22, null, 0, v22, vcc_lo
	v_lshrrev_b32_e32 v24, v31, v24
; %bb.6343:                             ;   in Loop: Header=BB6_5795 Depth=4
	s_andn2_saveexec_b32 s17, s17
	s_cbranch_execz .LBB6_5792
; %bb.6344:                             ;   in Loop: Header=BB6_5795 Depth=4
	v_bfe_u32 v22, v24, 23, 1
	s_branch .LBB6_5792
.LBB6_6345:                             ;   in Loop: Header=BB6_5795 Depth=4
	s_or_saveexec_b32 s75, s75
	v_mov_b32_e32 v18, 0x7f800001
	s_xor_b32 exec_lo, exec_lo, s75
	s_cbranch_execz .LBB6_5807
.LBB6_6346:                             ;   in Loop: Header=BB6_5795 Depth=4
	v_cmp_ne_u16_sdwa s76, v8, v2 src0_sel:BYTE_0 src1_sel:DWORD
	v_mov_b32_e32 v18, 0
	s_andn2_b32 s17, s17, exec_lo
	s_and_b32 s76, s76, exec_lo
	s_or_b32 s17, s17, s76
	s_or_b32 exec_lo, exec_lo, s75
	s_and_saveexec_b32 s75, s17
	s_cbranch_execnz .LBB6_5808
	s_branch .LBB6_5809
.LBB6_6347:                             ;   in Loop: Header=BB6_5795 Depth=4
	s_or_saveexec_b32 s75, s75
	v_mov_b32_e32 v19, 0x7f800001
	s_xor_b32 exec_lo, exec_lo, s75
	s_cbranch_execz .LBB6_5821
.LBB6_6348:                             ;   in Loop: Header=BB6_5795 Depth=4
	v_cmp_ne_u16_sdwa s76, v8, v2 src0_sel:BYTE_1 src1_sel:DWORD
	v_mov_b32_e32 v19, 0
	s_andn2_b32 s17, s17, exec_lo
	s_and_b32 s76, s76, exec_lo
	s_or_b32 s17, s17, s76
	s_or_b32 exec_lo, exec_lo, s75
	s_and_saveexec_b32 s75, s17
	s_cbranch_execnz .LBB6_5822
	s_branch .LBB6_5823
.LBB6_6349:                             ;   in Loop: Header=BB6_5795 Depth=4
	s_or_saveexec_b32 s75, s75
	v_mov_b32_e32 v19, 0x7f800001
	s_xor_b32 exec_lo, exec_lo, s75
	s_cbranch_execz .LBB6_5835
.LBB6_6350:                             ;   in Loop: Header=BB6_5795 Depth=4
	v_cmp_ne_u16_e32 vcc_lo, 0, v20
	v_mov_b32_e32 v19, 0
	s_andn2_b32 s17, s17, exec_lo
	s_and_b32 s76, vcc_lo, exec_lo
	s_or_b32 s17, s17, s76
	s_or_b32 exec_lo, exec_lo, s75
	s_and_saveexec_b32 s75, s17
	s_cbranch_execnz .LBB6_5836
	s_branch .LBB6_5837
.LBB6_6351:                             ;   in Loop: Header=BB6_5795 Depth=4
	s_or_saveexec_b32 s75, s75
	v_mov_b32_e32 v19, 0x7f800001
	s_xor_b32 exec_lo, exec_lo, s75
	s_cbranch_execz .LBB6_5849
.LBB6_6352:                             ;   in Loop: Header=BB6_5795 Depth=4
	v_cmp_ne_u16_sdwa s76, v8, v2 src0_sel:BYTE_3 src1_sel:DWORD
	v_mov_b32_e32 v19, 0
	s_andn2_b32 s17, s17, exec_lo
	s_and_b32 s76, s76, exec_lo
	s_or_b32 s17, s17, s76
	s_or_b32 exec_lo, exec_lo, s75
	s_and_saveexec_b32 s75, s17
	s_cbranch_execnz .LBB6_5850
	s_branch .LBB6_5851
.LBB6_6353:                             ;   in Loop: Header=BB6_5795 Depth=4
	s_or_saveexec_b32 s75, s75
	v_mov_b32_e32 v8, 0x7f800001
	s_xor_b32 exec_lo, exec_lo, s75
	s_cbranch_execz .LBB6_5863
.LBB6_6354:                             ;   in Loop: Header=BB6_5795 Depth=4
	v_cmp_ne_u16_sdwa s76, v9, v2 src0_sel:BYTE_0 src1_sel:DWORD
	v_mov_b32_e32 v8, 0
	s_andn2_b32 s17, s17, exec_lo
	s_and_b32 s76, s76, exec_lo
	s_or_b32 s17, s17, s76
	s_or_b32 exec_lo, exec_lo, s75
	s_and_saveexec_b32 s75, s17
	s_cbranch_execnz .LBB6_5864
	s_branch .LBB6_5865
.LBB6_6355:                             ;   in Loop: Header=BB6_5795 Depth=4
	s_or_saveexec_b32 s75, s75
	v_mov_b32_e32 v8, 0x7f800001
	s_xor_b32 exec_lo, exec_lo, s75
	s_cbranch_execz .LBB6_5877
.LBB6_6356:                             ;   in Loop: Header=BB6_5795 Depth=4
	v_cmp_ne_u16_sdwa s76, v9, v2 src0_sel:BYTE_1 src1_sel:DWORD
	v_mov_b32_e32 v8, 0
	s_andn2_b32 s17, s17, exec_lo
	s_and_b32 s76, s76, exec_lo
	s_or_b32 s17, s17, s76
	s_or_b32 exec_lo, exec_lo, s75
	s_and_saveexec_b32 s75, s17
	s_cbranch_execnz .LBB6_5878
	s_branch .LBB6_5879
.LBB6_6357:                             ;   in Loop: Header=BB6_5795 Depth=4
	s_or_saveexec_b32 s75, s75
	v_mov_b32_e32 v8, 0x7f800001
	s_xor_b32 exec_lo, exec_lo, s75
	s_cbranch_execz .LBB6_5891
.LBB6_6358:                             ;   in Loop: Header=BB6_5795 Depth=4
	v_cmp_ne_u16_e32 vcc_lo, 0, v19
	v_mov_b32_e32 v8, 0
	s_andn2_b32 s17, s17, exec_lo
	s_and_b32 s76, vcc_lo, exec_lo
	s_or_b32 s17, s17, s76
	s_or_b32 exec_lo, exec_lo, s75
	s_and_saveexec_b32 s75, s17
	s_cbranch_execnz .LBB6_5892
	s_branch .LBB6_5893
.LBB6_6359:                             ;   in Loop: Header=BB6_5795 Depth=4
	s_or_saveexec_b32 s75, s75
	v_mov_b32_e32 v8, 0x7f800001
	s_xor_b32 exec_lo, exec_lo, s75
	s_cbranch_execz .LBB6_5905
.LBB6_6360:                             ;   in Loop: Header=BB6_5795 Depth=4
	v_cmp_ne_u16_sdwa s76, v9, v2 src0_sel:BYTE_3 src1_sel:DWORD
	v_mov_b32_e32 v8, 0
	s_andn2_b32 s17, s17, exec_lo
	s_and_b32 s76, s76, exec_lo
	s_or_b32 s17, s17, s76
	s_or_b32 exec_lo, exec_lo, s75
	s_and_saveexec_b32 s75, s17
	s_cbranch_execnz .LBB6_5906
	s_branch .LBB6_5907
.LBB6_6361:                             ;   in Loop: Header=BB6_5795 Depth=4
	s_or_saveexec_b32 s75, s75
	v_mov_b32_e32 v8, 0x7f800001
	s_xor_b32 exec_lo, exec_lo, s75
	s_cbranch_execz .LBB6_5919
.LBB6_6362:                             ;   in Loop: Header=BB6_5795 Depth=4
	v_cmp_ne_u16_sdwa s76, v10, v2 src0_sel:BYTE_0 src1_sel:DWORD
	v_mov_b32_e32 v8, 0
	s_andn2_b32 s17, s17, exec_lo
	s_and_b32 s76, s76, exec_lo
	s_or_b32 s17, s17, s76
	s_or_b32 exec_lo, exec_lo, s75
	s_and_saveexec_b32 s75, s17
	s_cbranch_execnz .LBB6_5920
	s_branch .LBB6_5921
.LBB6_6363:                             ;   in Loop: Header=BB6_5795 Depth=4
	s_or_saveexec_b32 s75, s75
	v_mov_b32_e32 v8, 0x7f800001
	s_xor_b32 exec_lo, exec_lo, s75
	s_cbranch_execz .LBB6_5933
.LBB6_6364:                             ;   in Loop: Header=BB6_5795 Depth=4
	v_cmp_ne_u16_sdwa s76, v10, v2 src0_sel:BYTE_1 src1_sel:DWORD
	v_mov_b32_e32 v8, 0
	s_andn2_b32 s17, s17, exec_lo
	s_and_b32 s76, s76, exec_lo
	s_or_b32 s17, s17, s76
	s_or_b32 exec_lo, exec_lo, s75
	s_and_saveexec_b32 s75, s17
	s_cbranch_execnz .LBB6_5934
	s_branch .LBB6_5935
.LBB6_6365:                             ;   in Loop: Header=BB6_5795 Depth=4
	s_or_saveexec_b32 s75, s75
	v_mov_b32_e32 v8, 0x7f800001
	s_xor_b32 exec_lo, exec_lo, s75
	s_cbranch_execz .LBB6_5947
.LBB6_6366:                             ;   in Loop: Header=BB6_5795 Depth=4
	v_cmp_ne_u16_e32 vcc_lo, 0, v9
	v_mov_b32_e32 v8, 0
	s_andn2_b32 s17, s17, exec_lo
	s_and_b32 s76, vcc_lo, exec_lo
	s_or_b32 s17, s17, s76
	s_or_b32 exec_lo, exec_lo, s75
	s_and_saveexec_b32 s75, s17
	s_cbranch_execnz .LBB6_5948
	s_branch .LBB6_5949
.LBB6_6367:                             ;   in Loop: Header=BB6_5795 Depth=4
	s_or_saveexec_b32 s75, s75
	v_mov_b32_e32 v8, 0x7f800001
	s_xor_b32 exec_lo, exec_lo, s75
	s_cbranch_execz .LBB6_5961
.LBB6_6368:                             ;   in Loop: Header=BB6_5795 Depth=4
	v_cmp_ne_u16_sdwa s76, v10, v2 src0_sel:BYTE_3 src1_sel:DWORD
	v_mov_b32_e32 v8, 0
	s_andn2_b32 s17, s17, exec_lo
	s_and_b32 s76, s76, exec_lo
	s_or_b32 s17, s17, s76
	s_or_b32 exec_lo, exec_lo, s75
	s_and_saveexec_b32 s75, s17
	s_cbranch_execnz .LBB6_5962
	s_branch .LBB6_5963
.LBB6_6369:                             ;   in Loop: Header=BB6_5795 Depth=4
	s_or_saveexec_b32 s75, s75
	v_mov_b32_e32 v8, 0x7f800001
	s_xor_b32 exec_lo, exec_lo, s75
	s_cbranch_execz .LBB6_5975
.LBB6_6370:                             ;   in Loop: Header=BB6_5795 Depth=4
	v_cmp_ne_u16_sdwa s76, v11, v2 src0_sel:BYTE_0 src1_sel:DWORD
	v_mov_b32_e32 v8, 0
	s_andn2_b32 s17, s17, exec_lo
	s_and_b32 s76, s76, exec_lo
	s_or_b32 s17, s17, s76
	s_or_b32 exec_lo, exec_lo, s75
	s_and_saveexec_b32 s75, s17
	s_cbranch_execnz .LBB6_5976
	s_branch .LBB6_5977
.LBB6_6371:                             ;   in Loop: Header=BB6_5795 Depth=4
	s_or_saveexec_b32 s75, s75
	v_mov_b32_e32 v8, 0x7f800001
	s_xor_b32 exec_lo, exec_lo, s75
	s_cbranch_execz .LBB6_5989
.LBB6_6372:                             ;   in Loop: Header=BB6_5795 Depth=4
	v_cmp_ne_u16_sdwa s76, v11, v2 src0_sel:BYTE_1 src1_sel:DWORD
	v_mov_b32_e32 v8, 0
	s_andn2_b32 s17, s17, exec_lo
	s_and_b32 s76, s76, exec_lo
	s_or_b32 s17, s17, s76
	s_or_b32 exec_lo, exec_lo, s75
	s_and_saveexec_b32 s75, s17
	s_cbranch_execnz .LBB6_5990
	s_branch .LBB6_5991
.LBB6_6373:                             ;   in Loop: Header=BB6_5795 Depth=4
	s_or_saveexec_b32 s75, s75
	v_mov_b32_e32 v8, 0x7f800001
	s_xor_b32 exec_lo, exec_lo, s75
	s_cbranch_execz .LBB6_6003
.LBB6_6374:                             ;   in Loop: Header=BB6_5795 Depth=4
	v_cmp_ne_u16_e32 vcc_lo, 0, v9
	v_mov_b32_e32 v8, 0
	s_andn2_b32 s17, s17, exec_lo
	s_and_b32 s76, vcc_lo, exec_lo
	s_or_b32 s17, s17, s76
	s_or_b32 exec_lo, exec_lo, s75
	s_and_saveexec_b32 s75, s17
	s_cbranch_execnz .LBB6_6004
	s_branch .LBB6_6005
.LBB6_6375:                             ;   in Loop: Header=BB6_5795 Depth=4
	s_or_saveexec_b32 s75, s75
	v_mov_b32_e32 v8, 0x7f800001
	s_xor_b32 exec_lo, exec_lo, s75
	s_cbranch_execz .LBB6_6017
.LBB6_6376:                             ;   in Loop: Header=BB6_5795 Depth=4
	v_cmp_ne_u16_sdwa s76, v11, v2 src0_sel:BYTE_3 src1_sel:DWORD
	v_mov_b32_e32 v8, 0
	s_andn2_b32 s17, s17, exec_lo
	s_and_b32 s76, s76, exec_lo
	s_or_b32 s17, s17, s76
	s_or_b32 exec_lo, exec_lo, s75
	s_and_saveexec_b32 s75, s17
	s_cbranch_execnz .LBB6_6018
	s_branch .LBB6_6019
.LBB6_6377:                             ;   in Loop: Header=BB6_5795 Depth=4
	s_or_saveexec_b32 s74, s74
	v_mov_b32_e32 v18, 0x7f800001
	s_xor_b32 exec_lo, exec_lo, s74
	s_cbranch_execz .LBB6_6031
.LBB6_6378:                             ;   in Loop: Header=BB6_5795 Depth=4
	v_cmp_ne_u16_sdwa s75, v50, v2 src0_sel:BYTE_0 src1_sel:DWORD
	v_mov_b32_e32 v18, 0
	s_andn2_b32 s17, s17, exec_lo
	s_and_b32 s75, s75, exec_lo
	s_or_b32 s17, s17, s75
	s_or_b32 exec_lo, exec_lo, s74
	s_and_saveexec_b32 s74, s17
	s_cbranch_execnz .LBB6_6032
	s_branch .LBB6_6033
.LBB6_6379:                             ;   in Loop: Header=BB6_5795 Depth=4
	s_or_saveexec_b32 s74, s74
	v_mov_b32_e32 v21, 0x7f800001
	s_xor_b32 exec_lo, exec_lo, s74
	s_cbranch_execz .LBB6_6037
.LBB6_6380:                             ;   in Loop: Header=BB6_5795 Depth=4
	v_cmp_ne_u16_sdwa s75, v8, v2 src0_sel:BYTE_0 src1_sel:DWORD
	v_mov_b32_e32 v21, 0
	s_andn2_b32 s17, s17, exec_lo
	s_and_b32 s75, s75, exec_lo
	s_or_b32 s17, s17, s75
	s_or_b32 exec_lo, exec_lo, s74
	s_and_saveexec_b32 s74, s17
	s_cbranch_execnz .LBB6_6038
	s_branch .LBB6_6039
.LBB6_6381:                             ;   in Loop: Header=BB6_5795 Depth=4
	s_or_saveexec_b32 s74, s74
	v_mov_b32_e32 v21, 0x7f800001
	s_xor_b32 exec_lo, exec_lo, s74
	s_cbranch_execz .LBB6_6051
.LBB6_6382:                             ;   in Loop: Header=BB6_5795 Depth=4
	v_cmp_ne_u16_sdwa s75, v50, v2 src0_sel:BYTE_1 src1_sel:DWORD
	v_mov_b32_e32 v21, 0
	s_andn2_b32 s17, s17, exec_lo
	s_and_b32 s75, s75, exec_lo
	s_or_b32 s17, s17, s75
	s_or_b32 exec_lo, exec_lo, s74
	s_and_saveexec_b32 s74, s17
	s_cbranch_execnz .LBB6_6052
	s_branch .LBB6_6053
.LBB6_6383:                             ;   in Loop: Header=BB6_5795 Depth=4
	s_or_saveexec_b32 s74, s74
	v_mov_b32_e32 v51, 0x7f800001
	s_xor_b32 exec_lo, exec_lo, s74
	s_cbranch_execz .LBB6_6057
.LBB6_6384:                             ;   in Loop: Header=BB6_5795 Depth=4
	v_cmp_ne_u16_sdwa s75, v8, v2 src0_sel:BYTE_1 src1_sel:DWORD
	v_mov_b32_e32 v51, 0
	s_andn2_b32 s17, s17, exec_lo
	s_and_b32 s75, s75, exec_lo
	s_or_b32 s17, s17, s75
	s_or_b32 exec_lo, exec_lo, s74
	s_and_saveexec_b32 s74, s17
	s_cbranch_execnz .LBB6_6058
	s_branch .LBB6_6059
.LBB6_6385:                             ;   in Loop: Header=BB6_5795 Depth=4
	s_or_saveexec_b32 s74, s74
	v_mov_b32_e32 v26, 0x7f800001
	s_xor_b32 exec_lo, exec_lo, s74
	s_cbranch_execz .LBB6_6071
.LBB6_6386:                             ;   in Loop: Header=BB6_5795 Depth=4
	v_cmp_ne_u16_sdwa s75, v37, v2 src0_sel:BYTE_0 src1_sel:DWORD
	v_mov_b32_e32 v26, 0
	s_andn2_b32 s17, s17, exec_lo
	s_and_b32 s75, s75, exec_lo
	s_or_b32 s17, s17, s75
	s_or_b32 exec_lo, exec_lo, s74
	v_lshl_or_b32 v37, v37, 16, v50
	s_and_saveexec_b32 s74, s17
	s_cbranch_execnz .LBB6_6072
	s_branch .LBB6_6073
.LBB6_6387:                             ;   in Loop: Header=BB6_5795 Depth=4
	s_or_saveexec_b32 s74, s74
	v_mov_b32_e32 v50, 0x7f800001
	s_xor_b32 exec_lo, exec_lo, s74
	s_cbranch_execz .LBB6_6077
.LBB6_6388:                             ;   in Loop: Header=BB6_5795 Depth=4
	v_cmp_ne_u16_e32 vcc_lo, 0, v51
	v_mov_b32_e32 v50, 0
	s_andn2_b32 s17, s17, exec_lo
	s_and_b32 s75, vcc_lo, exec_lo
	s_or_b32 s17, s17, s75
	s_or_b32 exec_lo, exec_lo, s74
	s_and_saveexec_b32 s74, s17
	s_cbranch_execnz .LBB6_6078
	s_branch .LBB6_6079
.LBB6_6389:                             ;   in Loop: Header=BB6_5795 Depth=4
	s_or_saveexec_b32 s74, s74
	v_mov_b32_e32 v50, 0x7f800001
	s_xor_b32 exec_lo, exec_lo, s74
	s_cbranch_execz .LBB6_6091
.LBB6_6390:                             ;   in Loop: Header=BB6_5795 Depth=4
	v_cmp_ne_u16_sdwa s75, v37, v2 src0_sel:BYTE_3 src1_sel:DWORD
	v_mov_b32_e32 v50, 0
	s_andn2_b32 s17, s17, exec_lo
	s_and_b32 s75, s75, exec_lo
	s_or_b32 s17, s17, s75
	s_or_b32 exec_lo, exec_lo, s74
	s_and_saveexec_b32 s74, s17
	s_cbranch_execnz .LBB6_6092
	s_branch .LBB6_6093
.LBB6_6391:                             ;   in Loop: Header=BB6_5795 Depth=4
	s_or_saveexec_b32 s74, s74
	v_mov_b32_e32 v37, 0x7f800001
	s_xor_b32 exec_lo, exec_lo, s74
	s_cbranch_execz .LBB6_6097
.LBB6_6392:                             ;   in Loop: Header=BB6_5795 Depth=4
	v_cmp_ne_u16_sdwa s75, v8, v2 src0_sel:BYTE_3 src1_sel:DWORD
	v_mov_b32_e32 v37, 0
	s_andn2_b32 s17, s17, exec_lo
	s_and_b32 s75, s75, exec_lo
	s_or_b32 s17, s17, s75
	s_or_b32 exec_lo, exec_lo, s74
	s_and_saveexec_b32 s74, s17
	s_cbranch_execnz .LBB6_6098
	s_branch .LBB6_6099
.LBB6_6393:                             ;   in Loop: Header=BB6_5795 Depth=4
	s_or_saveexec_b32 s74, s74
	v_mov_b32_e32 v30, 0x7f800001
	s_xor_b32 exec_lo, exec_lo, s74
	s_cbranch_execz .LBB6_6111
.LBB6_6394:                             ;   in Loop: Header=BB6_5795 Depth=4
	v_cmp_ne_u16_sdwa s75, v37, v2 src0_sel:BYTE_0 src1_sel:DWORD
	v_mov_b32_e32 v30, 0
	s_andn2_b32 s17, s17, exec_lo
	s_and_b32 s75, s75, exec_lo
	s_or_b32 s17, s17, s75
	s_or_b32 exec_lo, exec_lo, s74
	s_and_saveexec_b32 s74, s17
	s_cbranch_execnz .LBB6_6112
	s_branch .LBB6_6113
.LBB6_6395:                             ;   in Loop: Header=BB6_5795 Depth=4
	s_or_saveexec_b32 s74, s74
	v_mov_b32_e32 v36, 0x7f800001
	s_xor_b32 exec_lo, exec_lo, s74
	s_cbranch_execz .LBB6_6117
.LBB6_6396:                             ;   in Loop: Header=BB6_5795 Depth=4
	v_cmp_ne_u16_sdwa s75, v9, v2 src0_sel:BYTE_0 src1_sel:DWORD
	v_mov_b32_e32 v36, 0
	s_andn2_b32 s17, s17, exec_lo
	s_and_b32 s75, s75, exec_lo
	s_or_b32 s17, s17, s75
	s_or_b32 exec_lo, exec_lo, s74
	s_and_saveexec_b32 s74, s17
	s_cbranch_execnz .LBB6_6118
	s_branch .LBB6_6119
.LBB6_6397:                             ;   in Loop: Header=BB6_5795 Depth=4
	s_or_saveexec_b32 s74, s74
	v_mov_b32_e32 v36, 0x7f800001
	s_xor_b32 exec_lo, exec_lo, s74
	s_cbranch_execz .LBB6_6131
.LBB6_6398:                             ;   in Loop: Header=BB6_5795 Depth=4
	v_cmp_ne_u16_sdwa s75, v37, v2 src0_sel:BYTE_1 src1_sel:DWORD
	v_mov_b32_e32 v36, 0
	s_andn2_b32 s17, s17, exec_lo
	s_and_b32 s75, s75, exec_lo
	s_or_b32 s17, s17, s75
	s_or_b32 exec_lo, exec_lo, s74
	s_and_saveexec_b32 s74, s17
	s_cbranch_execnz .LBB6_6132
	s_branch .LBB6_6133
.LBB6_6399:                             ;   in Loop: Header=BB6_5795 Depth=4
	s_or_saveexec_b32 s74, s74
	v_mov_b32_e32 v50, 0x7f800001
	s_xor_b32 exec_lo, exec_lo, s74
	s_cbranch_execz .LBB6_6137
.LBB6_6400:                             ;   in Loop: Header=BB6_5795 Depth=4
	v_cmp_ne_u16_sdwa s75, v9, v2 src0_sel:BYTE_1 src1_sel:DWORD
	v_mov_b32_e32 v50, 0
	s_andn2_b32 s17, s17, exec_lo
	s_and_b32 s75, s75, exec_lo
	s_or_b32 s17, s17, s75
	s_or_b32 exec_lo, exec_lo, s74
	s_and_saveexec_b32 s74, s17
	s_cbranch_execnz .LBB6_6138
	s_branch .LBB6_6139
.LBB6_6401:                             ;   in Loop: Header=BB6_5795 Depth=4
	s_or_saveexec_b32 s74, s74
	v_mov_b32_e32 v28, 0x7f800001
	s_xor_b32 exec_lo, exec_lo, s74
	s_cbranch_execz .LBB6_6151
.LBB6_6402:                             ;   in Loop: Header=BB6_5795 Depth=4
	v_cmp_ne_u16_sdwa s75, v31, v2 src0_sel:BYTE_0 src1_sel:DWORD
	v_mov_b32_e32 v28, 0
	s_andn2_b32 s17, s17, exec_lo
	s_and_b32 s75, s75, exec_lo
	s_or_b32 s17, s17, s75
	s_or_b32 exec_lo, exec_lo, s74
	v_lshl_or_b32 v31, v31, 16, v37
	s_and_saveexec_b32 s74, s17
	s_cbranch_execnz .LBB6_6152
	s_branch .LBB6_6153
.LBB6_6403:                             ;   in Loop: Header=BB6_5795 Depth=4
	s_or_saveexec_b32 s74, s74
	v_mov_b32_e32 v37, 0x7f800001
	s_xor_b32 exec_lo, exec_lo, s74
	s_cbranch_execz .LBB6_6157
.LBB6_6404:                             ;   in Loop: Header=BB6_5795 Depth=4
	v_cmp_ne_u16_e32 vcc_lo, 0, v50
	v_mov_b32_e32 v37, 0
	s_andn2_b32 s17, s17, exec_lo
	s_and_b32 s75, vcc_lo, exec_lo
	s_or_b32 s17, s17, s75
	s_or_b32 exec_lo, exec_lo, s74
	s_and_saveexec_b32 s74, s17
	s_cbranch_execnz .LBB6_6158
	s_branch .LBB6_6159
.LBB6_6405:                             ;   in Loop: Header=BB6_5795 Depth=4
	s_or_saveexec_b32 s74, s74
	v_mov_b32_e32 v37, 0x7f800001
	s_xor_b32 exec_lo, exec_lo, s74
	s_cbranch_execz .LBB6_6171
.LBB6_6406:                             ;   in Loop: Header=BB6_5795 Depth=4
	v_cmp_ne_u16_sdwa s75, v31, v2 src0_sel:BYTE_3 src1_sel:DWORD
	v_mov_b32_e32 v37, 0
	s_andn2_b32 s17, s17, exec_lo
	s_and_b32 s75, s75, exec_lo
	s_or_b32 s17, s17, s75
	s_or_b32 exec_lo, exec_lo, s74
	s_and_saveexec_b32 s74, s17
	s_cbranch_execnz .LBB6_6172
	s_branch .LBB6_6173
.LBB6_6407:                             ;   in Loop: Header=BB6_5795 Depth=4
	s_or_saveexec_b32 s74, s74
	v_mov_b32_e32 v31, 0x7f800001
	s_xor_b32 exec_lo, exec_lo, s74
	s_cbranch_execz .LBB6_6177
.LBB6_6408:                             ;   in Loop: Header=BB6_5795 Depth=4
	v_cmp_ne_u16_sdwa s75, v9, v2 src0_sel:BYTE_3 src1_sel:DWORD
	v_mov_b32_e32 v31, 0
	s_andn2_b32 s17, s17, exec_lo
	s_and_b32 s75, s75, exec_lo
	s_or_b32 s17, s17, s75
	s_or_b32 exec_lo, exec_lo, s74
	s_and_saveexec_b32 s74, s17
	s_cbranch_execnz .LBB6_6178
	s_branch .LBB6_6179
.LBB6_6409:                             ;   in Loop: Header=BB6_5795 Depth=4
	s_or_saveexec_b32 s74, s74
	v_mov_b32_e32 v25, 0x7f800001
	s_xor_b32 exec_lo, exec_lo, s74
	s_cbranch_execz .LBB6_6191
.LBB6_6410:                             ;   in Loop: Header=BB6_5795 Depth=4
	v_cmp_ne_u16_sdwa s75, v31, v2 src0_sel:BYTE_0 src1_sel:DWORD
	v_mov_b32_e32 v25, 0
	s_andn2_b32 s17, s17, exec_lo
	s_and_b32 s75, s75, exec_lo
	s_or_b32 s17, s17, s75
	s_or_b32 exec_lo, exec_lo, s74
	s_and_saveexec_b32 s74, s17
	s_cbranch_execnz .LBB6_6192
	s_branch .LBB6_6193
.LBB6_6411:                             ;   in Loop: Header=BB6_5795 Depth=4
	s_or_saveexec_b32 s74, s74
	v_mov_b32_e32 v29, 0x7f800001
	s_xor_b32 exec_lo, exec_lo, s74
	s_cbranch_execz .LBB6_6197
.LBB6_6412:                             ;   in Loop: Header=BB6_5795 Depth=4
	v_cmp_ne_u16_sdwa s75, v10, v2 src0_sel:BYTE_0 src1_sel:DWORD
	v_mov_b32_e32 v29, 0
	s_andn2_b32 s17, s17, exec_lo
	s_and_b32 s75, s75, exec_lo
	s_or_b32 s17, s17, s75
	s_or_b32 exec_lo, exec_lo, s74
	s_and_saveexec_b32 s74, s17
	s_cbranch_execnz .LBB6_6198
	s_branch .LBB6_6199
.LBB6_6413:                             ;   in Loop: Header=BB6_5795 Depth=4
	s_or_saveexec_b32 s74, s74
	v_mov_b32_e32 v29, 0x7f800001
	s_xor_b32 exec_lo, exec_lo, s74
	s_cbranch_execz .LBB6_6211
.LBB6_6414:                             ;   in Loop: Header=BB6_5795 Depth=4
	v_cmp_ne_u16_sdwa s75, v31, v2 src0_sel:BYTE_1 src1_sel:DWORD
	v_mov_b32_e32 v29, 0
	s_andn2_b32 s17, s17, exec_lo
	s_and_b32 s75, s75, exec_lo
	s_or_b32 s17, s17, s75
	s_or_b32 exec_lo, exec_lo, s74
	s_and_saveexec_b32 s74, s17
	s_cbranch_execnz .LBB6_6212
	s_branch .LBB6_6213
.LBB6_6415:                             ;   in Loop: Header=BB6_5795 Depth=4
	s_or_saveexec_b32 s74, s74
	v_mov_b32_e32 v37, 0x7f800001
	s_xor_b32 exec_lo, exec_lo, s74
	s_cbranch_execz .LBB6_6217
.LBB6_6416:                             ;   in Loop: Header=BB6_5795 Depth=4
	v_cmp_ne_u16_sdwa s75, v10, v2 src0_sel:BYTE_1 src1_sel:DWORD
	v_mov_b32_e32 v37, 0
	s_andn2_b32 s17, s17, exec_lo
	s_and_b32 s75, s75, exec_lo
	s_or_b32 s17, s17, s75
	s_or_b32 exec_lo, exec_lo, s74
	s_and_saveexec_b32 s74, s17
	s_cbranch_execnz .LBB6_6218
	s_branch .LBB6_6219
.LBB6_6417:                             ;   in Loop: Header=BB6_5795 Depth=4
	s_or_saveexec_b32 s74, s74
	v_mov_b32_e32 v23, 0x7f800001
	s_xor_b32 exec_lo, exec_lo, s74
	s_cbranch_execz .LBB6_6231
.LBB6_6418:                             ;   in Loop: Header=BB6_5795 Depth=4
	v_cmp_ne_u16_sdwa s75, v27, v2 src0_sel:BYTE_0 src1_sel:DWORD
	v_mov_b32_e32 v23, 0
	s_andn2_b32 s17, s17, exec_lo
	s_and_b32 s75, s75, exec_lo
	s_or_b32 s17, s17, s75
	s_or_b32 exec_lo, exec_lo, s74
	v_lshl_or_b32 v27, v27, 16, v31
	s_and_saveexec_b32 s74, s17
	s_cbranch_execnz .LBB6_6232
	s_branch .LBB6_6233
.LBB6_6419:                             ;   in Loop: Header=BB6_5795 Depth=4
	s_or_saveexec_b32 s74, s74
	v_mov_b32_e32 v31, 0x7f800001
	s_xor_b32 exec_lo, exec_lo, s74
	s_cbranch_execz .LBB6_6237
.LBB6_6420:                             ;   in Loop: Header=BB6_5795 Depth=4
	v_cmp_ne_u16_e32 vcc_lo, 0, v37
	v_mov_b32_e32 v31, 0
	s_andn2_b32 s17, s17, exec_lo
	s_and_b32 s75, vcc_lo, exec_lo
	s_or_b32 s17, s17, s75
	s_or_b32 exec_lo, exec_lo, s74
	s_and_saveexec_b32 s74, s17
	s_cbranch_execnz .LBB6_6238
	s_branch .LBB6_6239
.LBB6_6421:                             ;   in Loop: Header=BB6_5795 Depth=4
	s_or_saveexec_b32 s74, s74
	v_mov_b32_e32 v31, 0x7f800001
	s_xor_b32 exec_lo, exec_lo, s74
	s_cbranch_execz .LBB6_6251
.LBB6_6422:                             ;   in Loop: Header=BB6_5795 Depth=4
	v_cmp_ne_u16_sdwa s75, v27, v2 src0_sel:BYTE_3 src1_sel:DWORD
	v_mov_b32_e32 v31, 0
	s_andn2_b32 s17, s17, exec_lo
	s_and_b32 s75, s75, exec_lo
	s_or_b32 s17, s17, s75
	s_or_b32 exec_lo, exec_lo, s74
	s_and_saveexec_b32 s74, s17
	s_cbranch_execnz .LBB6_6252
	s_branch .LBB6_6253
.LBB6_6423:                             ;   in Loop: Header=BB6_5795 Depth=4
	s_or_saveexec_b32 s74, s74
	v_mov_b32_e32 v27, 0x7f800001
	s_xor_b32 exec_lo, exec_lo, s74
	s_cbranch_execz .LBB6_6257
.LBB6_6424:                             ;   in Loop: Header=BB6_5795 Depth=4
	v_cmp_ne_u16_sdwa s75, v10, v2 src0_sel:BYTE_3 src1_sel:DWORD
	v_mov_b32_e32 v27, 0
	s_andn2_b32 s17, s17, exec_lo
	s_and_b32 s75, s75, exec_lo
	s_or_b32 s17, s17, s75
	s_or_b32 exec_lo, exec_lo, s74
	s_and_saveexec_b32 s74, s17
	s_cbranch_execnz .LBB6_6258
	s_branch .LBB6_6259
.LBB6_6425:                             ;   in Loop: Header=BB6_5795 Depth=4
	s_or_saveexec_b32 s74, s74
	v_mov_b32_e32 v20, 0x7f800001
	s_xor_b32 exec_lo, exec_lo, s74
	s_cbranch_execz .LBB6_6271
.LBB6_6426:                             ;   in Loop: Header=BB6_5795 Depth=4
	v_cmp_ne_u16_sdwa s75, v24, v2 src0_sel:BYTE_0 src1_sel:DWORD
	v_mov_b32_e32 v20, 0
	s_andn2_b32 s17, s17, exec_lo
	s_and_b32 s75, s75, exec_lo
	s_or_b32 s17, s17, s75
	s_or_b32 exec_lo, exec_lo, s74
	s_and_saveexec_b32 s74, s17
	s_cbranch_execnz .LBB6_6272
	s_branch .LBB6_6273
.LBB6_6427:                             ;   in Loop: Header=BB6_5795 Depth=4
	s_or_saveexec_b32 s74, s74
	v_mov_b32_e32 v27, 0x7f800001
	s_xor_b32 exec_lo, exec_lo, s74
	s_cbranch_execz .LBB6_6277
.LBB6_6428:                             ;   in Loop: Header=BB6_5795 Depth=4
	v_cmp_ne_u16_sdwa s75, v11, v2 src0_sel:BYTE_0 src1_sel:DWORD
	v_mov_b32_e32 v27, 0
	s_andn2_b32 s17, s17, exec_lo
	s_and_b32 s75, s75, exec_lo
	s_or_b32 s17, s17, s75
	s_or_b32 exec_lo, exec_lo, s74
	s_and_saveexec_b32 s74, s17
	s_cbranch_execnz .LBB6_6278
	s_branch .LBB6_6279
.LBB6_6429:                             ;   in Loop: Header=BB6_5795 Depth=4
	s_or_saveexec_b32 s74, s74
	v_mov_b32_e32 v27, 0x7f800001
	s_xor_b32 exec_lo, exec_lo, s74
	s_cbranch_execz .LBB6_6291
.LBB6_6430:                             ;   in Loop: Header=BB6_5795 Depth=4
	v_cmp_ne_u16_sdwa s75, v24, v2 src0_sel:BYTE_1 src1_sel:DWORD
	v_mov_b32_e32 v27, 0
	s_andn2_b32 s17, s17, exec_lo
	s_and_b32 s75, s75, exec_lo
	s_or_b32 s17, s17, s75
	s_or_b32 exec_lo, exec_lo, s74
	s_and_saveexec_b32 s74, s17
	s_cbranch_execnz .LBB6_6292
	s_branch .LBB6_6293
.LBB6_6431:                             ;   in Loop: Header=BB6_5795 Depth=4
	s_or_saveexec_b32 s74, s74
	v_mov_b32_e32 v31, 0x7f800001
	s_xor_b32 exec_lo, exec_lo, s74
	s_cbranch_execz .LBB6_6297
.LBB6_6432:                             ;   in Loop: Header=BB6_5795 Depth=4
	v_cmp_ne_u16_sdwa s75, v11, v2 src0_sel:BYTE_1 src1_sel:DWORD
	v_mov_b32_e32 v31, 0
	s_andn2_b32 s17, s17, exec_lo
	s_and_b32 s75, s75, exec_lo
	s_or_b32 s17, s17, s75
	s_or_b32 exec_lo, exec_lo, s74
	s_and_saveexec_b32 s74, s17
	s_cbranch_execnz .LBB6_6298
	s_branch .LBB6_6299
.LBB6_6433:                             ;   in Loop: Header=BB6_5795 Depth=4
	s_or_saveexec_b32 s74, s74
	v_mov_b32_e32 v19, 0x7f800001
	s_xor_b32 exec_lo, exec_lo, s74
	s_cbranch_execz .LBB6_6311
.LBB6_6434:                             ;   in Loop: Header=BB6_5795 Depth=4
	v_cmp_ne_u16_sdwa s75, v22, v2 src0_sel:BYTE_0 src1_sel:DWORD
	v_mov_b32_e32 v19, 0
	s_andn2_b32 s17, s17, exec_lo
	s_and_b32 s75, s75, exec_lo
	s_or_b32 s17, s17, s75
	s_or_b32 exec_lo, exec_lo, s74
	v_lshl_or_b32 v22, v22, 16, v24
	s_and_saveexec_b32 s74, s17
	s_cbranch_execnz .LBB6_6312
	s_branch .LBB6_6313
.LBB6_6435:                             ;   in Loop: Header=BB6_5795 Depth=4
	s_or_saveexec_b32 s74, s74
	v_mov_b32_e32 v24, 0x7f800001
	s_xor_b32 exec_lo, exec_lo, s74
	s_cbranch_execz .LBB6_6317
.LBB6_6436:                             ;   in Loop: Header=BB6_5795 Depth=4
	v_cmp_ne_u16_e32 vcc_lo, 0, v31
	v_mov_b32_e32 v24, 0
	s_andn2_b32 s17, s17, exec_lo
	s_and_b32 s75, vcc_lo, exec_lo
	s_or_b32 s17, s17, s75
	s_or_b32 exec_lo, exec_lo, s74
	s_and_saveexec_b32 s74, s17
	s_cbranch_execnz .LBB6_6318
	s_branch .LBB6_6319
.LBB6_6437:                             ;   in Loop: Header=BB6_5795 Depth=4
	s_or_saveexec_b32 s74, s74
	v_mov_b32_e32 v24, 0x7f800001
	s_xor_b32 exec_lo, exec_lo, s74
	s_cbranch_execz .LBB6_6331
.LBB6_6438:                             ;   in Loop: Header=BB6_5795 Depth=4
	v_cmp_ne_u16_sdwa s75, v22, v2 src0_sel:BYTE_3 src1_sel:DWORD
	v_mov_b32_e32 v24, 0
	s_andn2_b32 s17, s17, exec_lo
	s_and_b32 s75, s75, exec_lo
	s_or_b32 s17, s17, s75
	s_or_b32 exec_lo, exec_lo, s74
	s_and_saveexec_b32 s74, s17
	s_cbranch_execnz .LBB6_6332
	s_branch .LBB6_6333
.LBB6_6439:                             ;   in Loop: Header=BB6_5795 Depth=4
	s_or_saveexec_b32 s74, s74
	v_mov_b32_e32 v22, 0x7f800001
	s_xor_b32 exec_lo, exec_lo, s74
	s_cbranch_execz .LBB6_6337
.LBB6_6440:                             ;   in Loop: Header=BB6_5795 Depth=4
	v_cmp_ne_u16_sdwa s75, v11, v2 src0_sel:BYTE_3 src1_sel:DWORD
	v_mov_b32_e32 v22, 0
	s_andn2_b32 s17, s17, exec_lo
	s_and_b32 s75, s75, exec_lo
	s_or_b32 s17, s17, s75
	s_or_b32 exec_lo, exec_lo, s74
	s_and_saveexec_b32 s74, s17
	s_cbranch_execnz .LBB6_6338
	s_branch .LBB6_6339
.LBB6_6441:                             ;   in Loop: Header=BB6_3138 Depth=3
	s_or_b32 exec_lo, exec_lo, s63
.LBB6_6442:                             ;   in Loop: Header=BB6_3138 Depth=3
	s_or_b32 exec_lo, exec_lo, s62
	v_and_b32_e32 v7, 15, v3
	v_cmp_lt_i32_e32 vcc_lo, 0, v6
	v_sub_nc_u32_e32 v8, v1, v7
	v_cndmask_b32_e32 v9, 0, v103, vcc_lo
	v_cndmask_b32_e64 v1, v1, v7, s16
	v_cndmask_b32_e64 v7, 0, v8, s16
	v_sub_nc_u32_e32 v6, v9, v6
	v_cmp_ne_u32_e32 vcc_lo, 0, v1
	v_add3_u32 v0, v0, v5, v7
	v_lshl_add_u32 v4, v6, 5, v4
	s_and_b32 s16, vcc_lo, exec_lo
.LBB6_6443:                             ;   in Loop: Header=BB6_3138 Depth=3
	s_or_b32 exec_lo, exec_lo, s61
	s_and_saveexec_b32 s17, s16
	s_cbranch_execz .LBB6_7788
.LBB6_6444:                             ;   in Loop: Header=BB6_3138 Depth=3
	s_waitcnt vmcnt(0)
	v_ashrrev_i32_e32 v5, 31, v4
	v_ashrrev_i32_e32 v6, 31, v1
	s_mov_b32 s61, exec_lo
	v_lshrrev_b32_e32 v5, 27, v5
	v_lshrrev_b32_e32 v7, 22, v6
	v_add_nc_u32_e32 v6, v4, v5
	v_add_nc_u32_e32 v7, v1, v7
	v_ashrrev_i32_e32 v5, 5, v6
	v_ashrrev_i32_e32 v17, 10, v7
	v_sub_nc_u32_e32 v16, v17, v5
	v_cmpx_lt_i32_e32 0, v16
	s_cbranch_execz .LBB6_7736
; %bb.6445:                             ;   in Loop: Header=BB6_3138 Depth=3
	v_and_b32_e32 v8, 0xffffffe0, v6
	s_trap 2
	ds_read_b64 v[6:7], v0
	v_lshlrev_b32_e32 v9, 10, v5
	v_add_co_u32 v14, vcc_lo, 0x3e0, v82
	v_sub_nc_u32_e32 v8, v4, v8
	v_add_co_ci_u32_e64 v15, null, 0, v83, vcc_lo
	s_mov_b32 s62, 0
	v_add3_u32 v12, v0, v8, v9
	v_ashrrev_i32_e32 v13, 31, v12
	v_add_co_u32 v8, vcc_lo, v12, v80
	v_add_co_ci_u32_e64 v9, null, v13, v81, vcc_lo
	s_waitcnt lgkmcnt(0)
	v_add_co_u32 v10, vcc_lo, v6, v12
	v_add_co_ci_u32_e64 v11, null, v7, v13, vcc_lo
	v_add_co_u32 v12, vcc_lo, v14, v12
	v_add_co_ci_u32_e64 v13, null, v15, v13, vcc_lo
	s_branch .LBB6_6449
.LBB6_6446:                             ;   in Loop: Header=BB6_6449 Depth=4
	s_or_b32 exec_lo, exec_lo, s16
	v_lshrrev_b32_e32 v19, 21, v19
	v_cmp_gt_i32_e32 vcc_lo, 32, v6
	v_min_i32_e32 v23, 31, v6
	v_and_b32_sdwa v7, v7, v117 dst_sel:DWORD dst_unused:UNUSED_PAD src0_sel:BYTE_3 src1_sel:DWORD
	v_cndmask_b32_e32 v19, 3, v19, vcc_lo
	v_lshlrev_b32_e32 v23, 2, v23
	v_and_b32_e32 v26, 3, v19
	v_or_b32_e32 v6, v6, v19
	v_or3_b32 v7, v23, v7, v26
	v_cmp_ne_u32_e32 vcc_lo, 0, v6
	v_cndmask_b32_e32 v6, 0, v7, vcc_lo
.LBB6_6447:                             ;   in Loop: Header=BB6_6449 Depth=4
	s_or_b32 exec_lo, exec_lo, s72
.LBB6_6448:                             ;   in Loop: Header=BB6_6449 Depth=4
	s_or_b32 exec_lo, exec_lo, s63
	v_add_co_u32 v41, vcc_lo, 0xfffffc20, v12
	v_add_co_ci_u32_e64 v42, null, -1, v13, vcc_lo
	v_sub_nc_u32_e32 v16, v16, v103
	flat_store_byte v[41:42], v18 glc slc
	v_add_co_u32 v18, vcc_lo, 0xfffffc40, v12
	v_add_co_ci_u32_e64 v19, null, -1, v13, vcc_lo
	v_add_co_u32 v41, vcc_lo, 0xfffffc60, v12
	v_add_co_ci_u32_e64 v42, null, -1, v13, vcc_lo
	v_add_co_u32 v43, vcc_lo, 0xfffffc80, v12
	v_add_co_ci_u32_e64 v44, null, -1, v13, vcc_lo
	v_add_co_u32 v56, vcc_lo, 0xfffffca0, v12
	v_add_co_ci_u32_e64 v57, null, -1, v13, vcc_lo
	v_add_co_u32 v58, vcc_lo, 0xfffffcc0, v12
	v_add_co_ci_u32_e64 v59, null, -1, v13, vcc_lo
	flat_store_byte v[18:19], v22 glc slc
	flat_store_byte v[41:42], v27 glc slc
	flat_store_byte v[43:44], v31 glc slc
	flat_store_byte v[56:57], v52 glc slc
	flat_store_byte v[58:59], v66 glc slc
	v_add_co_u32 v18, vcc_lo, 0xfffffce0, v12
	v_add_co_ci_u32_e64 v19, null, -1, v13, vcc_lo
	v_add_co_u32 v22, vcc_lo, 0xfffffd00, v12
	v_add_co_ci_u32_e64 v23, null, -1, v13, vcc_lo
	v_add_co_u32 v26, vcc_lo, 0xfffffd20, v12
	v_add_co_ci_u32_e64 v27, null, -1, v13, vcc_lo
	v_add_co_u32 v30, vcc_lo, 0xfffffd40, v12
	v_add_co_ci_u32_e64 v31, null, -1, v13, vcc_lo
	v_add_co_u32 v41, vcc_lo, 0xfffffd60, v12
	v_add_co_ci_u32_e64 v42, null, -1, v13, vcc_lo
	flat_store_byte v[18:19], v81 glc slc
	flat_store_byte v[22:23], v85 glc slc
	flat_store_byte v[26:27], v97 glc slc
	flat_store_byte v[30:31], v113 glc slc
	;; [unrolled: 15-line block ×5, first 2 shown]
	flat_store_byte v[50:51], v25 glc slc
	v_add_co_u32 v18, vcc_lo, 0xffffff60, v12
	v_add_co_ci_u32_e64 v19, null, -1, v13, vcc_lo
	v_add_co_u32 v22, vcc_lo, 0xffffff80, v12
	v_add_co_ci_u32_e64 v23, null, -1, v13, vcc_lo
	;; [unrolled: 2-line block ×5, first 2 shown]
	v_add_co_u32 v8, vcc_lo, v8, v46
	v_add_co_ci_u32_e64 v9, null, 0, v9, vcc_lo
	v_add_co_u32 v10, vcc_lo, v10, v46
	flat_store_byte v[18:19], v24 glc slc
	flat_store_byte v[22:23], v21 glc slc
	;; [unrolled: 1-line block ×6, first 2 shown]
	v_add_co_ci_u32_e64 v11, null, 0, v11, vcc_lo
	v_cmp_gt_i32_e32 vcc_lo, 1, v16
	v_add_co_u32 v12, s16, v12, v46
	v_add_co_ci_u32_e64 v13, null, 0, v13, s16
	s_or_b32 s62, vcc_lo, s62
	s_andn2_b32 exec_lo, exec_lo, s62
	s_cbranch_execz .LBB6_7735
.LBB6_6449:                             ;   Parent Loop BB6_47 Depth=1
                                        ;     Parent Loop BB6_3135 Depth=2
                                        ;       Parent Loop BB6_3138 Depth=3
                                        ; =>      This Inner Loop Header: Depth=4
	s_trap 2
	ds_read_b64 v[14:15], v0
	s_waitcnt lgkmcnt(0)
	v_readfirstlane_b32 s16, v14
	s_and_b32 s63, s16, 0xff
	s_cmpk_lt_i32 s63, 0x80
	s_cbranch_scc1 .LBB6_6453
; %bb.6450:                             ;   in Loop: Header=BB6_6449 Depth=4
	s_and_b32 s72, 0xffff, s63
	s_cmpk_eq_i32 s72, 0x80
	s_mov_b32 s72, -1
	s_cbranch_scc0 .LBB6_6452
; %bb.6451:                             ;   in Loop: Header=BB6_6449 Depth=4
	s_mov_b32 s72, 0
.LBB6_6452:                             ;   in Loop: Header=BB6_6449 Depth=4
	s_mov_b32 s73, 0x7f800001
	s_branch .LBB6_6455
.LBB6_6453:                             ;   in Loop: Header=BB6_6449 Depth=4
	s_mov_b32 s72, 0
	s_mov_b32 s73, 0x7f800001
	s_cbranch_execz .LBB6_6455
; %bb.6454:                             ;   in Loop: Header=BB6_6449 Depth=4
	s_and_b32 s63, 0xffff, s63
	s_mov_b32 s73, 0
	s_cmp_lg_u32 s63, 0
	s_cselect_b32 s72, -1, 0
.LBB6_6455:                             ;   in Loop: Header=BB6_6449 Depth=4
	v_mov_b32_e32 v6, s73
	s_andn2_b32 vcc_lo, exec_lo, s72
	s_cbranch_vccnz .LBB6_6457
; %bb.6456:                             ;   in Loop: Header=BB6_6449 Depth=4
	s_and_b32 s63, s16, 3
	s_bfe_u32 s73, s16, 0x50002
	s_flbit_i32_b32 s72, s63
	v_lshlrev_b32_e32 v6, 24, v14
	s_min_u32 s72, s72, 32
	s_sub_i32 s74, s72, 29
	s_sub_i32 s72, 30, s72
	s_lshl_b32 s16, s16, s74
	v_and_b32_e32 v6, 0x80000000, v6
	s_and_b32 s16, s16, 3
	s_cmp_eq_u32 s73, 0
	s_cselect_b32 s72, s72, s73
	s_cselect_b32 s16, s16, s63
	s_lshl_b32 s63, s72, 23
	s_lshl_b32 s16, s16, 21
	s_add_i32 s63, s63, 0x37800000
	v_or_b32_e32 v6, s63, v6
	v_or_b32_e32 v6, s16, v6
.LBB6_6457:                             ;   in Loop: Header=BB6_6449 Depth=4
	flat_load_ubyte v7, v[8:9] slc
	s_mov_b32 s16, 0
	s_mov_b32 s63, exec_lo
	s_waitcnt vmcnt(0) lgkmcnt(0)
	v_cmpx_lt_i16_e32 0x7f, v7
	s_xor_b32 s63, exec_lo, s63
	s_cbranch_execz .LBB6_7543
; %bb.6458:                             ;   in Loop: Header=BB6_6449 Depth=4
	s_mov_b32 s16, -1
	s_mov_b32 s72, exec_lo
	v_cmpx_eq_u16_e32 0x80, v7
; %bb.6459:                             ;   in Loop: Header=BB6_6449 Depth=4
	s_xor_b32 s16, exec_lo, -1
; %bb.6460:                             ;   in Loop: Header=BB6_6449 Depth=4
	s_or_b32 exec_lo, exec_lo, s72
	s_and_b32 s16, s16, exec_lo
	s_or_saveexec_b32 s63, s63
	v_mov_b32_e32 v14, 0x7f800001
	s_xor_b32 exec_lo, exec_lo, s63
	s_cbranch_execnz .LBB6_7544
.LBB6_6461:                             ;   in Loop: Header=BB6_6449 Depth=4
	s_or_b32 exec_lo, exec_lo, s63
	s_and_saveexec_b32 s63, s16
	s_cbranch_execz .LBB6_6463
.LBB6_6462:                             ;   in Loop: Header=BB6_6449 Depth=4
	v_and_b32_e32 v14, 0xffff, v7
	v_lshlrev_b32_e32 v7, 24, v7
	v_and_b32_e32 v15, 3, v14
	v_bfe_u32 v20, v14, 2, 5
	v_and_b32_e32 v7, 0x80000000, v7
	v_ffbh_u32_e32 v18, v15
	v_cmp_eq_u32_e32 vcc_lo, 0, v20
	v_min_u32_e32 v18, 32, v18
	v_subrev_nc_u32_e32 v19, 29, v18
	v_sub_nc_u32_e32 v18, 30, v18
	v_lshlrev_b32_e32 v14, v19, v14
	v_cndmask_b32_e32 v18, v20, v18, vcc_lo
	v_and_b32_e32 v14, 3, v14
	v_cndmask_b32_e32 v14, v15, v14, vcc_lo
	v_lshl_add_u32 v15, v18, 23, 0x37800000
	v_lshlrev_b32_e32 v14, 21, v14
	v_or3_b32 v14, v7, v15, v14
.LBB6_6463:                             ;   in Loop: Header=BB6_6449 Depth=4
	s_or_b32 exec_lo, exec_lo, s63
	v_mul_f32_e32 v7, v6, v14
	v_mov_b32_e32 v18, 0x80
	s_mov_b32 s63, exec_lo
	v_and_b32_e32 v14, 0x7f800000, v7
	v_cmpx_ne_u32_e32 0x7f800000, v14
	s_cbranch_execz .LBB6_6471
; %bb.6464:                             ;   in Loop: Header=BB6_6449 Depth=4
	v_mov_b32_e32 v18, 0
	s_mov_b32 s72, exec_lo
	v_cmpx_ne_u32_e32 0, v7
	s_cbranch_execz .LBB6_6470
; %bb.6465:                             ;   in Loop: Header=BB6_6449 Depth=4
	v_bfe_u32 v14, v7, 23, 8
	v_and_b32_e32 v15, 0x7fffff, v7
	v_sub_nc_u32_e32 v18, 0x70, v14
	v_cmp_gt_u32_e32 vcc_lo, 0x71, v14
	v_or_b32_e32 v19, 0x800000, v15
	v_cndmask_b32_e32 v18, 0, v18, vcc_lo
	v_cmp_eq_u32_e32 vcc_lo, 0, v14
	v_add_nc_u32_e32 v14, 0xffffff91, v14
	v_cndmask_b32_e64 v18, v18, 0x6f, vcc_lo
	v_cndmask_b32_e32 v15, v19, v15, vcc_lo
	v_cndmask_b32_e64 v14, v14, 0xffffff92, vcc_lo
	v_lshl_add_u32 v19, 0x200000, v18, -1
	v_lshrrev_b32_e32 v20, v18, v15
	v_lshlrev_b32_e64 v22, v18, 0x100000
	v_add_nc_u32_e32 v18, v18, v14
	v_and_b32_e32 v15, v19, v15
	v_bfe_u32 v21, v20, 21, 1
	v_cmp_eq_u32_e64 s16, v15, v22
	v_add_nc_u32_e32 v19, -1, v21
	v_cndmask_b32_e64 v15, 0, v19, s16
	v_lshrrev_b32_e32 v19, 23, v20
	s_mov_b32 s16, exec_lo
	v_add_nc_u32_e32 v15, v15, v20
	v_xor_b32_e32 v19, 1, v19
	v_and_b32_e32 v14, 0x1fffff, v15
	v_add_nc_u32_e32 v15, v14, v20
                                        ; implicit-def: $vgpr14
	v_cmpx_ne_u32_e64 v18, v19
	s_xor_b32 s16, exec_lo, s16
; %bb.6466:                             ;   in Loop: Header=BB6_6449 Depth=4
	v_cmp_lt_u32_e32 vcc_lo, 0xffffff, v15
	v_sub_nc_u32_e32 v14, v18, v19
	v_cndmask_b32_e64 v18, 0, 1, vcc_lo
	v_add_co_ci_u32_e64 v14, null, 0, v14, vcc_lo
	v_lshrrev_b32_e32 v15, v18, v15
; %bb.6467:                             ;   in Loop: Header=BB6_6449 Depth=4
	s_andn2_saveexec_b32 s16, s16
; %bb.6468:                             ;   in Loop: Header=BB6_6449 Depth=4
	v_bfe_u32 v14, v15, 23, 1
; %bb.6469:                             ;   in Loop: Header=BB6_6449 Depth=4
	s_or_b32 exec_lo, exec_lo, s16
	v_lshrrev_b32_e32 v15, 21, v15
	v_cmp_gt_i32_e32 vcc_lo, 32, v14
	v_min_i32_e32 v18, 31, v14
	v_and_b32_sdwa v7, v7, v117 dst_sel:DWORD dst_unused:UNUSED_PAD src0_sel:BYTE_3 src1_sel:DWORD
	v_cndmask_b32_e32 v15, 3, v15, vcc_lo
	v_lshlrev_b32_e32 v18, 2, v18
	v_and_b32_e32 v19, 3, v15
	v_or_b32_e32 v14, v14, v15
	v_or3_b32 v7, v18, v7, v19
	v_cmp_ne_u32_e32 vcc_lo, 0, v14
	v_cndmask_b32_e32 v18, 0, v7, vcc_lo
.LBB6_6470:                             ;   in Loop: Header=BB6_6449 Depth=4
	s_or_b32 exec_lo, exec_lo, s72
.LBB6_6471:                             ;   in Loop: Header=BB6_6449 Depth=4
	s_or_b32 exec_lo, exec_lo, s63
	flat_load_ubyte v7, v[8:9] offset:32 slc
	s_mov_b32 s16, 0
	s_mov_b32 s63, exec_lo
	s_waitcnt vmcnt(0) lgkmcnt(0)
	v_cmpx_lt_i16_e32 0x7f, v7
	s_xor_b32 s63, exec_lo, s63
	s_cbranch_execz .LBB6_7545
; %bb.6472:                             ;   in Loop: Header=BB6_6449 Depth=4
	s_mov_b32 s16, -1
	s_mov_b32 s72, exec_lo
	v_cmpx_eq_u16_e32 0x80, v7
; %bb.6473:                             ;   in Loop: Header=BB6_6449 Depth=4
	s_xor_b32 s16, exec_lo, -1
; %bb.6474:                             ;   in Loop: Header=BB6_6449 Depth=4
	s_or_b32 exec_lo, exec_lo, s72
	s_and_b32 s16, s16, exec_lo
	s_or_saveexec_b32 s63, s63
	v_mov_b32_e32 v14, 0x7f800001
	s_xor_b32 exec_lo, exec_lo, s63
	s_cbranch_execnz .LBB6_7546
.LBB6_6475:                             ;   in Loop: Header=BB6_6449 Depth=4
	s_or_b32 exec_lo, exec_lo, s63
	s_and_saveexec_b32 s63, s16
	s_cbranch_execz .LBB6_6477
.LBB6_6476:                             ;   in Loop: Header=BB6_6449 Depth=4
	v_and_b32_e32 v14, 0xffff, v7
	v_lshlrev_b32_e32 v7, 24, v7
	v_and_b32_e32 v15, 3, v14
	v_bfe_u32 v21, v14, 2, 5
	v_and_b32_e32 v7, 0x80000000, v7
	v_ffbh_u32_e32 v19, v15
	v_cmp_eq_u32_e32 vcc_lo, 0, v21
	v_min_u32_e32 v19, 32, v19
	v_subrev_nc_u32_e32 v20, 29, v19
	v_sub_nc_u32_e32 v19, 30, v19
	v_lshlrev_b32_e32 v14, v20, v14
	v_cndmask_b32_e32 v19, v21, v19, vcc_lo
	v_and_b32_e32 v14, 3, v14
	v_cndmask_b32_e32 v14, v15, v14, vcc_lo
	v_lshl_add_u32 v15, v19, 23, 0x37800000
	v_lshlrev_b32_e32 v14, 21, v14
	v_or3_b32 v14, v7, v15, v14
.LBB6_6477:                             ;   in Loop: Header=BB6_6449 Depth=4
	s_or_b32 exec_lo, exec_lo, s63
	v_mul_f32_e32 v7, v6, v14
	v_mov_b32_e32 v22, 0x80
	s_mov_b32 s63, exec_lo
	v_and_b32_e32 v14, 0x7f800000, v7
	v_cmpx_ne_u32_e32 0x7f800000, v14
	s_cbranch_execz .LBB6_6485
; %bb.6478:                             ;   in Loop: Header=BB6_6449 Depth=4
	v_mov_b32_e32 v22, 0
	s_mov_b32 s72, exec_lo
	v_cmpx_ne_u32_e32 0, v7
	s_cbranch_execz .LBB6_6484
; %bb.6479:                             ;   in Loop: Header=BB6_6449 Depth=4
	v_bfe_u32 v14, v7, 23, 8
	v_and_b32_e32 v15, 0x7fffff, v7
	v_sub_nc_u32_e32 v19, 0x70, v14
	v_cmp_gt_u32_e32 vcc_lo, 0x71, v14
	v_or_b32_e32 v20, 0x800000, v15
	v_cndmask_b32_e32 v19, 0, v19, vcc_lo
	v_cmp_eq_u32_e32 vcc_lo, 0, v14
	v_add_nc_u32_e32 v14, 0xffffff91, v14
	v_cndmask_b32_e64 v19, v19, 0x6f, vcc_lo
	v_cndmask_b32_e32 v15, v20, v15, vcc_lo
	v_cndmask_b32_e64 v14, v14, 0xffffff92, vcc_lo
	v_lshl_add_u32 v20, 0x200000, v19, -1
	v_lshrrev_b32_e32 v21, v19, v15
	v_lshlrev_b32_e64 v23, v19, 0x100000
	v_add_nc_u32_e32 v19, v19, v14
	v_and_b32_e32 v15, v20, v15
	v_bfe_u32 v22, v21, 21, 1
	v_cmp_eq_u32_e64 s16, v15, v23
	v_add_nc_u32_e32 v20, -1, v22
	v_cndmask_b32_e64 v15, 0, v20, s16
	v_lshrrev_b32_e32 v20, 23, v21
	s_mov_b32 s16, exec_lo
	v_add_nc_u32_e32 v15, v15, v21
	v_xor_b32_e32 v20, 1, v20
	v_and_b32_e32 v14, 0x1fffff, v15
	v_add_nc_u32_e32 v15, v14, v21
                                        ; implicit-def: $vgpr14
	v_cmpx_ne_u32_e64 v19, v20
	s_xor_b32 s16, exec_lo, s16
; %bb.6480:                             ;   in Loop: Header=BB6_6449 Depth=4
	v_cmp_lt_u32_e32 vcc_lo, 0xffffff, v15
	v_sub_nc_u32_e32 v14, v19, v20
	v_cndmask_b32_e64 v19, 0, 1, vcc_lo
	v_add_co_ci_u32_e64 v14, null, 0, v14, vcc_lo
	v_lshrrev_b32_e32 v15, v19, v15
; %bb.6481:                             ;   in Loop: Header=BB6_6449 Depth=4
	s_andn2_saveexec_b32 s16, s16
; %bb.6482:                             ;   in Loop: Header=BB6_6449 Depth=4
	v_bfe_u32 v14, v15, 23, 1
; %bb.6483:                             ;   in Loop: Header=BB6_6449 Depth=4
	s_or_b32 exec_lo, exec_lo, s16
	v_lshrrev_b32_e32 v15, 21, v15
	v_cmp_gt_i32_e32 vcc_lo, 32, v14
	v_min_i32_e32 v19, 31, v14
	v_and_b32_sdwa v7, v7, v117 dst_sel:DWORD dst_unused:UNUSED_PAD src0_sel:BYTE_3 src1_sel:DWORD
	v_cndmask_b32_e32 v15, 3, v15, vcc_lo
	v_lshlrev_b32_e32 v19, 2, v19
	v_and_b32_e32 v20, 3, v15
	v_or_b32_e32 v14, v14, v15
	v_or3_b32 v7, v19, v7, v20
	v_cmp_ne_u32_e32 vcc_lo, 0, v14
	v_cndmask_b32_e32 v22, 0, v7, vcc_lo
.LBB6_6484:                             ;   in Loop: Header=BB6_6449 Depth=4
	s_or_b32 exec_lo, exec_lo, s72
.LBB6_6485:                             ;   in Loop: Header=BB6_6449 Depth=4
	s_or_b32 exec_lo, exec_lo, s63
	flat_load_ubyte v7, v[8:9] offset:64 slc
	s_mov_b32 s16, 0
	s_mov_b32 s63, exec_lo
	s_waitcnt vmcnt(0) lgkmcnt(0)
	v_cmpx_lt_i16_e32 0x7f, v7
	s_xor_b32 s63, exec_lo, s63
	s_cbranch_execz .LBB6_7547
; %bb.6486:                             ;   in Loop: Header=BB6_6449 Depth=4
	s_mov_b32 s16, -1
	s_mov_b32 s72, exec_lo
	v_cmpx_eq_u16_e32 0x80, v7
; %bb.6487:                             ;   in Loop: Header=BB6_6449 Depth=4
	s_xor_b32 s16, exec_lo, -1
; %bb.6488:                             ;   in Loop: Header=BB6_6449 Depth=4
	s_or_b32 exec_lo, exec_lo, s72
	s_and_b32 s16, s16, exec_lo
	s_or_saveexec_b32 s63, s63
	v_mov_b32_e32 v14, 0x7f800001
	s_xor_b32 exec_lo, exec_lo, s63
	s_cbranch_execnz .LBB6_7548
.LBB6_6489:                             ;   in Loop: Header=BB6_6449 Depth=4
	s_or_b32 exec_lo, exec_lo, s63
	s_and_saveexec_b32 s63, s16
	s_cbranch_execz .LBB6_6491
.LBB6_6490:                             ;   in Loop: Header=BB6_6449 Depth=4
	v_and_b32_e32 v14, 0xffff, v7
	v_lshlrev_b32_e32 v7, 24, v7
	v_and_b32_e32 v15, 3, v14
	v_bfe_u32 v21, v14, 2, 5
	v_and_b32_e32 v7, 0x80000000, v7
	v_ffbh_u32_e32 v19, v15
	v_cmp_eq_u32_e32 vcc_lo, 0, v21
	v_min_u32_e32 v19, 32, v19
	v_subrev_nc_u32_e32 v20, 29, v19
	v_sub_nc_u32_e32 v19, 30, v19
	v_lshlrev_b32_e32 v14, v20, v14
	v_cndmask_b32_e32 v19, v21, v19, vcc_lo
	v_and_b32_e32 v14, 3, v14
	v_cndmask_b32_e32 v14, v15, v14, vcc_lo
	v_lshl_add_u32 v15, v19, 23, 0x37800000
	v_lshlrev_b32_e32 v14, 21, v14
	v_or3_b32 v14, v7, v15, v14
.LBB6_6491:                             ;   in Loop: Header=BB6_6449 Depth=4
	s_or_b32 exec_lo, exec_lo, s63
	v_mul_f32_e32 v7, v6, v14
	v_mov_b32_e32 v27, 0x80
	s_mov_b32 s63, exec_lo
	v_and_b32_e32 v14, 0x7f800000, v7
	v_cmpx_ne_u32_e32 0x7f800000, v14
	s_cbranch_execz .LBB6_6499
; %bb.6492:                             ;   in Loop: Header=BB6_6449 Depth=4
	v_mov_b32_e32 v27, 0
	s_mov_b32 s72, exec_lo
	v_cmpx_ne_u32_e32 0, v7
	s_cbranch_execz .LBB6_6498
; %bb.6493:                             ;   in Loop: Header=BB6_6449 Depth=4
	v_bfe_u32 v14, v7, 23, 8
	v_and_b32_e32 v15, 0x7fffff, v7
	v_sub_nc_u32_e32 v19, 0x70, v14
	v_cmp_gt_u32_e32 vcc_lo, 0x71, v14
	v_or_b32_e32 v20, 0x800000, v15
	v_cndmask_b32_e32 v19, 0, v19, vcc_lo
	v_cmp_eq_u32_e32 vcc_lo, 0, v14
	v_add_nc_u32_e32 v14, 0xffffff91, v14
	v_cndmask_b32_e64 v19, v19, 0x6f, vcc_lo
	v_cndmask_b32_e32 v15, v20, v15, vcc_lo
	v_cndmask_b32_e64 v14, v14, 0xffffff92, vcc_lo
	v_lshl_add_u32 v20, 0x200000, v19, -1
	v_lshrrev_b32_e32 v21, v19, v15
	v_lshlrev_b32_e64 v24, v19, 0x100000
	v_add_nc_u32_e32 v19, v19, v14
	v_and_b32_e32 v15, v20, v15
	v_bfe_u32 v23, v21, 21, 1
	v_cmp_eq_u32_e64 s16, v15, v24
	v_add_nc_u32_e32 v20, -1, v23
	v_cndmask_b32_e64 v15, 0, v20, s16
	v_lshrrev_b32_e32 v20, 23, v21
	s_mov_b32 s16, exec_lo
	v_add_nc_u32_e32 v15, v15, v21
	v_xor_b32_e32 v20, 1, v20
	v_and_b32_e32 v14, 0x1fffff, v15
	v_add_nc_u32_e32 v15, v14, v21
                                        ; implicit-def: $vgpr14
	v_cmpx_ne_u32_e64 v19, v20
	s_xor_b32 s16, exec_lo, s16
; %bb.6494:                             ;   in Loop: Header=BB6_6449 Depth=4
	v_cmp_lt_u32_e32 vcc_lo, 0xffffff, v15
	v_sub_nc_u32_e32 v14, v19, v20
	v_cndmask_b32_e64 v19, 0, 1, vcc_lo
	v_add_co_ci_u32_e64 v14, null, 0, v14, vcc_lo
	v_lshrrev_b32_e32 v15, v19, v15
; %bb.6495:                             ;   in Loop: Header=BB6_6449 Depth=4
	s_andn2_saveexec_b32 s16, s16
; %bb.6496:                             ;   in Loop: Header=BB6_6449 Depth=4
	v_bfe_u32 v14, v15, 23, 1
; %bb.6497:                             ;   in Loop: Header=BB6_6449 Depth=4
	s_or_b32 exec_lo, exec_lo, s16
	v_lshrrev_b32_e32 v15, 21, v15
	v_cmp_gt_i32_e32 vcc_lo, 32, v14
	v_min_i32_e32 v19, 31, v14
	v_and_b32_sdwa v7, v7, v117 dst_sel:DWORD dst_unused:UNUSED_PAD src0_sel:BYTE_3 src1_sel:DWORD
	v_cndmask_b32_e32 v15, 3, v15, vcc_lo
	v_lshlrev_b32_e32 v19, 2, v19
	v_and_b32_e32 v20, 3, v15
	v_or_b32_e32 v14, v14, v15
	v_or3_b32 v7, v19, v7, v20
	v_cmp_ne_u32_e32 vcc_lo, 0, v14
	v_cndmask_b32_e32 v27, 0, v7, vcc_lo
.LBB6_6498:                             ;   in Loop: Header=BB6_6449 Depth=4
	s_or_b32 exec_lo, exec_lo, s72
.LBB6_6499:                             ;   in Loop: Header=BB6_6449 Depth=4
	s_or_b32 exec_lo, exec_lo, s63
	flat_load_ubyte v7, v[8:9] offset:96 slc
	s_mov_b32 s16, 0
	s_mov_b32 s63, exec_lo
	s_waitcnt vmcnt(0) lgkmcnt(0)
	v_cmpx_lt_i16_e32 0x7f, v7
	s_xor_b32 s63, exec_lo, s63
	s_cbranch_execz .LBB6_7549
; %bb.6500:                             ;   in Loop: Header=BB6_6449 Depth=4
	s_mov_b32 s16, -1
	s_mov_b32 s72, exec_lo
	v_cmpx_eq_u16_e32 0x80, v7
; %bb.6501:                             ;   in Loop: Header=BB6_6449 Depth=4
	s_xor_b32 s16, exec_lo, -1
; %bb.6502:                             ;   in Loop: Header=BB6_6449 Depth=4
	s_or_b32 exec_lo, exec_lo, s72
	s_and_b32 s16, s16, exec_lo
	s_or_saveexec_b32 s63, s63
	v_mov_b32_e32 v14, 0x7f800001
	s_xor_b32 exec_lo, exec_lo, s63
	s_cbranch_execnz .LBB6_7550
.LBB6_6503:                             ;   in Loop: Header=BB6_6449 Depth=4
	s_or_b32 exec_lo, exec_lo, s63
	s_and_saveexec_b32 s63, s16
	s_cbranch_execz .LBB6_6505
.LBB6_6504:                             ;   in Loop: Header=BB6_6449 Depth=4
	v_and_b32_e32 v14, 0xffff, v7
	v_lshlrev_b32_e32 v7, 24, v7
	v_and_b32_e32 v15, 3, v14
	v_bfe_u32 v21, v14, 2, 5
	v_and_b32_e32 v7, 0x80000000, v7
	v_ffbh_u32_e32 v19, v15
	v_cmp_eq_u32_e32 vcc_lo, 0, v21
	v_min_u32_e32 v19, 32, v19
	v_subrev_nc_u32_e32 v20, 29, v19
	v_sub_nc_u32_e32 v19, 30, v19
	v_lshlrev_b32_e32 v14, v20, v14
	v_cndmask_b32_e32 v19, v21, v19, vcc_lo
	v_and_b32_e32 v14, 3, v14
	v_cndmask_b32_e32 v14, v15, v14, vcc_lo
	v_lshl_add_u32 v15, v19, 23, 0x37800000
	v_lshlrev_b32_e32 v14, 21, v14
	v_or3_b32 v14, v7, v15, v14
.LBB6_6505:                             ;   in Loop: Header=BB6_6449 Depth=4
	s_or_b32 exec_lo, exec_lo, s63
	v_mul_f32_e32 v7, v6, v14
	v_mov_b32_e32 v31, 0x80
	s_mov_b32 s63, exec_lo
	v_and_b32_e32 v14, 0x7f800000, v7
	v_cmpx_ne_u32_e32 0x7f800000, v14
	s_cbranch_execz .LBB6_6513
; %bb.6506:                             ;   in Loop: Header=BB6_6449 Depth=4
	v_mov_b32_e32 v31, 0
	s_mov_b32 s72, exec_lo
	v_cmpx_ne_u32_e32 0, v7
	s_cbranch_execz .LBB6_6512
; %bb.6507:                             ;   in Loop: Header=BB6_6449 Depth=4
	v_bfe_u32 v14, v7, 23, 8
	v_and_b32_e32 v15, 0x7fffff, v7
	v_sub_nc_u32_e32 v19, 0x70, v14
	v_cmp_gt_u32_e32 vcc_lo, 0x71, v14
	v_or_b32_e32 v20, 0x800000, v15
	v_cndmask_b32_e32 v19, 0, v19, vcc_lo
	v_cmp_eq_u32_e32 vcc_lo, 0, v14
	v_add_nc_u32_e32 v14, 0xffffff91, v14
	v_cndmask_b32_e64 v19, v19, 0x6f, vcc_lo
	v_cndmask_b32_e32 v15, v20, v15, vcc_lo
	v_cndmask_b32_e64 v14, v14, 0xffffff92, vcc_lo
	v_lshl_add_u32 v20, 0x200000, v19, -1
	v_lshrrev_b32_e32 v21, v19, v15
	v_lshlrev_b32_e64 v24, v19, 0x100000
	v_add_nc_u32_e32 v19, v19, v14
	v_and_b32_e32 v15, v20, v15
	v_bfe_u32 v23, v21, 21, 1
	v_cmp_eq_u32_e64 s16, v15, v24
	v_add_nc_u32_e32 v20, -1, v23
	v_cndmask_b32_e64 v15, 0, v20, s16
	v_lshrrev_b32_e32 v20, 23, v21
	s_mov_b32 s16, exec_lo
	v_add_nc_u32_e32 v15, v15, v21
	v_xor_b32_e32 v20, 1, v20
	v_and_b32_e32 v14, 0x1fffff, v15
	v_add_nc_u32_e32 v15, v14, v21
                                        ; implicit-def: $vgpr14
	v_cmpx_ne_u32_e64 v19, v20
	s_xor_b32 s16, exec_lo, s16
; %bb.6508:                             ;   in Loop: Header=BB6_6449 Depth=4
	v_cmp_lt_u32_e32 vcc_lo, 0xffffff, v15
	v_sub_nc_u32_e32 v14, v19, v20
	v_cndmask_b32_e64 v19, 0, 1, vcc_lo
	v_add_co_ci_u32_e64 v14, null, 0, v14, vcc_lo
	v_lshrrev_b32_e32 v15, v19, v15
; %bb.6509:                             ;   in Loop: Header=BB6_6449 Depth=4
	s_andn2_saveexec_b32 s16, s16
; %bb.6510:                             ;   in Loop: Header=BB6_6449 Depth=4
	v_bfe_u32 v14, v15, 23, 1
; %bb.6511:                             ;   in Loop: Header=BB6_6449 Depth=4
	s_or_b32 exec_lo, exec_lo, s16
	v_lshrrev_b32_e32 v15, 21, v15
	v_cmp_gt_i32_e32 vcc_lo, 32, v14
	v_min_i32_e32 v19, 31, v14
	v_and_b32_sdwa v7, v7, v117 dst_sel:DWORD dst_unused:UNUSED_PAD src0_sel:BYTE_3 src1_sel:DWORD
	v_cndmask_b32_e32 v15, 3, v15, vcc_lo
	v_lshlrev_b32_e32 v19, 2, v19
	v_and_b32_e32 v20, 3, v15
	v_or_b32_e32 v14, v14, v15
	v_or3_b32 v7, v19, v7, v20
	v_cmp_ne_u32_e32 vcc_lo, 0, v14
	v_cndmask_b32_e32 v31, 0, v7, vcc_lo
.LBB6_6512:                             ;   in Loop: Header=BB6_6449 Depth=4
	s_or_b32 exec_lo, exec_lo, s72
.LBB6_6513:                             ;   in Loop: Header=BB6_6449 Depth=4
	s_or_b32 exec_lo, exec_lo, s63
	flat_load_ubyte v7, v[8:9] offset:128 slc
	s_mov_b32 s16, 0
	s_mov_b32 s63, exec_lo
	s_waitcnt vmcnt(0) lgkmcnt(0)
	v_cmpx_lt_i16_e32 0x7f, v7
	s_xor_b32 s63, exec_lo, s63
	s_cbranch_execz .LBB6_7551
; %bb.6514:                             ;   in Loop: Header=BB6_6449 Depth=4
	s_mov_b32 s16, -1
	s_mov_b32 s72, exec_lo
	v_cmpx_eq_u16_e32 0x80, v7
; %bb.6515:                             ;   in Loop: Header=BB6_6449 Depth=4
	s_xor_b32 s16, exec_lo, -1
; %bb.6516:                             ;   in Loop: Header=BB6_6449 Depth=4
	s_or_b32 exec_lo, exec_lo, s72
	s_and_b32 s16, s16, exec_lo
	s_or_saveexec_b32 s63, s63
	v_mov_b32_e32 v14, 0x7f800001
	s_xor_b32 exec_lo, exec_lo, s63
	s_cbranch_execnz .LBB6_7552
.LBB6_6517:                             ;   in Loop: Header=BB6_6449 Depth=4
	s_or_b32 exec_lo, exec_lo, s63
	s_and_saveexec_b32 s63, s16
	s_cbranch_execz .LBB6_6519
.LBB6_6518:                             ;   in Loop: Header=BB6_6449 Depth=4
	v_and_b32_e32 v14, 0xffff, v7
	v_lshlrev_b32_e32 v7, 24, v7
	v_and_b32_e32 v15, 3, v14
	v_bfe_u32 v21, v14, 2, 5
	v_and_b32_e32 v7, 0x80000000, v7
	v_ffbh_u32_e32 v19, v15
	v_cmp_eq_u32_e32 vcc_lo, 0, v21
	v_min_u32_e32 v19, 32, v19
	v_subrev_nc_u32_e32 v20, 29, v19
	v_sub_nc_u32_e32 v19, 30, v19
	v_lshlrev_b32_e32 v14, v20, v14
	v_cndmask_b32_e32 v19, v21, v19, vcc_lo
	v_and_b32_e32 v14, 3, v14
	v_cndmask_b32_e32 v14, v15, v14, vcc_lo
	v_lshl_add_u32 v15, v19, 23, 0x37800000
	v_lshlrev_b32_e32 v14, 21, v14
	v_or3_b32 v14, v7, v15, v14
.LBB6_6519:                             ;   in Loop: Header=BB6_6449 Depth=4
	s_or_b32 exec_lo, exec_lo, s63
	v_mul_f32_e32 v7, v6, v14
	v_mov_b32_e32 v52, 0x80
	s_mov_b32 s63, exec_lo
	v_and_b32_e32 v14, 0x7f800000, v7
	v_cmpx_ne_u32_e32 0x7f800000, v14
	s_cbranch_execz .LBB6_6527
; %bb.6520:                             ;   in Loop: Header=BB6_6449 Depth=4
	v_mov_b32_e32 v52, 0
	s_mov_b32 s72, exec_lo
	v_cmpx_ne_u32_e32 0, v7
	s_cbranch_execz .LBB6_6526
; %bb.6521:                             ;   in Loop: Header=BB6_6449 Depth=4
	v_bfe_u32 v14, v7, 23, 8
	v_and_b32_e32 v15, 0x7fffff, v7
	v_sub_nc_u32_e32 v19, 0x70, v14
	v_cmp_gt_u32_e32 vcc_lo, 0x71, v14
	v_or_b32_e32 v20, 0x800000, v15
	v_cndmask_b32_e32 v19, 0, v19, vcc_lo
	v_cmp_eq_u32_e32 vcc_lo, 0, v14
	v_add_nc_u32_e32 v14, 0xffffff91, v14
	v_cndmask_b32_e64 v19, v19, 0x6f, vcc_lo
	v_cndmask_b32_e32 v15, v20, v15, vcc_lo
	v_cndmask_b32_e64 v14, v14, 0xffffff92, vcc_lo
	v_lshl_add_u32 v20, 0x200000, v19, -1
	v_lshrrev_b32_e32 v21, v19, v15
	v_lshlrev_b32_e64 v24, v19, 0x100000
	v_add_nc_u32_e32 v19, v19, v14
	v_and_b32_e32 v15, v20, v15
	v_bfe_u32 v23, v21, 21, 1
	v_cmp_eq_u32_e64 s16, v15, v24
	v_add_nc_u32_e32 v20, -1, v23
	v_cndmask_b32_e64 v15, 0, v20, s16
	v_lshrrev_b32_e32 v20, 23, v21
	s_mov_b32 s16, exec_lo
	v_add_nc_u32_e32 v15, v15, v21
	v_xor_b32_e32 v20, 1, v20
	v_and_b32_e32 v14, 0x1fffff, v15
	v_add_nc_u32_e32 v15, v14, v21
                                        ; implicit-def: $vgpr14
	v_cmpx_ne_u32_e64 v19, v20
	s_xor_b32 s16, exec_lo, s16
; %bb.6522:                             ;   in Loop: Header=BB6_6449 Depth=4
	v_cmp_lt_u32_e32 vcc_lo, 0xffffff, v15
	v_sub_nc_u32_e32 v14, v19, v20
	v_cndmask_b32_e64 v19, 0, 1, vcc_lo
	v_add_co_ci_u32_e64 v14, null, 0, v14, vcc_lo
	v_lshrrev_b32_e32 v15, v19, v15
; %bb.6523:                             ;   in Loop: Header=BB6_6449 Depth=4
	s_andn2_saveexec_b32 s16, s16
; %bb.6524:                             ;   in Loop: Header=BB6_6449 Depth=4
	v_bfe_u32 v14, v15, 23, 1
; %bb.6525:                             ;   in Loop: Header=BB6_6449 Depth=4
	s_or_b32 exec_lo, exec_lo, s16
	v_lshrrev_b32_e32 v15, 21, v15
	v_cmp_gt_i32_e32 vcc_lo, 32, v14
	v_min_i32_e32 v19, 31, v14
	v_and_b32_sdwa v7, v7, v117 dst_sel:DWORD dst_unused:UNUSED_PAD src0_sel:BYTE_3 src1_sel:DWORD
	v_cndmask_b32_e32 v15, 3, v15, vcc_lo
	v_lshlrev_b32_e32 v19, 2, v19
	v_and_b32_e32 v20, 3, v15
	v_or_b32_e32 v14, v14, v15
	v_or3_b32 v7, v19, v7, v20
	v_cmp_ne_u32_e32 vcc_lo, 0, v14
	v_cndmask_b32_e32 v52, 0, v7, vcc_lo
.LBB6_6526:                             ;   in Loop: Header=BB6_6449 Depth=4
	s_or_b32 exec_lo, exec_lo, s72
.LBB6_6527:                             ;   in Loop: Header=BB6_6449 Depth=4
	s_or_b32 exec_lo, exec_lo, s63
	flat_load_ubyte v7, v[8:9] offset:160 slc
	s_mov_b32 s16, 0
	s_mov_b32 s63, exec_lo
	s_waitcnt vmcnt(0) lgkmcnt(0)
	v_cmpx_lt_i16_e32 0x7f, v7
	s_xor_b32 s63, exec_lo, s63
	s_cbranch_execz .LBB6_7553
; %bb.6528:                             ;   in Loop: Header=BB6_6449 Depth=4
	s_mov_b32 s16, -1
	s_mov_b32 s72, exec_lo
	v_cmpx_eq_u16_e32 0x80, v7
; %bb.6529:                             ;   in Loop: Header=BB6_6449 Depth=4
	s_xor_b32 s16, exec_lo, -1
; %bb.6530:                             ;   in Loop: Header=BB6_6449 Depth=4
	s_or_b32 exec_lo, exec_lo, s72
	s_and_b32 s16, s16, exec_lo
	s_or_saveexec_b32 s63, s63
	v_mov_b32_e32 v14, 0x7f800001
	s_xor_b32 exec_lo, exec_lo, s63
	s_cbranch_execnz .LBB6_7554
.LBB6_6531:                             ;   in Loop: Header=BB6_6449 Depth=4
	s_or_b32 exec_lo, exec_lo, s63
	s_and_saveexec_b32 s63, s16
	s_cbranch_execz .LBB6_6533
.LBB6_6532:                             ;   in Loop: Header=BB6_6449 Depth=4
	v_and_b32_e32 v14, 0xffff, v7
	v_lshlrev_b32_e32 v7, 24, v7
	v_and_b32_e32 v15, 3, v14
	v_bfe_u32 v21, v14, 2, 5
	v_and_b32_e32 v7, 0x80000000, v7
	v_ffbh_u32_e32 v19, v15
	v_cmp_eq_u32_e32 vcc_lo, 0, v21
	v_min_u32_e32 v19, 32, v19
	v_subrev_nc_u32_e32 v20, 29, v19
	v_sub_nc_u32_e32 v19, 30, v19
	v_lshlrev_b32_e32 v14, v20, v14
	v_cndmask_b32_e32 v19, v21, v19, vcc_lo
	v_and_b32_e32 v14, 3, v14
	v_cndmask_b32_e32 v14, v15, v14, vcc_lo
	v_lshl_add_u32 v15, v19, 23, 0x37800000
	v_lshlrev_b32_e32 v14, 21, v14
	v_or3_b32 v14, v7, v15, v14
.LBB6_6533:                             ;   in Loop: Header=BB6_6449 Depth=4
	s_or_b32 exec_lo, exec_lo, s63
	v_mul_f32_e32 v7, v6, v14
	v_mov_b32_e32 v66, 0x80
	s_mov_b32 s63, exec_lo
	v_and_b32_e32 v14, 0x7f800000, v7
	v_cmpx_ne_u32_e32 0x7f800000, v14
	s_cbranch_execz .LBB6_6541
; %bb.6534:                             ;   in Loop: Header=BB6_6449 Depth=4
	v_mov_b32_e32 v66, 0
	s_mov_b32 s72, exec_lo
	v_cmpx_ne_u32_e32 0, v7
	s_cbranch_execz .LBB6_6540
; %bb.6535:                             ;   in Loop: Header=BB6_6449 Depth=4
	v_bfe_u32 v14, v7, 23, 8
	v_and_b32_e32 v15, 0x7fffff, v7
	v_sub_nc_u32_e32 v19, 0x70, v14
	v_cmp_gt_u32_e32 vcc_lo, 0x71, v14
	v_or_b32_e32 v20, 0x800000, v15
	v_cndmask_b32_e32 v19, 0, v19, vcc_lo
	v_cmp_eq_u32_e32 vcc_lo, 0, v14
	v_add_nc_u32_e32 v14, 0xffffff91, v14
	v_cndmask_b32_e64 v19, v19, 0x6f, vcc_lo
	v_cndmask_b32_e32 v15, v20, v15, vcc_lo
	v_cndmask_b32_e64 v14, v14, 0xffffff92, vcc_lo
	v_lshl_add_u32 v20, 0x200000, v19, -1
	v_lshrrev_b32_e32 v21, v19, v15
	v_lshlrev_b32_e64 v24, v19, 0x100000
	v_add_nc_u32_e32 v19, v19, v14
	v_and_b32_e32 v15, v20, v15
	v_bfe_u32 v23, v21, 21, 1
	v_cmp_eq_u32_e64 s16, v15, v24
	v_add_nc_u32_e32 v20, -1, v23
	v_cndmask_b32_e64 v15, 0, v20, s16
	v_lshrrev_b32_e32 v20, 23, v21
	s_mov_b32 s16, exec_lo
	v_add_nc_u32_e32 v15, v15, v21
	v_xor_b32_e32 v20, 1, v20
	v_and_b32_e32 v14, 0x1fffff, v15
	v_add_nc_u32_e32 v15, v14, v21
                                        ; implicit-def: $vgpr14
	v_cmpx_ne_u32_e64 v19, v20
	s_xor_b32 s16, exec_lo, s16
; %bb.6536:                             ;   in Loop: Header=BB6_6449 Depth=4
	v_cmp_lt_u32_e32 vcc_lo, 0xffffff, v15
	v_sub_nc_u32_e32 v14, v19, v20
	v_cndmask_b32_e64 v19, 0, 1, vcc_lo
	v_add_co_ci_u32_e64 v14, null, 0, v14, vcc_lo
	v_lshrrev_b32_e32 v15, v19, v15
; %bb.6537:                             ;   in Loop: Header=BB6_6449 Depth=4
	s_andn2_saveexec_b32 s16, s16
; %bb.6538:                             ;   in Loop: Header=BB6_6449 Depth=4
	v_bfe_u32 v14, v15, 23, 1
; %bb.6539:                             ;   in Loop: Header=BB6_6449 Depth=4
	s_or_b32 exec_lo, exec_lo, s16
	v_lshrrev_b32_e32 v15, 21, v15
	v_cmp_gt_i32_e32 vcc_lo, 32, v14
	v_min_i32_e32 v19, 31, v14
	v_and_b32_sdwa v7, v7, v117 dst_sel:DWORD dst_unused:UNUSED_PAD src0_sel:BYTE_3 src1_sel:DWORD
	v_cndmask_b32_e32 v15, 3, v15, vcc_lo
	v_lshlrev_b32_e32 v19, 2, v19
	v_and_b32_e32 v20, 3, v15
	v_or_b32_e32 v14, v14, v15
	v_or3_b32 v7, v19, v7, v20
	v_cmp_ne_u32_e32 vcc_lo, 0, v14
	v_cndmask_b32_e32 v66, 0, v7, vcc_lo
.LBB6_6540:                             ;   in Loop: Header=BB6_6449 Depth=4
	s_or_b32 exec_lo, exec_lo, s72
.LBB6_6541:                             ;   in Loop: Header=BB6_6449 Depth=4
	s_or_b32 exec_lo, exec_lo, s63
	flat_load_ubyte v7, v[8:9] offset:192 slc
	s_mov_b32 s16, 0
	s_mov_b32 s63, exec_lo
	s_waitcnt vmcnt(0) lgkmcnt(0)
	v_cmpx_lt_i16_e32 0x7f, v7
	s_xor_b32 s63, exec_lo, s63
	s_cbranch_execz .LBB6_7555
; %bb.6542:                             ;   in Loop: Header=BB6_6449 Depth=4
	s_mov_b32 s16, -1
	s_mov_b32 s72, exec_lo
	v_cmpx_eq_u16_e32 0x80, v7
; %bb.6543:                             ;   in Loop: Header=BB6_6449 Depth=4
	s_xor_b32 s16, exec_lo, -1
; %bb.6544:                             ;   in Loop: Header=BB6_6449 Depth=4
	s_or_b32 exec_lo, exec_lo, s72
	s_and_b32 s16, s16, exec_lo
	s_or_saveexec_b32 s63, s63
	v_mov_b32_e32 v14, 0x7f800001
	s_xor_b32 exec_lo, exec_lo, s63
	s_cbranch_execnz .LBB6_7556
.LBB6_6545:                             ;   in Loop: Header=BB6_6449 Depth=4
	s_or_b32 exec_lo, exec_lo, s63
	s_and_saveexec_b32 s63, s16
	s_cbranch_execz .LBB6_6547
.LBB6_6546:                             ;   in Loop: Header=BB6_6449 Depth=4
	v_and_b32_e32 v14, 0xffff, v7
	v_lshlrev_b32_e32 v7, 24, v7
	v_and_b32_e32 v15, 3, v14
	v_bfe_u32 v21, v14, 2, 5
	v_and_b32_e32 v7, 0x80000000, v7
	v_ffbh_u32_e32 v19, v15
	v_cmp_eq_u32_e32 vcc_lo, 0, v21
	v_min_u32_e32 v19, 32, v19
	v_subrev_nc_u32_e32 v20, 29, v19
	v_sub_nc_u32_e32 v19, 30, v19
	v_lshlrev_b32_e32 v14, v20, v14
	v_cndmask_b32_e32 v19, v21, v19, vcc_lo
	v_and_b32_e32 v14, 3, v14
	v_cndmask_b32_e32 v14, v15, v14, vcc_lo
	v_lshl_add_u32 v15, v19, 23, 0x37800000
	v_lshlrev_b32_e32 v14, 21, v14
	v_or3_b32 v14, v7, v15, v14
.LBB6_6547:                             ;   in Loop: Header=BB6_6449 Depth=4
	s_or_b32 exec_lo, exec_lo, s63
	v_mul_f32_e32 v7, v6, v14
	v_mov_b32_e32 v81, 0x80
	s_mov_b32 s63, exec_lo
	v_and_b32_e32 v14, 0x7f800000, v7
	v_cmpx_ne_u32_e32 0x7f800000, v14
	s_cbranch_execz .LBB6_6555
; %bb.6548:                             ;   in Loop: Header=BB6_6449 Depth=4
	v_mov_b32_e32 v81, 0
	s_mov_b32 s72, exec_lo
	v_cmpx_ne_u32_e32 0, v7
	s_cbranch_execz .LBB6_6554
; %bb.6549:                             ;   in Loop: Header=BB6_6449 Depth=4
	v_bfe_u32 v14, v7, 23, 8
	v_and_b32_e32 v15, 0x7fffff, v7
	v_sub_nc_u32_e32 v19, 0x70, v14
	v_cmp_gt_u32_e32 vcc_lo, 0x71, v14
	v_or_b32_e32 v20, 0x800000, v15
	v_cndmask_b32_e32 v19, 0, v19, vcc_lo
	v_cmp_eq_u32_e32 vcc_lo, 0, v14
	v_add_nc_u32_e32 v14, 0xffffff91, v14
	v_cndmask_b32_e64 v19, v19, 0x6f, vcc_lo
	v_cndmask_b32_e32 v15, v20, v15, vcc_lo
	v_cndmask_b32_e64 v14, v14, 0xffffff92, vcc_lo
	v_lshl_add_u32 v20, 0x200000, v19, -1
	v_lshrrev_b32_e32 v21, v19, v15
	v_lshlrev_b32_e64 v24, v19, 0x100000
	v_add_nc_u32_e32 v19, v19, v14
	v_and_b32_e32 v15, v20, v15
	v_bfe_u32 v23, v21, 21, 1
	v_cmp_eq_u32_e64 s16, v15, v24
	v_add_nc_u32_e32 v20, -1, v23
	v_cndmask_b32_e64 v15, 0, v20, s16
	v_lshrrev_b32_e32 v20, 23, v21
	s_mov_b32 s16, exec_lo
	v_add_nc_u32_e32 v15, v15, v21
	v_xor_b32_e32 v20, 1, v20
	v_and_b32_e32 v14, 0x1fffff, v15
	v_add_nc_u32_e32 v15, v14, v21
                                        ; implicit-def: $vgpr14
	v_cmpx_ne_u32_e64 v19, v20
	s_xor_b32 s16, exec_lo, s16
; %bb.6550:                             ;   in Loop: Header=BB6_6449 Depth=4
	v_cmp_lt_u32_e32 vcc_lo, 0xffffff, v15
	v_sub_nc_u32_e32 v14, v19, v20
	v_cndmask_b32_e64 v19, 0, 1, vcc_lo
	v_add_co_ci_u32_e64 v14, null, 0, v14, vcc_lo
	v_lshrrev_b32_e32 v15, v19, v15
; %bb.6551:                             ;   in Loop: Header=BB6_6449 Depth=4
	s_andn2_saveexec_b32 s16, s16
; %bb.6552:                             ;   in Loop: Header=BB6_6449 Depth=4
	v_bfe_u32 v14, v15, 23, 1
; %bb.6553:                             ;   in Loop: Header=BB6_6449 Depth=4
	s_or_b32 exec_lo, exec_lo, s16
	v_lshrrev_b32_e32 v15, 21, v15
	v_cmp_gt_i32_e32 vcc_lo, 32, v14
	v_min_i32_e32 v19, 31, v14
	v_and_b32_sdwa v7, v7, v117 dst_sel:DWORD dst_unused:UNUSED_PAD src0_sel:BYTE_3 src1_sel:DWORD
	v_cndmask_b32_e32 v15, 3, v15, vcc_lo
	v_lshlrev_b32_e32 v19, 2, v19
	v_and_b32_e32 v20, 3, v15
	v_or_b32_e32 v14, v14, v15
	v_or3_b32 v7, v19, v7, v20
	v_cmp_ne_u32_e32 vcc_lo, 0, v14
	v_cndmask_b32_e32 v81, 0, v7, vcc_lo
.LBB6_6554:                             ;   in Loop: Header=BB6_6449 Depth=4
	s_or_b32 exec_lo, exec_lo, s72
.LBB6_6555:                             ;   in Loop: Header=BB6_6449 Depth=4
	s_or_b32 exec_lo, exec_lo, s63
	flat_load_ubyte v7, v[8:9] offset:224 slc
	s_mov_b32 s16, 0
	s_mov_b32 s63, exec_lo
	s_waitcnt vmcnt(0) lgkmcnt(0)
	v_cmpx_lt_i16_e32 0x7f, v7
	s_xor_b32 s63, exec_lo, s63
	s_cbranch_execz .LBB6_7557
; %bb.6556:                             ;   in Loop: Header=BB6_6449 Depth=4
	s_mov_b32 s16, -1
	s_mov_b32 s72, exec_lo
	v_cmpx_eq_u16_e32 0x80, v7
; %bb.6557:                             ;   in Loop: Header=BB6_6449 Depth=4
	s_xor_b32 s16, exec_lo, -1
; %bb.6558:                             ;   in Loop: Header=BB6_6449 Depth=4
	s_or_b32 exec_lo, exec_lo, s72
	s_and_b32 s16, s16, exec_lo
	s_or_saveexec_b32 s63, s63
	v_mov_b32_e32 v14, 0x7f800001
	s_xor_b32 exec_lo, exec_lo, s63
	s_cbranch_execnz .LBB6_7558
.LBB6_6559:                             ;   in Loop: Header=BB6_6449 Depth=4
	s_or_b32 exec_lo, exec_lo, s63
	s_and_saveexec_b32 s63, s16
	s_cbranch_execz .LBB6_6561
.LBB6_6560:                             ;   in Loop: Header=BB6_6449 Depth=4
	v_and_b32_e32 v14, 0xffff, v7
	v_lshlrev_b32_e32 v7, 24, v7
	v_and_b32_e32 v15, 3, v14
	v_bfe_u32 v21, v14, 2, 5
	v_and_b32_e32 v7, 0x80000000, v7
	v_ffbh_u32_e32 v19, v15
	v_cmp_eq_u32_e32 vcc_lo, 0, v21
	v_min_u32_e32 v19, 32, v19
	v_subrev_nc_u32_e32 v20, 29, v19
	v_sub_nc_u32_e32 v19, 30, v19
	v_lshlrev_b32_e32 v14, v20, v14
	v_cndmask_b32_e32 v19, v21, v19, vcc_lo
	v_and_b32_e32 v14, 3, v14
	v_cndmask_b32_e32 v14, v15, v14, vcc_lo
	v_lshl_add_u32 v15, v19, 23, 0x37800000
	v_lshlrev_b32_e32 v14, 21, v14
	v_or3_b32 v14, v7, v15, v14
.LBB6_6561:                             ;   in Loop: Header=BB6_6449 Depth=4
	s_or_b32 exec_lo, exec_lo, s63
	v_mul_f32_e32 v7, v6, v14
	v_mov_b32_e32 v85, 0x80
	s_mov_b32 s63, exec_lo
	v_and_b32_e32 v14, 0x7f800000, v7
	v_cmpx_ne_u32_e32 0x7f800000, v14
	s_cbranch_execz .LBB6_6569
; %bb.6562:                             ;   in Loop: Header=BB6_6449 Depth=4
	v_mov_b32_e32 v85, 0
	s_mov_b32 s72, exec_lo
	v_cmpx_ne_u32_e32 0, v7
	s_cbranch_execz .LBB6_6568
; %bb.6563:                             ;   in Loop: Header=BB6_6449 Depth=4
	v_bfe_u32 v14, v7, 23, 8
	v_and_b32_e32 v15, 0x7fffff, v7
	v_sub_nc_u32_e32 v19, 0x70, v14
	v_cmp_gt_u32_e32 vcc_lo, 0x71, v14
	v_or_b32_e32 v20, 0x800000, v15
	v_cndmask_b32_e32 v19, 0, v19, vcc_lo
	v_cmp_eq_u32_e32 vcc_lo, 0, v14
	v_add_nc_u32_e32 v14, 0xffffff91, v14
	v_cndmask_b32_e64 v19, v19, 0x6f, vcc_lo
	v_cndmask_b32_e32 v15, v20, v15, vcc_lo
	v_cndmask_b32_e64 v14, v14, 0xffffff92, vcc_lo
	v_lshl_add_u32 v20, 0x200000, v19, -1
	v_lshrrev_b32_e32 v21, v19, v15
	v_lshlrev_b32_e64 v24, v19, 0x100000
	v_add_nc_u32_e32 v19, v19, v14
	v_and_b32_e32 v15, v20, v15
	v_bfe_u32 v23, v21, 21, 1
	v_cmp_eq_u32_e64 s16, v15, v24
	v_add_nc_u32_e32 v20, -1, v23
	v_cndmask_b32_e64 v15, 0, v20, s16
	v_lshrrev_b32_e32 v20, 23, v21
	s_mov_b32 s16, exec_lo
	v_add_nc_u32_e32 v15, v15, v21
	v_xor_b32_e32 v20, 1, v20
	v_and_b32_e32 v14, 0x1fffff, v15
	v_add_nc_u32_e32 v15, v14, v21
                                        ; implicit-def: $vgpr14
	v_cmpx_ne_u32_e64 v19, v20
	s_xor_b32 s16, exec_lo, s16
; %bb.6564:                             ;   in Loop: Header=BB6_6449 Depth=4
	v_cmp_lt_u32_e32 vcc_lo, 0xffffff, v15
	v_sub_nc_u32_e32 v14, v19, v20
	v_cndmask_b32_e64 v19, 0, 1, vcc_lo
	v_add_co_ci_u32_e64 v14, null, 0, v14, vcc_lo
	v_lshrrev_b32_e32 v15, v19, v15
; %bb.6565:                             ;   in Loop: Header=BB6_6449 Depth=4
	s_andn2_saveexec_b32 s16, s16
; %bb.6566:                             ;   in Loop: Header=BB6_6449 Depth=4
	v_bfe_u32 v14, v15, 23, 1
; %bb.6567:                             ;   in Loop: Header=BB6_6449 Depth=4
	s_or_b32 exec_lo, exec_lo, s16
	v_lshrrev_b32_e32 v15, 21, v15
	v_cmp_gt_i32_e32 vcc_lo, 32, v14
	v_min_i32_e32 v19, 31, v14
	v_and_b32_sdwa v7, v7, v117 dst_sel:DWORD dst_unused:UNUSED_PAD src0_sel:BYTE_3 src1_sel:DWORD
	v_cndmask_b32_e32 v15, 3, v15, vcc_lo
	v_lshlrev_b32_e32 v19, 2, v19
	v_and_b32_e32 v20, 3, v15
	v_or_b32_e32 v14, v14, v15
	v_or3_b32 v7, v19, v7, v20
	v_cmp_ne_u32_e32 vcc_lo, 0, v14
	v_cndmask_b32_e32 v85, 0, v7, vcc_lo
.LBB6_6568:                             ;   in Loop: Header=BB6_6449 Depth=4
	s_or_b32 exec_lo, exec_lo, s72
.LBB6_6569:                             ;   in Loop: Header=BB6_6449 Depth=4
	s_or_b32 exec_lo, exec_lo, s63
	flat_load_ubyte v7, v[8:9] offset:256 slc
	s_mov_b32 s16, 0
	s_mov_b32 s63, exec_lo
	s_waitcnt vmcnt(0) lgkmcnt(0)
	v_cmpx_lt_i16_e32 0x7f, v7
	s_xor_b32 s63, exec_lo, s63
	s_cbranch_execz .LBB6_7559
; %bb.6570:                             ;   in Loop: Header=BB6_6449 Depth=4
	s_mov_b32 s16, -1
	s_mov_b32 s72, exec_lo
	v_cmpx_eq_u16_e32 0x80, v7
; %bb.6571:                             ;   in Loop: Header=BB6_6449 Depth=4
	s_xor_b32 s16, exec_lo, -1
; %bb.6572:                             ;   in Loop: Header=BB6_6449 Depth=4
	s_or_b32 exec_lo, exec_lo, s72
	s_and_b32 s16, s16, exec_lo
	s_or_saveexec_b32 s63, s63
	v_mov_b32_e32 v14, 0x7f800001
	s_xor_b32 exec_lo, exec_lo, s63
	s_cbranch_execnz .LBB6_7560
.LBB6_6573:                             ;   in Loop: Header=BB6_6449 Depth=4
	s_or_b32 exec_lo, exec_lo, s63
	s_and_saveexec_b32 s63, s16
	s_cbranch_execz .LBB6_6575
.LBB6_6574:                             ;   in Loop: Header=BB6_6449 Depth=4
	v_and_b32_e32 v14, 0xffff, v7
	v_lshlrev_b32_e32 v7, 24, v7
	v_and_b32_e32 v15, 3, v14
	v_bfe_u32 v21, v14, 2, 5
	v_and_b32_e32 v7, 0x80000000, v7
	v_ffbh_u32_e32 v19, v15
	v_cmp_eq_u32_e32 vcc_lo, 0, v21
	v_min_u32_e32 v19, 32, v19
	v_subrev_nc_u32_e32 v20, 29, v19
	v_sub_nc_u32_e32 v19, 30, v19
	v_lshlrev_b32_e32 v14, v20, v14
	v_cndmask_b32_e32 v19, v21, v19, vcc_lo
	v_and_b32_e32 v14, 3, v14
	v_cndmask_b32_e32 v14, v15, v14, vcc_lo
	v_lshl_add_u32 v15, v19, 23, 0x37800000
	v_lshlrev_b32_e32 v14, 21, v14
	v_or3_b32 v14, v7, v15, v14
.LBB6_6575:                             ;   in Loop: Header=BB6_6449 Depth=4
	s_or_b32 exec_lo, exec_lo, s63
	v_mul_f32_e32 v7, v6, v14
	v_mov_b32_e32 v97, 0x80
	s_mov_b32 s63, exec_lo
	v_and_b32_e32 v14, 0x7f800000, v7
	v_cmpx_ne_u32_e32 0x7f800000, v14
	s_cbranch_execz .LBB6_6583
; %bb.6576:                             ;   in Loop: Header=BB6_6449 Depth=4
	v_mov_b32_e32 v97, 0
	s_mov_b32 s72, exec_lo
	v_cmpx_ne_u32_e32 0, v7
	s_cbranch_execz .LBB6_6582
; %bb.6577:                             ;   in Loop: Header=BB6_6449 Depth=4
	v_bfe_u32 v14, v7, 23, 8
	v_and_b32_e32 v15, 0x7fffff, v7
	v_sub_nc_u32_e32 v19, 0x70, v14
	v_cmp_gt_u32_e32 vcc_lo, 0x71, v14
	v_or_b32_e32 v20, 0x800000, v15
	v_cndmask_b32_e32 v19, 0, v19, vcc_lo
	v_cmp_eq_u32_e32 vcc_lo, 0, v14
	v_add_nc_u32_e32 v14, 0xffffff91, v14
	v_cndmask_b32_e64 v19, v19, 0x6f, vcc_lo
	v_cndmask_b32_e32 v15, v20, v15, vcc_lo
	v_cndmask_b32_e64 v14, v14, 0xffffff92, vcc_lo
	v_lshl_add_u32 v20, 0x200000, v19, -1
	v_lshrrev_b32_e32 v21, v19, v15
	v_lshlrev_b32_e64 v24, v19, 0x100000
	v_add_nc_u32_e32 v19, v19, v14
	v_and_b32_e32 v15, v20, v15
	v_bfe_u32 v23, v21, 21, 1
	v_cmp_eq_u32_e64 s16, v15, v24
	v_add_nc_u32_e32 v20, -1, v23
	v_cndmask_b32_e64 v15, 0, v20, s16
	v_lshrrev_b32_e32 v20, 23, v21
	s_mov_b32 s16, exec_lo
	v_add_nc_u32_e32 v15, v15, v21
	v_xor_b32_e32 v20, 1, v20
	v_and_b32_e32 v14, 0x1fffff, v15
	v_add_nc_u32_e32 v15, v14, v21
                                        ; implicit-def: $vgpr14
	v_cmpx_ne_u32_e64 v19, v20
	s_xor_b32 s16, exec_lo, s16
; %bb.6578:                             ;   in Loop: Header=BB6_6449 Depth=4
	v_cmp_lt_u32_e32 vcc_lo, 0xffffff, v15
	v_sub_nc_u32_e32 v14, v19, v20
	v_cndmask_b32_e64 v19, 0, 1, vcc_lo
	v_add_co_ci_u32_e64 v14, null, 0, v14, vcc_lo
	v_lshrrev_b32_e32 v15, v19, v15
; %bb.6579:                             ;   in Loop: Header=BB6_6449 Depth=4
	s_andn2_saveexec_b32 s16, s16
; %bb.6580:                             ;   in Loop: Header=BB6_6449 Depth=4
	v_bfe_u32 v14, v15, 23, 1
; %bb.6581:                             ;   in Loop: Header=BB6_6449 Depth=4
	s_or_b32 exec_lo, exec_lo, s16
	v_lshrrev_b32_e32 v15, 21, v15
	v_cmp_gt_i32_e32 vcc_lo, 32, v14
	v_min_i32_e32 v19, 31, v14
	v_and_b32_sdwa v7, v7, v117 dst_sel:DWORD dst_unused:UNUSED_PAD src0_sel:BYTE_3 src1_sel:DWORD
	v_cndmask_b32_e32 v15, 3, v15, vcc_lo
	v_lshlrev_b32_e32 v19, 2, v19
	v_and_b32_e32 v20, 3, v15
	v_or_b32_e32 v14, v14, v15
	v_or3_b32 v7, v19, v7, v20
	v_cmp_ne_u32_e32 vcc_lo, 0, v14
	v_cndmask_b32_e32 v97, 0, v7, vcc_lo
.LBB6_6582:                             ;   in Loop: Header=BB6_6449 Depth=4
	s_or_b32 exec_lo, exec_lo, s72
.LBB6_6583:                             ;   in Loop: Header=BB6_6449 Depth=4
	s_or_b32 exec_lo, exec_lo, s63
	flat_load_ubyte v7, v[8:9] offset:288 slc
	s_mov_b32 s16, 0
	s_mov_b32 s63, exec_lo
	s_waitcnt vmcnt(0) lgkmcnt(0)
	v_cmpx_lt_i16_e32 0x7f, v7
	s_xor_b32 s63, exec_lo, s63
	s_cbranch_execz .LBB6_7561
; %bb.6584:                             ;   in Loop: Header=BB6_6449 Depth=4
	s_mov_b32 s16, -1
	s_mov_b32 s72, exec_lo
	v_cmpx_eq_u16_e32 0x80, v7
; %bb.6585:                             ;   in Loop: Header=BB6_6449 Depth=4
	s_xor_b32 s16, exec_lo, -1
; %bb.6586:                             ;   in Loop: Header=BB6_6449 Depth=4
	s_or_b32 exec_lo, exec_lo, s72
	s_and_b32 s16, s16, exec_lo
	s_or_saveexec_b32 s63, s63
	v_mov_b32_e32 v14, 0x7f800001
	s_xor_b32 exec_lo, exec_lo, s63
	s_cbranch_execnz .LBB6_7562
.LBB6_6587:                             ;   in Loop: Header=BB6_6449 Depth=4
	s_or_b32 exec_lo, exec_lo, s63
	s_and_saveexec_b32 s63, s16
	s_cbranch_execz .LBB6_6589
.LBB6_6588:                             ;   in Loop: Header=BB6_6449 Depth=4
	v_and_b32_e32 v14, 0xffff, v7
	v_lshlrev_b32_e32 v7, 24, v7
	v_and_b32_e32 v15, 3, v14
	v_bfe_u32 v21, v14, 2, 5
	v_and_b32_e32 v7, 0x80000000, v7
	v_ffbh_u32_e32 v19, v15
	v_cmp_eq_u32_e32 vcc_lo, 0, v21
	v_min_u32_e32 v19, 32, v19
	v_subrev_nc_u32_e32 v20, 29, v19
	v_sub_nc_u32_e32 v19, 30, v19
	v_lshlrev_b32_e32 v14, v20, v14
	v_cndmask_b32_e32 v19, v21, v19, vcc_lo
	v_and_b32_e32 v14, 3, v14
	v_cndmask_b32_e32 v14, v15, v14, vcc_lo
	v_lshl_add_u32 v15, v19, 23, 0x37800000
	v_lshlrev_b32_e32 v14, 21, v14
	v_or3_b32 v14, v7, v15, v14
.LBB6_6589:                             ;   in Loop: Header=BB6_6449 Depth=4
	s_or_b32 exec_lo, exec_lo, s63
	v_mul_f32_e32 v7, v6, v14
	v_mov_b32_e32 v113, 0x80
	s_mov_b32 s63, exec_lo
	v_and_b32_e32 v14, 0x7f800000, v7
	v_cmpx_ne_u32_e32 0x7f800000, v14
	s_cbranch_execz .LBB6_6597
; %bb.6590:                             ;   in Loop: Header=BB6_6449 Depth=4
	v_mov_b32_e32 v113, 0
	s_mov_b32 s72, exec_lo
	v_cmpx_ne_u32_e32 0, v7
	s_cbranch_execz .LBB6_6596
; %bb.6591:                             ;   in Loop: Header=BB6_6449 Depth=4
	v_bfe_u32 v14, v7, 23, 8
	v_and_b32_e32 v15, 0x7fffff, v7
	v_sub_nc_u32_e32 v19, 0x70, v14
	v_cmp_gt_u32_e32 vcc_lo, 0x71, v14
	v_or_b32_e32 v20, 0x800000, v15
	v_cndmask_b32_e32 v19, 0, v19, vcc_lo
	v_cmp_eq_u32_e32 vcc_lo, 0, v14
	v_add_nc_u32_e32 v14, 0xffffff91, v14
	v_cndmask_b32_e64 v19, v19, 0x6f, vcc_lo
	v_cndmask_b32_e32 v15, v20, v15, vcc_lo
	v_cndmask_b32_e64 v14, v14, 0xffffff92, vcc_lo
	v_lshl_add_u32 v20, 0x200000, v19, -1
	v_lshrrev_b32_e32 v21, v19, v15
	v_lshlrev_b32_e64 v24, v19, 0x100000
	v_add_nc_u32_e32 v19, v19, v14
	v_and_b32_e32 v15, v20, v15
	v_bfe_u32 v23, v21, 21, 1
	v_cmp_eq_u32_e64 s16, v15, v24
	v_add_nc_u32_e32 v20, -1, v23
	v_cndmask_b32_e64 v15, 0, v20, s16
	v_lshrrev_b32_e32 v20, 23, v21
	s_mov_b32 s16, exec_lo
	v_add_nc_u32_e32 v15, v15, v21
	v_xor_b32_e32 v20, 1, v20
	v_and_b32_e32 v14, 0x1fffff, v15
	v_add_nc_u32_e32 v15, v14, v21
                                        ; implicit-def: $vgpr14
	v_cmpx_ne_u32_e64 v19, v20
	s_xor_b32 s16, exec_lo, s16
; %bb.6592:                             ;   in Loop: Header=BB6_6449 Depth=4
	v_cmp_lt_u32_e32 vcc_lo, 0xffffff, v15
	v_sub_nc_u32_e32 v14, v19, v20
	v_cndmask_b32_e64 v19, 0, 1, vcc_lo
	v_add_co_ci_u32_e64 v14, null, 0, v14, vcc_lo
	v_lshrrev_b32_e32 v15, v19, v15
; %bb.6593:                             ;   in Loop: Header=BB6_6449 Depth=4
	s_andn2_saveexec_b32 s16, s16
; %bb.6594:                             ;   in Loop: Header=BB6_6449 Depth=4
	v_bfe_u32 v14, v15, 23, 1
; %bb.6595:                             ;   in Loop: Header=BB6_6449 Depth=4
	s_or_b32 exec_lo, exec_lo, s16
	v_lshrrev_b32_e32 v15, 21, v15
	v_cmp_gt_i32_e32 vcc_lo, 32, v14
	v_min_i32_e32 v19, 31, v14
	v_and_b32_sdwa v7, v7, v117 dst_sel:DWORD dst_unused:UNUSED_PAD src0_sel:BYTE_3 src1_sel:DWORD
	v_cndmask_b32_e32 v15, 3, v15, vcc_lo
	v_lshlrev_b32_e32 v19, 2, v19
	v_and_b32_e32 v20, 3, v15
	v_or_b32_e32 v14, v14, v15
	v_or3_b32 v7, v19, v7, v20
	v_cmp_ne_u32_e32 vcc_lo, 0, v14
	v_cndmask_b32_e32 v113, 0, v7, vcc_lo
.LBB6_6596:                             ;   in Loop: Header=BB6_6449 Depth=4
	s_or_b32 exec_lo, exec_lo, s72
.LBB6_6597:                             ;   in Loop: Header=BB6_6449 Depth=4
	s_or_b32 exec_lo, exec_lo, s63
	flat_load_ubyte v7, v[8:9] offset:320 slc
	s_mov_b32 s16, 0
	s_mov_b32 s63, exec_lo
	s_waitcnt vmcnt(0) lgkmcnt(0)
	v_cmpx_lt_i16_e32 0x7f, v7
	s_xor_b32 s63, exec_lo, s63
	s_cbranch_execz .LBB6_7563
; %bb.6598:                             ;   in Loop: Header=BB6_6449 Depth=4
	s_mov_b32 s16, -1
	s_mov_b32 s72, exec_lo
	v_cmpx_eq_u16_e32 0x80, v7
; %bb.6599:                             ;   in Loop: Header=BB6_6449 Depth=4
	s_xor_b32 s16, exec_lo, -1
; %bb.6600:                             ;   in Loop: Header=BB6_6449 Depth=4
	s_or_b32 exec_lo, exec_lo, s72
	s_and_b32 s16, s16, exec_lo
	s_or_saveexec_b32 s63, s63
	v_mov_b32_e32 v14, 0x7f800001
	s_xor_b32 exec_lo, exec_lo, s63
	s_cbranch_execnz .LBB6_7564
.LBB6_6601:                             ;   in Loop: Header=BB6_6449 Depth=4
	s_or_b32 exec_lo, exec_lo, s63
	s_and_saveexec_b32 s63, s16
	s_cbranch_execz .LBB6_6603
.LBB6_6602:                             ;   in Loop: Header=BB6_6449 Depth=4
	v_and_b32_e32 v14, 0xffff, v7
	v_lshlrev_b32_e32 v7, 24, v7
	v_and_b32_e32 v15, 3, v14
	v_bfe_u32 v21, v14, 2, 5
	v_and_b32_e32 v7, 0x80000000, v7
	v_ffbh_u32_e32 v19, v15
	v_cmp_eq_u32_e32 vcc_lo, 0, v21
	v_min_u32_e32 v19, 32, v19
	v_subrev_nc_u32_e32 v20, 29, v19
	v_sub_nc_u32_e32 v19, 30, v19
	v_lshlrev_b32_e32 v14, v20, v14
	v_cndmask_b32_e32 v19, v21, v19, vcc_lo
	v_and_b32_e32 v14, 3, v14
	v_cndmask_b32_e32 v14, v15, v14, vcc_lo
	v_lshl_add_u32 v15, v19, 23, 0x37800000
	v_lshlrev_b32_e32 v14, 21, v14
	v_or3_b32 v14, v7, v15, v14
.LBB6_6603:                             ;   in Loop: Header=BB6_6449 Depth=4
	s_or_b32 exec_lo, exec_lo, s63
	v_mul_f32_e32 v7, v6, v14
	v_mov_b32_e32 v102, 0x80
	s_mov_b32 s63, exec_lo
	v_and_b32_e32 v14, 0x7f800000, v7
	v_cmpx_ne_u32_e32 0x7f800000, v14
	s_cbranch_execz .LBB6_6611
; %bb.6604:                             ;   in Loop: Header=BB6_6449 Depth=4
	v_mov_b32_e32 v102, 0
	s_mov_b32 s72, exec_lo
	v_cmpx_ne_u32_e32 0, v7
	s_cbranch_execz .LBB6_6610
; %bb.6605:                             ;   in Loop: Header=BB6_6449 Depth=4
	v_bfe_u32 v14, v7, 23, 8
	v_and_b32_e32 v15, 0x7fffff, v7
	v_sub_nc_u32_e32 v19, 0x70, v14
	v_cmp_gt_u32_e32 vcc_lo, 0x71, v14
	v_or_b32_e32 v20, 0x800000, v15
	v_cndmask_b32_e32 v19, 0, v19, vcc_lo
	v_cmp_eq_u32_e32 vcc_lo, 0, v14
	v_add_nc_u32_e32 v14, 0xffffff91, v14
	v_cndmask_b32_e64 v19, v19, 0x6f, vcc_lo
	v_cndmask_b32_e32 v15, v20, v15, vcc_lo
	v_cndmask_b32_e64 v14, v14, 0xffffff92, vcc_lo
	v_lshl_add_u32 v20, 0x200000, v19, -1
	v_lshrrev_b32_e32 v21, v19, v15
	v_lshlrev_b32_e64 v24, v19, 0x100000
	v_add_nc_u32_e32 v19, v19, v14
	v_and_b32_e32 v15, v20, v15
	v_bfe_u32 v23, v21, 21, 1
	v_cmp_eq_u32_e64 s16, v15, v24
	v_add_nc_u32_e32 v20, -1, v23
	v_cndmask_b32_e64 v15, 0, v20, s16
	v_lshrrev_b32_e32 v20, 23, v21
	s_mov_b32 s16, exec_lo
	v_add_nc_u32_e32 v15, v15, v21
	v_xor_b32_e32 v20, 1, v20
	v_and_b32_e32 v14, 0x1fffff, v15
	v_add_nc_u32_e32 v15, v14, v21
                                        ; implicit-def: $vgpr14
	v_cmpx_ne_u32_e64 v19, v20
	s_xor_b32 s16, exec_lo, s16
; %bb.6606:                             ;   in Loop: Header=BB6_6449 Depth=4
	v_cmp_lt_u32_e32 vcc_lo, 0xffffff, v15
	v_sub_nc_u32_e32 v14, v19, v20
	v_cndmask_b32_e64 v19, 0, 1, vcc_lo
	v_add_co_ci_u32_e64 v14, null, 0, v14, vcc_lo
	v_lshrrev_b32_e32 v15, v19, v15
; %bb.6607:                             ;   in Loop: Header=BB6_6449 Depth=4
	s_andn2_saveexec_b32 s16, s16
; %bb.6608:                             ;   in Loop: Header=BB6_6449 Depth=4
	v_bfe_u32 v14, v15, 23, 1
; %bb.6609:                             ;   in Loop: Header=BB6_6449 Depth=4
	s_or_b32 exec_lo, exec_lo, s16
	v_lshrrev_b32_e32 v15, 21, v15
	v_cmp_gt_i32_e32 vcc_lo, 32, v14
	v_min_i32_e32 v19, 31, v14
	v_and_b32_sdwa v7, v7, v117 dst_sel:DWORD dst_unused:UNUSED_PAD src0_sel:BYTE_3 src1_sel:DWORD
	v_cndmask_b32_e32 v15, 3, v15, vcc_lo
	v_lshlrev_b32_e32 v19, 2, v19
	v_and_b32_e32 v20, 3, v15
	v_or_b32_e32 v14, v14, v15
	v_or3_b32 v7, v19, v7, v20
	v_cmp_ne_u32_e32 vcc_lo, 0, v14
	v_cndmask_b32_e32 v102, 0, v7, vcc_lo
.LBB6_6610:                             ;   in Loop: Header=BB6_6449 Depth=4
	s_or_b32 exec_lo, exec_lo, s72
.LBB6_6611:                             ;   in Loop: Header=BB6_6449 Depth=4
	s_or_b32 exec_lo, exec_lo, s63
	flat_load_ubyte v7, v[8:9] offset:352 slc
	s_mov_b32 s16, 0
	s_mov_b32 s63, exec_lo
	s_waitcnt vmcnt(0) lgkmcnt(0)
	v_cmpx_lt_i16_e32 0x7f, v7
	s_xor_b32 s63, exec_lo, s63
	s_cbranch_execz .LBB6_7565
; %bb.6612:                             ;   in Loop: Header=BB6_6449 Depth=4
	s_mov_b32 s16, -1
	s_mov_b32 s72, exec_lo
	v_cmpx_eq_u16_e32 0x80, v7
; %bb.6613:                             ;   in Loop: Header=BB6_6449 Depth=4
	s_xor_b32 s16, exec_lo, -1
; %bb.6614:                             ;   in Loop: Header=BB6_6449 Depth=4
	s_or_b32 exec_lo, exec_lo, s72
	s_and_b32 s16, s16, exec_lo
	s_or_saveexec_b32 s63, s63
	v_mov_b32_e32 v14, 0x7f800001
	s_xor_b32 exec_lo, exec_lo, s63
	s_cbranch_execnz .LBB6_7566
.LBB6_6615:                             ;   in Loop: Header=BB6_6449 Depth=4
	s_or_b32 exec_lo, exec_lo, s63
	s_and_saveexec_b32 s63, s16
	s_cbranch_execz .LBB6_6617
.LBB6_6616:                             ;   in Loop: Header=BB6_6449 Depth=4
	v_and_b32_e32 v14, 0xffff, v7
	v_lshlrev_b32_e32 v7, 24, v7
	v_and_b32_e32 v15, 3, v14
	v_bfe_u32 v21, v14, 2, 5
	v_and_b32_e32 v7, 0x80000000, v7
	v_ffbh_u32_e32 v19, v15
	v_cmp_eq_u32_e32 vcc_lo, 0, v21
	v_min_u32_e32 v19, 32, v19
	v_subrev_nc_u32_e32 v20, 29, v19
	v_sub_nc_u32_e32 v19, 30, v19
	v_lshlrev_b32_e32 v14, v20, v14
	v_cndmask_b32_e32 v19, v21, v19, vcc_lo
	v_and_b32_e32 v14, 3, v14
	v_cndmask_b32_e32 v14, v15, v14, vcc_lo
	v_lshl_add_u32 v15, v19, 23, 0x37800000
	v_lshlrev_b32_e32 v14, 21, v14
	v_or3_b32 v14, v7, v15, v14
.LBB6_6617:                             ;   in Loop: Header=BB6_6449 Depth=4
	s_or_b32 exec_lo, exec_lo, s63
	v_mul_f32_e32 v7, v6, v14
	v_mov_b32_e32 v101, 0x80
	s_mov_b32 s63, exec_lo
	v_and_b32_e32 v14, 0x7f800000, v7
	v_cmpx_ne_u32_e32 0x7f800000, v14
	s_cbranch_execz .LBB6_6625
; %bb.6618:                             ;   in Loop: Header=BB6_6449 Depth=4
	v_mov_b32_e32 v101, 0
	s_mov_b32 s72, exec_lo
	v_cmpx_ne_u32_e32 0, v7
	s_cbranch_execz .LBB6_6624
; %bb.6619:                             ;   in Loop: Header=BB6_6449 Depth=4
	v_bfe_u32 v14, v7, 23, 8
	v_and_b32_e32 v15, 0x7fffff, v7
	v_sub_nc_u32_e32 v19, 0x70, v14
	v_cmp_gt_u32_e32 vcc_lo, 0x71, v14
	v_or_b32_e32 v20, 0x800000, v15
	v_cndmask_b32_e32 v19, 0, v19, vcc_lo
	v_cmp_eq_u32_e32 vcc_lo, 0, v14
	v_add_nc_u32_e32 v14, 0xffffff91, v14
	v_cndmask_b32_e64 v19, v19, 0x6f, vcc_lo
	v_cndmask_b32_e32 v15, v20, v15, vcc_lo
	v_cndmask_b32_e64 v14, v14, 0xffffff92, vcc_lo
	v_lshl_add_u32 v20, 0x200000, v19, -1
	v_lshrrev_b32_e32 v21, v19, v15
	v_lshlrev_b32_e64 v24, v19, 0x100000
	v_add_nc_u32_e32 v19, v19, v14
	v_and_b32_e32 v15, v20, v15
	v_bfe_u32 v23, v21, 21, 1
	v_cmp_eq_u32_e64 s16, v15, v24
	v_add_nc_u32_e32 v20, -1, v23
	v_cndmask_b32_e64 v15, 0, v20, s16
	v_lshrrev_b32_e32 v20, 23, v21
	s_mov_b32 s16, exec_lo
	v_add_nc_u32_e32 v15, v15, v21
	v_xor_b32_e32 v20, 1, v20
	v_and_b32_e32 v14, 0x1fffff, v15
	v_add_nc_u32_e32 v15, v14, v21
                                        ; implicit-def: $vgpr14
	v_cmpx_ne_u32_e64 v19, v20
	s_xor_b32 s16, exec_lo, s16
; %bb.6620:                             ;   in Loop: Header=BB6_6449 Depth=4
	v_cmp_lt_u32_e32 vcc_lo, 0xffffff, v15
	v_sub_nc_u32_e32 v14, v19, v20
	v_cndmask_b32_e64 v19, 0, 1, vcc_lo
	v_add_co_ci_u32_e64 v14, null, 0, v14, vcc_lo
	v_lshrrev_b32_e32 v15, v19, v15
; %bb.6621:                             ;   in Loop: Header=BB6_6449 Depth=4
	s_andn2_saveexec_b32 s16, s16
; %bb.6622:                             ;   in Loop: Header=BB6_6449 Depth=4
	v_bfe_u32 v14, v15, 23, 1
; %bb.6623:                             ;   in Loop: Header=BB6_6449 Depth=4
	s_or_b32 exec_lo, exec_lo, s16
	v_lshrrev_b32_e32 v15, 21, v15
	v_cmp_gt_i32_e32 vcc_lo, 32, v14
	v_min_i32_e32 v19, 31, v14
	v_and_b32_sdwa v7, v7, v117 dst_sel:DWORD dst_unused:UNUSED_PAD src0_sel:BYTE_3 src1_sel:DWORD
	v_cndmask_b32_e32 v15, 3, v15, vcc_lo
	v_lshlrev_b32_e32 v19, 2, v19
	v_and_b32_e32 v20, 3, v15
	v_or_b32_e32 v14, v14, v15
	v_or3_b32 v7, v19, v7, v20
	v_cmp_ne_u32_e32 vcc_lo, 0, v14
	v_cndmask_b32_e32 v101, 0, v7, vcc_lo
.LBB6_6624:                             ;   in Loop: Header=BB6_6449 Depth=4
	s_or_b32 exec_lo, exec_lo, s72
.LBB6_6625:                             ;   in Loop: Header=BB6_6449 Depth=4
	s_or_b32 exec_lo, exec_lo, s63
	flat_load_ubyte v7, v[8:9] offset:384 slc
	s_mov_b32 s16, 0
	s_mov_b32 s63, exec_lo
	s_waitcnt vmcnt(0) lgkmcnt(0)
	v_cmpx_lt_i16_e32 0x7f, v7
	s_xor_b32 s63, exec_lo, s63
	s_cbranch_execz .LBB6_7567
; %bb.6626:                             ;   in Loop: Header=BB6_6449 Depth=4
	s_mov_b32 s16, -1
	s_mov_b32 s72, exec_lo
	v_cmpx_eq_u16_e32 0x80, v7
; %bb.6627:                             ;   in Loop: Header=BB6_6449 Depth=4
	s_xor_b32 s16, exec_lo, -1
; %bb.6628:                             ;   in Loop: Header=BB6_6449 Depth=4
	s_or_b32 exec_lo, exec_lo, s72
	s_and_b32 s16, s16, exec_lo
	s_or_saveexec_b32 s63, s63
	v_mov_b32_e32 v14, 0x7f800001
	s_xor_b32 exec_lo, exec_lo, s63
	s_cbranch_execnz .LBB6_7568
.LBB6_6629:                             ;   in Loop: Header=BB6_6449 Depth=4
	s_or_b32 exec_lo, exec_lo, s63
	s_and_saveexec_b32 s63, s16
	s_cbranch_execz .LBB6_6631
.LBB6_6630:                             ;   in Loop: Header=BB6_6449 Depth=4
	v_and_b32_e32 v14, 0xffff, v7
	v_lshlrev_b32_e32 v7, 24, v7
	v_and_b32_e32 v15, 3, v14
	v_bfe_u32 v21, v14, 2, 5
	v_and_b32_e32 v7, 0x80000000, v7
	v_ffbh_u32_e32 v19, v15
	v_cmp_eq_u32_e32 vcc_lo, 0, v21
	v_min_u32_e32 v19, 32, v19
	v_subrev_nc_u32_e32 v20, 29, v19
	v_sub_nc_u32_e32 v19, 30, v19
	v_lshlrev_b32_e32 v14, v20, v14
	v_cndmask_b32_e32 v19, v21, v19, vcc_lo
	v_and_b32_e32 v14, 3, v14
	v_cndmask_b32_e32 v14, v15, v14, vcc_lo
	v_lshl_add_u32 v15, v19, 23, 0x37800000
	v_lshlrev_b32_e32 v14, 21, v14
	v_or3_b32 v14, v7, v15, v14
.LBB6_6631:                             ;   in Loop: Header=BB6_6449 Depth=4
	s_or_b32 exec_lo, exec_lo, s63
	v_mul_f32_e32 v7, v6, v14
	v_mov_b32_e32 v87, 0x80
	s_mov_b32 s63, exec_lo
	v_and_b32_e32 v14, 0x7f800000, v7
	v_cmpx_ne_u32_e32 0x7f800000, v14
	s_cbranch_execz .LBB6_6639
; %bb.6632:                             ;   in Loop: Header=BB6_6449 Depth=4
	v_mov_b32_e32 v87, 0
	s_mov_b32 s72, exec_lo
	v_cmpx_ne_u32_e32 0, v7
	s_cbranch_execz .LBB6_6638
; %bb.6633:                             ;   in Loop: Header=BB6_6449 Depth=4
	v_bfe_u32 v14, v7, 23, 8
	v_and_b32_e32 v15, 0x7fffff, v7
	v_sub_nc_u32_e32 v19, 0x70, v14
	v_cmp_gt_u32_e32 vcc_lo, 0x71, v14
	v_or_b32_e32 v20, 0x800000, v15
	v_cndmask_b32_e32 v19, 0, v19, vcc_lo
	v_cmp_eq_u32_e32 vcc_lo, 0, v14
	v_add_nc_u32_e32 v14, 0xffffff91, v14
	v_cndmask_b32_e64 v19, v19, 0x6f, vcc_lo
	v_cndmask_b32_e32 v15, v20, v15, vcc_lo
	v_cndmask_b32_e64 v14, v14, 0xffffff92, vcc_lo
	v_lshl_add_u32 v20, 0x200000, v19, -1
	v_lshrrev_b32_e32 v21, v19, v15
	v_lshlrev_b32_e64 v24, v19, 0x100000
	v_add_nc_u32_e32 v19, v19, v14
	v_and_b32_e32 v15, v20, v15
	v_bfe_u32 v23, v21, 21, 1
	v_cmp_eq_u32_e64 s16, v15, v24
	v_add_nc_u32_e32 v20, -1, v23
	v_cndmask_b32_e64 v15, 0, v20, s16
	v_lshrrev_b32_e32 v20, 23, v21
	s_mov_b32 s16, exec_lo
	v_add_nc_u32_e32 v15, v15, v21
	v_xor_b32_e32 v20, 1, v20
	v_and_b32_e32 v14, 0x1fffff, v15
	v_add_nc_u32_e32 v15, v14, v21
                                        ; implicit-def: $vgpr14
	v_cmpx_ne_u32_e64 v19, v20
	s_xor_b32 s16, exec_lo, s16
; %bb.6634:                             ;   in Loop: Header=BB6_6449 Depth=4
	v_cmp_lt_u32_e32 vcc_lo, 0xffffff, v15
	v_sub_nc_u32_e32 v14, v19, v20
	v_cndmask_b32_e64 v19, 0, 1, vcc_lo
	v_add_co_ci_u32_e64 v14, null, 0, v14, vcc_lo
	v_lshrrev_b32_e32 v15, v19, v15
; %bb.6635:                             ;   in Loop: Header=BB6_6449 Depth=4
	s_andn2_saveexec_b32 s16, s16
; %bb.6636:                             ;   in Loop: Header=BB6_6449 Depth=4
	v_bfe_u32 v14, v15, 23, 1
; %bb.6637:                             ;   in Loop: Header=BB6_6449 Depth=4
	s_or_b32 exec_lo, exec_lo, s16
	v_lshrrev_b32_e32 v15, 21, v15
	v_cmp_gt_i32_e32 vcc_lo, 32, v14
	v_min_i32_e32 v19, 31, v14
	v_and_b32_sdwa v7, v7, v117 dst_sel:DWORD dst_unused:UNUSED_PAD src0_sel:BYTE_3 src1_sel:DWORD
	v_cndmask_b32_e32 v15, 3, v15, vcc_lo
	v_lshlrev_b32_e32 v19, 2, v19
	v_and_b32_e32 v20, 3, v15
	v_or_b32_e32 v14, v14, v15
	v_or3_b32 v7, v19, v7, v20
	v_cmp_ne_u32_e32 vcc_lo, 0, v14
	v_cndmask_b32_e32 v87, 0, v7, vcc_lo
.LBB6_6638:                             ;   in Loop: Header=BB6_6449 Depth=4
	s_or_b32 exec_lo, exec_lo, s72
.LBB6_6639:                             ;   in Loop: Header=BB6_6449 Depth=4
	s_or_b32 exec_lo, exec_lo, s63
	flat_load_ubyte v7, v[8:9] offset:416 slc
	s_mov_b32 s16, 0
	s_mov_b32 s63, exec_lo
	s_waitcnt vmcnt(0) lgkmcnt(0)
	v_cmpx_lt_i16_e32 0x7f, v7
	s_xor_b32 s63, exec_lo, s63
	s_cbranch_execz .LBB6_7569
; %bb.6640:                             ;   in Loop: Header=BB6_6449 Depth=4
	s_mov_b32 s16, -1
	s_mov_b32 s72, exec_lo
	v_cmpx_eq_u16_e32 0x80, v7
; %bb.6641:                             ;   in Loop: Header=BB6_6449 Depth=4
	s_xor_b32 s16, exec_lo, -1
; %bb.6642:                             ;   in Loop: Header=BB6_6449 Depth=4
	s_or_b32 exec_lo, exec_lo, s72
	s_and_b32 s16, s16, exec_lo
	s_or_saveexec_b32 s63, s63
	v_mov_b32_e32 v14, 0x7f800001
	s_xor_b32 exec_lo, exec_lo, s63
	s_cbranch_execnz .LBB6_7570
.LBB6_6643:                             ;   in Loop: Header=BB6_6449 Depth=4
	s_or_b32 exec_lo, exec_lo, s63
	s_and_saveexec_b32 s63, s16
	s_cbranch_execz .LBB6_6645
.LBB6_6644:                             ;   in Loop: Header=BB6_6449 Depth=4
	v_and_b32_e32 v14, 0xffff, v7
	v_lshlrev_b32_e32 v7, 24, v7
	v_and_b32_e32 v15, 3, v14
	v_bfe_u32 v21, v14, 2, 5
	v_and_b32_e32 v7, 0x80000000, v7
	v_ffbh_u32_e32 v19, v15
	v_cmp_eq_u32_e32 vcc_lo, 0, v21
	v_min_u32_e32 v19, 32, v19
	v_subrev_nc_u32_e32 v20, 29, v19
	v_sub_nc_u32_e32 v19, 30, v19
	v_lshlrev_b32_e32 v14, v20, v14
	v_cndmask_b32_e32 v19, v21, v19, vcc_lo
	v_and_b32_e32 v14, 3, v14
	v_cndmask_b32_e32 v14, v15, v14, vcc_lo
	v_lshl_add_u32 v15, v19, 23, 0x37800000
	v_lshlrev_b32_e32 v14, 21, v14
	v_or3_b32 v14, v7, v15, v14
.LBB6_6645:                             ;   in Loop: Header=BB6_6449 Depth=4
	s_or_b32 exec_lo, exec_lo, s63
	v_mul_f32_e32 v7, v6, v14
	v_mov_b32_e32 v86, 0x80
	s_mov_b32 s63, exec_lo
	v_and_b32_e32 v14, 0x7f800000, v7
	v_cmpx_ne_u32_e32 0x7f800000, v14
	s_cbranch_execz .LBB6_6653
; %bb.6646:                             ;   in Loop: Header=BB6_6449 Depth=4
	v_mov_b32_e32 v86, 0
	s_mov_b32 s72, exec_lo
	v_cmpx_ne_u32_e32 0, v7
	s_cbranch_execz .LBB6_6652
; %bb.6647:                             ;   in Loop: Header=BB6_6449 Depth=4
	v_bfe_u32 v14, v7, 23, 8
	v_and_b32_e32 v15, 0x7fffff, v7
	v_sub_nc_u32_e32 v19, 0x70, v14
	v_cmp_gt_u32_e32 vcc_lo, 0x71, v14
	v_or_b32_e32 v20, 0x800000, v15
	v_cndmask_b32_e32 v19, 0, v19, vcc_lo
	v_cmp_eq_u32_e32 vcc_lo, 0, v14
	v_add_nc_u32_e32 v14, 0xffffff91, v14
	v_cndmask_b32_e64 v19, v19, 0x6f, vcc_lo
	v_cndmask_b32_e32 v15, v20, v15, vcc_lo
	v_cndmask_b32_e64 v14, v14, 0xffffff92, vcc_lo
	v_lshl_add_u32 v20, 0x200000, v19, -1
	v_lshrrev_b32_e32 v21, v19, v15
	v_lshlrev_b32_e64 v24, v19, 0x100000
	v_add_nc_u32_e32 v19, v19, v14
	v_and_b32_e32 v15, v20, v15
	v_bfe_u32 v23, v21, 21, 1
	v_cmp_eq_u32_e64 s16, v15, v24
	v_add_nc_u32_e32 v20, -1, v23
	v_cndmask_b32_e64 v15, 0, v20, s16
	v_lshrrev_b32_e32 v20, 23, v21
	s_mov_b32 s16, exec_lo
	v_add_nc_u32_e32 v15, v15, v21
	v_xor_b32_e32 v20, 1, v20
	v_and_b32_e32 v14, 0x1fffff, v15
	v_add_nc_u32_e32 v15, v14, v21
                                        ; implicit-def: $vgpr14
	v_cmpx_ne_u32_e64 v19, v20
	s_xor_b32 s16, exec_lo, s16
; %bb.6648:                             ;   in Loop: Header=BB6_6449 Depth=4
	v_cmp_lt_u32_e32 vcc_lo, 0xffffff, v15
	v_sub_nc_u32_e32 v14, v19, v20
	v_cndmask_b32_e64 v19, 0, 1, vcc_lo
	v_add_co_ci_u32_e64 v14, null, 0, v14, vcc_lo
	v_lshrrev_b32_e32 v15, v19, v15
; %bb.6649:                             ;   in Loop: Header=BB6_6449 Depth=4
	s_andn2_saveexec_b32 s16, s16
; %bb.6650:                             ;   in Loop: Header=BB6_6449 Depth=4
	v_bfe_u32 v14, v15, 23, 1
; %bb.6651:                             ;   in Loop: Header=BB6_6449 Depth=4
	s_or_b32 exec_lo, exec_lo, s16
	v_lshrrev_b32_e32 v15, 21, v15
	v_cmp_gt_i32_e32 vcc_lo, 32, v14
	v_min_i32_e32 v19, 31, v14
	v_and_b32_sdwa v7, v7, v117 dst_sel:DWORD dst_unused:UNUSED_PAD src0_sel:BYTE_3 src1_sel:DWORD
	v_cndmask_b32_e32 v15, 3, v15, vcc_lo
	v_lshlrev_b32_e32 v19, 2, v19
	v_and_b32_e32 v20, 3, v15
	v_or_b32_e32 v14, v14, v15
	v_or3_b32 v7, v19, v7, v20
	v_cmp_ne_u32_e32 vcc_lo, 0, v14
	v_cndmask_b32_e32 v86, 0, v7, vcc_lo
.LBB6_6652:                             ;   in Loop: Header=BB6_6449 Depth=4
	s_or_b32 exec_lo, exec_lo, s72
.LBB6_6653:                             ;   in Loop: Header=BB6_6449 Depth=4
	s_or_b32 exec_lo, exec_lo, s63
	flat_load_ubyte v7, v[8:9] offset:448 slc
	s_mov_b32 s16, 0
	s_mov_b32 s63, exec_lo
	s_waitcnt vmcnt(0) lgkmcnt(0)
	v_cmpx_lt_i16_e32 0x7f, v7
	s_xor_b32 s63, exec_lo, s63
	s_cbranch_execz .LBB6_7571
; %bb.6654:                             ;   in Loop: Header=BB6_6449 Depth=4
	s_mov_b32 s16, -1
	s_mov_b32 s72, exec_lo
	v_cmpx_eq_u16_e32 0x80, v7
; %bb.6655:                             ;   in Loop: Header=BB6_6449 Depth=4
	s_xor_b32 s16, exec_lo, -1
; %bb.6656:                             ;   in Loop: Header=BB6_6449 Depth=4
	s_or_b32 exec_lo, exec_lo, s72
	s_and_b32 s16, s16, exec_lo
	s_or_saveexec_b32 s63, s63
	v_mov_b32_e32 v14, 0x7f800001
	s_xor_b32 exec_lo, exec_lo, s63
	s_cbranch_execnz .LBB6_7572
.LBB6_6657:                             ;   in Loop: Header=BB6_6449 Depth=4
	s_or_b32 exec_lo, exec_lo, s63
	s_and_saveexec_b32 s63, s16
	s_cbranch_execz .LBB6_6659
.LBB6_6658:                             ;   in Loop: Header=BB6_6449 Depth=4
	v_and_b32_e32 v14, 0xffff, v7
	v_lshlrev_b32_e32 v7, 24, v7
	v_and_b32_e32 v15, 3, v14
	v_bfe_u32 v21, v14, 2, 5
	v_and_b32_e32 v7, 0x80000000, v7
	v_ffbh_u32_e32 v19, v15
	v_cmp_eq_u32_e32 vcc_lo, 0, v21
	v_min_u32_e32 v19, 32, v19
	v_subrev_nc_u32_e32 v20, 29, v19
	v_sub_nc_u32_e32 v19, 30, v19
	v_lshlrev_b32_e32 v14, v20, v14
	v_cndmask_b32_e32 v19, v21, v19, vcc_lo
	v_and_b32_e32 v14, 3, v14
	v_cndmask_b32_e32 v14, v15, v14, vcc_lo
	v_lshl_add_u32 v15, v19, 23, 0x37800000
	v_lshlrev_b32_e32 v14, 21, v14
	v_or3_b32 v14, v7, v15, v14
.LBB6_6659:                             ;   in Loop: Header=BB6_6449 Depth=4
	s_or_b32 exec_lo, exec_lo, s63
	v_mul_f32_e32 v7, v6, v14
	v_mov_b32_e32 v83, 0x80
	s_mov_b32 s63, exec_lo
	v_and_b32_e32 v14, 0x7f800000, v7
	v_cmpx_ne_u32_e32 0x7f800000, v14
	s_cbranch_execz .LBB6_6667
; %bb.6660:                             ;   in Loop: Header=BB6_6449 Depth=4
	v_mov_b32_e32 v83, 0
	s_mov_b32 s72, exec_lo
	v_cmpx_ne_u32_e32 0, v7
	s_cbranch_execz .LBB6_6666
; %bb.6661:                             ;   in Loop: Header=BB6_6449 Depth=4
	v_bfe_u32 v14, v7, 23, 8
	v_and_b32_e32 v15, 0x7fffff, v7
	v_sub_nc_u32_e32 v19, 0x70, v14
	v_cmp_gt_u32_e32 vcc_lo, 0x71, v14
	v_or_b32_e32 v20, 0x800000, v15
	v_cndmask_b32_e32 v19, 0, v19, vcc_lo
	v_cmp_eq_u32_e32 vcc_lo, 0, v14
	v_add_nc_u32_e32 v14, 0xffffff91, v14
	v_cndmask_b32_e64 v19, v19, 0x6f, vcc_lo
	v_cndmask_b32_e32 v15, v20, v15, vcc_lo
	v_cndmask_b32_e64 v14, v14, 0xffffff92, vcc_lo
	v_lshl_add_u32 v20, 0x200000, v19, -1
	v_lshrrev_b32_e32 v21, v19, v15
	v_lshlrev_b32_e64 v24, v19, 0x100000
	v_add_nc_u32_e32 v19, v19, v14
	v_and_b32_e32 v15, v20, v15
	v_bfe_u32 v23, v21, 21, 1
	v_cmp_eq_u32_e64 s16, v15, v24
	v_add_nc_u32_e32 v20, -1, v23
	v_cndmask_b32_e64 v15, 0, v20, s16
	v_lshrrev_b32_e32 v20, 23, v21
	s_mov_b32 s16, exec_lo
	v_add_nc_u32_e32 v15, v15, v21
	v_xor_b32_e32 v20, 1, v20
	v_and_b32_e32 v14, 0x1fffff, v15
	v_add_nc_u32_e32 v15, v14, v21
                                        ; implicit-def: $vgpr14
	v_cmpx_ne_u32_e64 v19, v20
	s_xor_b32 s16, exec_lo, s16
; %bb.6662:                             ;   in Loop: Header=BB6_6449 Depth=4
	v_cmp_lt_u32_e32 vcc_lo, 0xffffff, v15
	v_sub_nc_u32_e32 v14, v19, v20
	v_cndmask_b32_e64 v19, 0, 1, vcc_lo
	v_add_co_ci_u32_e64 v14, null, 0, v14, vcc_lo
	v_lshrrev_b32_e32 v15, v19, v15
; %bb.6663:                             ;   in Loop: Header=BB6_6449 Depth=4
	s_andn2_saveexec_b32 s16, s16
; %bb.6664:                             ;   in Loop: Header=BB6_6449 Depth=4
	v_bfe_u32 v14, v15, 23, 1
; %bb.6665:                             ;   in Loop: Header=BB6_6449 Depth=4
	s_or_b32 exec_lo, exec_lo, s16
	v_lshrrev_b32_e32 v15, 21, v15
	v_cmp_gt_i32_e32 vcc_lo, 32, v14
	v_min_i32_e32 v19, 31, v14
	v_and_b32_sdwa v7, v7, v117 dst_sel:DWORD dst_unused:UNUSED_PAD src0_sel:BYTE_3 src1_sel:DWORD
	v_cndmask_b32_e32 v15, 3, v15, vcc_lo
	v_lshlrev_b32_e32 v19, 2, v19
	v_and_b32_e32 v20, 3, v15
	v_or_b32_e32 v14, v14, v15
	v_or3_b32 v7, v19, v7, v20
	v_cmp_ne_u32_e32 vcc_lo, 0, v14
	v_cndmask_b32_e32 v83, 0, v7, vcc_lo
.LBB6_6666:                             ;   in Loop: Header=BB6_6449 Depth=4
	s_or_b32 exec_lo, exec_lo, s72
.LBB6_6667:                             ;   in Loop: Header=BB6_6449 Depth=4
	s_or_b32 exec_lo, exec_lo, s63
	flat_load_ubyte v7, v[8:9] offset:480 slc
	s_mov_b32 s16, 0
	s_mov_b32 s63, exec_lo
	s_waitcnt vmcnt(0) lgkmcnt(0)
	v_cmpx_lt_i16_e32 0x7f, v7
	s_xor_b32 s63, exec_lo, s63
	s_cbranch_execz .LBB6_7573
; %bb.6668:                             ;   in Loop: Header=BB6_6449 Depth=4
	s_mov_b32 s16, -1
	s_mov_b32 s72, exec_lo
	v_cmpx_eq_u16_e32 0x80, v7
; %bb.6669:                             ;   in Loop: Header=BB6_6449 Depth=4
	s_xor_b32 s16, exec_lo, -1
; %bb.6670:                             ;   in Loop: Header=BB6_6449 Depth=4
	s_or_b32 exec_lo, exec_lo, s72
	s_and_b32 s16, s16, exec_lo
	s_or_saveexec_b32 s63, s63
	v_mov_b32_e32 v14, 0x7f800001
	s_xor_b32 exec_lo, exec_lo, s63
	s_cbranch_execnz .LBB6_7574
.LBB6_6671:                             ;   in Loop: Header=BB6_6449 Depth=4
	s_or_b32 exec_lo, exec_lo, s63
	s_and_saveexec_b32 s63, s16
	s_cbranch_execz .LBB6_6673
.LBB6_6672:                             ;   in Loop: Header=BB6_6449 Depth=4
	v_and_b32_e32 v14, 0xffff, v7
	v_lshlrev_b32_e32 v7, 24, v7
	v_and_b32_e32 v15, 3, v14
	v_bfe_u32 v21, v14, 2, 5
	v_and_b32_e32 v7, 0x80000000, v7
	v_ffbh_u32_e32 v19, v15
	v_cmp_eq_u32_e32 vcc_lo, 0, v21
	v_min_u32_e32 v19, 32, v19
	v_subrev_nc_u32_e32 v20, 29, v19
	v_sub_nc_u32_e32 v19, 30, v19
	v_lshlrev_b32_e32 v14, v20, v14
	v_cndmask_b32_e32 v19, v21, v19, vcc_lo
	v_and_b32_e32 v14, 3, v14
	v_cndmask_b32_e32 v14, v15, v14, vcc_lo
	v_lshl_add_u32 v15, v19, 23, 0x37800000
	v_lshlrev_b32_e32 v14, 21, v14
	v_or3_b32 v14, v7, v15, v14
.LBB6_6673:                             ;   in Loop: Header=BB6_6449 Depth=4
	s_or_b32 exec_lo, exec_lo, s63
	v_mul_f32_e32 v7, v6, v14
	v_mov_b32_e32 v82, 0x80
	s_mov_b32 s63, exec_lo
	v_and_b32_e32 v14, 0x7f800000, v7
	v_cmpx_ne_u32_e32 0x7f800000, v14
	s_cbranch_execz .LBB6_6681
; %bb.6674:                             ;   in Loop: Header=BB6_6449 Depth=4
	v_mov_b32_e32 v82, 0
	s_mov_b32 s72, exec_lo
	v_cmpx_ne_u32_e32 0, v7
	s_cbranch_execz .LBB6_6680
; %bb.6675:                             ;   in Loop: Header=BB6_6449 Depth=4
	v_bfe_u32 v14, v7, 23, 8
	v_and_b32_e32 v15, 0x7fffff, v7
	v_sub_nc_u32_e32 v19, 0x70, v14
	v_cmp_gt_u32_e32 vcc_lo, 0x71, v14
	v_or_b32_e32 v20, 0x800000, v15
	v_cndmask_b32_e32 v19, 0, v19, vcc_lo
	v_cmp_eq_u32_e32 vcc_lo, 0, v14
	v_add_nc_u32_e32 v14, 0xffffff91, v14
	v_cndmask_b32_e64 v19, v19, 0x6f, vcc_lo
	v_cndmask_b32_e32 v15, v20, v15, vcc_lo
	v_cndmask_b32_e64 v14, v14, 0xffffff92, vcc_lo
	v_lshl_add_u32 v20, 0x200000, v19, -1
	v_lshrrev_b32_e32 v21, v19, v15
	v_lshlrev_b32_e64 v24, v19, 0x100000
	v_add_nc_u32_e32 v19, v19, v14
	v_and_b32_e32 v15, v20, v15
	v_bfe_u32 v23, v21, 21, 1
	v_cmp_eq_u32_e64 s16, v15, v24
	v_add_nc_u32_e32 v20, -1, v23
	v_cndmask_b32_e64 v15, 0, v20, s16
	v_lshrrev_b32_e32 v20, 23, v21
	s_mov_b32 s16, exec_lo
	v_add_nc_u32_e32 v15, v15, v21
	v_xor_b32_e32 v20, 1, v20
	v_and_b32_e32 v14, 0x1fffff, v15
	v_add_nc_u32_e32 v15, v14, v21
                                        ; implicit-def: $vgpr14
	v_cmpx_ne_u32_e64 v19, v20
	s_xor_b32 s16, exec_lo, s16
; %bb.6676:                             ;   in Loop: Header=BB6_6449 Depth=4
	v_cmp_lt_u32_e32 vcc_lo, 0xffffff, v15
	v_sub_nc_u32_e32 v14, v19, v20
	v_cndmask_b32_e64 v19, 0, 1, vcc_lo
	v_add_co_ci_u32_e64 v14, null, 0, v14, vcc_lo
	v_lshrrev_b32_e32 v15, v19, v15
; %bb.6677:                             ;   in Loop: Header=BB6_6449 Depth=4
	s_andn2_saveexec_b32 s16, s16
; %bb.6678:                             ;   in Loop: Header=BB6_6449 Depth=4
	v_bfe_u32 v14, v15, 23, 1
; %bb.6679:                             ;   in Loop: Header=BB6_6449 Depth=4
	s_or_b32 exec_lo, exec_lo, s16
	v_lshrrev_b32_e32 v15, 21, v15
	v_cmp_gt_i32_e32 vcc_lo, 32, v14
	v_min_i32_e32 v19, 31, v14
	v_and_b32_sdwa v7, v7, v117 dst_sel:DWORD dst_unused:UNUSED_PAD src0_sel:BYTE_3 src1_sel:DWORD
	v_cndmask_b32_e32 v15, 3, v15, vcc_lo
	v_lshlrev_b32_e32 v19, 2, v19
	v_and_b32_e32 v20, 3, v15
	v_or_b32_e32 v14, v14, v15
	v_or3_b32 v7, v19, v7, v20
	v_cmp_ne_u32_e32 vcc_lo, 0, v14
	v_cndmask_b32_e32 v82, 0, v7, vcc_lo
.LBB6_6680:                             ;   in Loop: Header=BB6_6449 Depth=4
	s_or_b32 exec_lo, exec_lo, s72
.LBB6_6681:                             ;   in Loop: Header=BB6_6449 Depth=4
	s_or_b32 exec_lo, exec_lo, s63
	flat_load_ubyte v7, v[8:9] offset:512 slc
	s_mov_b32 s16, 0
	s_mov_b32 s63, exec_lo
	s_waitcnt vmcnt(0) lgkmcnt(0)
	v_cmpx_lt_i16_e32 0x7f, v7
	s_xor_b32 s63, exec_lo, s63
	s_cbranch_execz .LBB6_7575
; %bb.6682:                             ;   in Loop: Header=BB6_6449 Depth=4
	s_mov_b32 s16, -1
	s_mov_b32 s72, exec_lo
	v_cmpx_eq_u16_e32 0x80, v7
; %bb.6683:                             ;   in Loop: Header=BB6_6449 Depth=4
	s_xor_b32 s16, exec_lo, -1
; %bb.6684:                             ;   in Loop: Header=BB6_6449 Depth=4
	s_or_b32 exec_lo, exec_lo, s72
	s_and_b32 s16, s16, exec_lo
	s_or_saveexec_b32 s63, s63
	v_mov_b32_e32 v14, 0x7f800001
	s_xor_b32 exec_lo, exec_lo, s63
	s_cbranch_execnz .LBB6_7576
.LBB6_6685:                             ;   in Loop: Header=BB6_6449 Depth=4
	s_or_b32 exec_lo, exec_lo, s63
	s_and_saveexec_b32 s63, s16
	s_cbranch_execz .LBB6_6687
.LBB6_6686:                             ;   in Loop: Header=BB6_6449 Depth=4
	v_and_b32_e32 v14, 0xffff, v7
	v_lshlrev_b32_e32 v7, 24, v7
	v_and_b32_e32 v15, 3, v14
	v_bfe_u32 v21, v14, 2, 5
	v_and_b32_e32 v7, 0x80000000, v7
	v_ffbh_u32_e32 v19, v15
	v_cmp_eq_u32_e32 vcc_lo, 0, v21
	v_min_u32_e32 v19, 32, v19
	v_subrev_nc_u32_e32 v20, 29, v19
	v_sub_nc_u32_e32 v19, 30, v19
	v_lshlrev_b32_e32 v14, v20, v14
	v_cndmask_b32_e32 v19, v21, v19, vcc_lo
	v_and_b32_e32 v14, 3, v14
	v_cndmask_b32_e32 v14, v15, v14, vcc_lo
	v_lshl_add_u32 v15, v19, 23, 0x37800000
	v_lshlrev_b32_e32 v14, 21, v14
	v_or3_b32 v14, v7, v15, v14
.LBB6_6687:                             ;   in Loop: Header=BB6_6449 Depth=4
	s_or_b32 exec_lo, exec_lo, s63
	v_mul_f32_e32 v7, v6, v14
	v_mov_b32_e32 v69, 0x80
	s_mov_b32 s63, exec_lo
	v_and_b32_e32 v14, 0x7f800000, v7
	v_cmpx_ne_u32_e32 0x7f800000, v14
	s_cbranch_execz .LBB6_6695
; %bb.6688:                             ;   in Loop: Header=BB6_6449 Depth=4
	v_mov_b32_e32 v69, 0
	s_mov_b32 s72, exec_lo
	v_cmpx_ne_u32_e32 0, v7
	s_cbranch_execz .LBB6_6694
; %bb.6689:                             ;   in Loop: Header=BB6_6449 Depth=4
	v_bfe_u32 v14, v7, 23, 8
	v_and_b32_e32 v15, 0x7fffff, v7
	v_sub_nc_u32_e32 v19, 0x70, v14
	v_cmp_gt_u32_e32 vcc_lo, 0x71, v14
	v_or_b32_e32 v20, 0x800000, v15
	v_cndmask_b32_e32 v19, 0, v19, vcc_lo
	v_cmp_eq_u32_e32 vcc_lo, 0, v14
	v_add_nc_u32_e32 v14, 0xffffff91, v14
	v_cndmask_b32_e64 v19, v19, 0x6f, vcc_lo
	v_cndmask_b32_e32 v15, v20, v15, vcc_lo
	v_cndmask_b32_e64 v14, v14, 0xffffff92, vcc_lo
	v_lshl_add_u32 v20, 0x200000, v19, -1
	v_lshrrev_b32_e32 v21, v19, v15
	v_lshlrev_b32_e64 v24, v19, 0x100000
	v_add_nc_u32_e32 v19, v19, v14
	v_and_b32_e32 v15, v20, v15
	v_bfe_u32 v23, v21, 21, 1
	v_cmp_eq_u32_e64 s16, v15, v24
	v_add_nc_u32_e32 v20, -1, v23
	v_cndmask_b32_e64 v15, 0, v20, s16
	v_lshrrev_b32_e32 v20, 23, v21
	s_mov_b32 s16, exec_lo
	v_add_nc_u32_e32 v15, v15, v21
	v_xor_b32_e32 v20, 1, v20
	v_and_b32_e32 v14, 0x1fffff, v15
	v_add_nc_u32_e32 v15, v14, v21
                                        ; implicit-def: $vgpr14
	v_cmpx_ne_u32_e64 v19, v20
	s_xor_b32 s16, exec_lo, s16
; %bb.6690:                             ;   in Loop: Header=BB6_6449 Depth=4
	v_cmp_lt_u32_e32 vcc_lo, 0xffffff, v15
	v_sub_nc_u32_e32 v14, v19, v20
	v_cndmask_b32_e64 v19, 0, 1, vcc_lo
	v_add_co_ci_u32_e64 v14, null, 0, v14, vcc_lo
	v_lshrrev_b32_e32 v15, v19, v15
; %bb.6691:                             ;   in Loop: Header=BB6_6449 Depth=4
	s_andn2_saveexec_b32 s16, s16
; %bb.6692:                             ;   in Loop: Header=BB6_6449 Depth=4
	v_bfe_u32 v14, v15, 23, 1
; %bb.6693:                             ;   in Loop: Header=BB6_6449 Depth=4
	s_or_b32 exec_lo, exec_lo, s16
	v_lshrrev_b32_e32 v15, 21, v15
	v_cmp_gt_i32_e32 vcc_lo, 32, v14
	v_min_i32_e32 v19, 31, v14
	v_and_b32_sdwa v7, v7, v117 dst_sel:DWORD dst_unused:UNUSED_PAD src0_sel:BYTE_3 src1_sel:DWORD
	v_cndmask_b32_e32 v15, 3, v15, vcc_lo
	v_lshlrev_b32_e32 v19, 2, v19
	v_and_b32_e32 v20, 3, v15
	v_or_b32_e32 v14, v14, v15
	v_or3_b32 v7, v19, v7, v20
	v_cmp_ne_u32_e32 vcc_lo, 0, v14
	v_cndmask_b32_e32 v69, 0, v7, vcc_lo
.LBB6_6694:                             ;   in Loop: Header=BB6_6449 Depth=4
	s_or_b32 exec_lo, exec_lo, s72
.LBB6_6695:                             ;   in Loop: Header=BB6_6449 Depth=4
	s_or_b32 exec_lo, exec_lo, s63
	flat_load_ubyte v7, v[8:9] offset:544 slc
	s_mov_b32 s16, 0
	s_mov_b32 s63, exec_lo
	s_waitcnt vmcnt(0) lgkmcnt(0)
	v_cmpx_lt_i16_e32 0x7f, v7
	s_xor_b32 s63, exec_lo, s63
	s_cbranch_execz .LBB6_7577
; %bb.6696:                             ;   in Loop: Header=BB6_6449 Depth=4
	s_mov_b32 s16, -1
	s_mov_b32 s72, exec_lo
	v_cmpx_eq_u16_e32 0x80, v7
; %bb.6697:                             ;   in Loop: Header=BB6_6449 Depth=4
	s_xor_b32 s16, exec_lo, -1
; %bb.6698:                             ;   in Loop: Header=BB6_6449 Depth=4
	s_or_b32 exec_lo, exec_lo, s72
	s_and_b32 s16, s16, exec_lo
	s_or_saveexec_b32 s63, s63
	v_mov_b32_e32 v14, 0x7f800001
	s_xor_b32 exec_lo, exec_lo, s63
	s_cbranch_execnz .LBB6_7578
.LBB6_6699:                             ;   in Loop: Header=BB6_6449 Depth=4
	s_or_b32 exec_lo, exec_lo, s63
	s_and_saveexec_b32 s63, s16
	s_cbranch_execz .LBB6_6701
.LBB6_6700:                             ;   in Loop: Header=BB6_6449 Depth=4
	v_and_b32_e32 v14, 0xffff, v7
	v_lshlrev_b32_e32 v7, 24, v7
	v_and_b32_e32 v15, 3, v14
	v_bfe_u32 v21, v14, 2, 5
	v_and_b32_e32 v7, 0x80000000, v7
	v_ffbh_u32_e32 v19, v15
	v_cmp_eq_u32_e32 vcc_lo, 0, v21
	v_min_u32_e32 v19, 32, v19
	v_subrev_nc_u32_e32 v20, 29, v19
	v_sub_nc_u32_e32 v19, 30, v19
	v_lshlrev_b32_e32 v14, v20, v14
	v_cndmask_b32_e32 v19, v21, v19, vcc_lo
	v_and_b32_e32 v14, 3, v14
	v_cndmask_b32_e32 v14, v15, v14, vcc_lo
	v_lshl_add_u32 v15, v19, 23, 0x37800000
	v_lshlrev_b32_e32 v14, 21, v14
	v_or3_b32 v14, v7, v15, v14
.LBB6_6701:                             ;   in Loop: Header=BB6_6449 Depth=4
	s_or_b32 exec_lo, exec_lo, s63
	v_mul_f32_e32 v7, v6, v14
	v_mov_b32_e32 v67, 0x80
	s_mov_b32 s63, exec_lo
	v_and_b32_e32 v14, 0x7f800000, v7
	v_cmpx_ne_u32_e32 0x7f800000, v14
	s_cbranch_execz .LBB6_6709
; %bb.6702:                             ;   in Loop: Header=BB6_6449 Depth=4
	v_mov_b32_e32 v67, 0
	s_mov_b32 s72, exec_lo
	v_cmpx_ne_u32_e32 0, v7
	s_cbranch_execz .LBB6_6708
; %bb.6703:                             ;   in Loop: Header=BB6_6449 Depth=4
	v_bfe_u32 v14, v7, 23, 8
	v_and_b32_e32 v15, 0x7fffff, v7
	v_sub_nc_u32_e32 v19, 0x70, v14
	v_cmp_gt_u32_e32 vcc_lo, 0x71, v14
	v_or_b32_e32 v20, 0x800000, v15
	v_cndmask_b32_e32 v19, 0, v19, vcc_lo
	v_cmp_eq_u32_e32 vcc_lo, 0, v14
	v_add_nc_u32_e32 v14, 0xffffff91, v14
	v_cndmask_b32_e64 v19, v19, 0x6f, vcc_lo
	v_cndmask_b32_e32 v15, v20, v15, vcc_lo
	v_cndmask_b32_e64 v14, v14, 0xffffff92, vcc_lo
	v_lshl_add_u32 v20, 0x200000, v19, -1
	v_lshrrev_b32_e32 v21, v19, v15
	v_lshlrev_b32_e64 v24, v19, 0x100000
	v_add_nc_u32_e32 v19, v19, v14
	v_and_b32_e32 v15, v20, v15
	v_bfe_u32 v23, v21, 21, 1
	v_cmp_eq_u32_e64 s16, v15, v24
	v_add_nc_u32_e32 v20, -1, v23
	v_cndmask_b32_e64 v15, 0, v20, s16
	v_lshrrev_b32_e32 v20, 23, v21
	s_mov_b32 s16, exec_lo
	v_add_nc_u32_e32 v15, v15, v21
	v_xor_b32_e32 v20, 1, v20
	v_and_b32_e32 v14, 0x1fffff, v15
	v_add_nc_u32_e32 v15, v14, v21
                                        ; implicit-def: $vgpr14
	v_cmpx_ne_u32_e64 v19, v20
	s_xor_b32 s16, exec_lo, s16
; %bb.6704:                             ;   in Loop: Header=BB6_6449 Depth=4
	v_cmp_lt_u32_e32 vcc_lo, 0xffffff, v15
	v_sub_nc_u32_e32 v14, v19, v20
	v_cndmask_b32_e64 v19, 0, 1, vcc_lo
	v_add_co_ci_u32_e64 v14, null, 0, v14, vcc_lo
	v_lshrrev_b32_e32 v15, v19, v15
; %bb.6705:                             ;   in Loop: Header=BB6_6449 Depth=4
	s_andn2_saveexec_b32 s16, s16
; %bb.6706:                             ;   in Loop: Header=BB6_6449 Depth=4
	v_bfe_u32 v14, v15, 23, 1
; %bb.6707:                             ;   in Loop: Header=BB6_6449 Depth=4
	s_or_b32 exec_lo, exec_lo, s16
	v_lshrrev_b32_e32 v15, 21, v15
	v_cmp_gt_i32_e32 vcc_lo, 32, v14
	v_min_i32_e32 v19, 31, v14
	v_and_b32_sdwa v7, v7, v117 dst_sel:DWORD dst_unused:UNUSED_PAD src0_sel:BYTE_3 src1_sel:DWORD
	v_cndmask_b32_e32 v15, 3, v15, vcc_lo
	v_lshlrev_b32_e32 v19, 2, v19
	v_and_b32_e32 v20, 3, v15
	v_or_b32_e32 v14, v14, v15
	v_or3_b32 v7, v19, v7, v20
	v_cmp_ne_u32_e32 vcc_lo, 0, v14
	v_cndmask_b32_e32 v67, 0, v7, vcc_lo
.LBB6_6708:                             ;   in Loop: Header=BB6_6449 Depth=4
	s_or_b32 exec_lo, exec_lo, s72
.LBB6_6709:                             ;   in Loop: Header=BB6_6449 Depth=4
	s_or_b32 exec_lo, exec_lo, s63
	flat_load_ubyte v7, v[8:9] offset:576 slc
	s_mov_b32 s16, 0
	s_mov_b32 s63, exec_lo
	s_waitcnt vmcnt(0) lgkmcnt(0)
	v_cmpx_lt_i16_e32 0x7f, v7
	s_xor_b32 s63, exec_lo, s63
	s_cbranch_execz .LBB6_7579
; %bb.6710:                             ;   in Loop: Header=BB6_6449 Depth=4
	s_mov_b32 s16, -1
	s_mov_b32 s72, exec_lo
	v_cmpx_eq_u16_e32 0x80, v7
; %bb.6711:                             ;   in Loop: Header=BB6_6449 Depth=4
	s_xor_b32 s16, exec_lo, -1
; %bb.6712:                             ;   in Loop: Header=BB6_6449 Depth=4
	s_or_b32 exec_lo, exec_lo, s72
	s_and_b32 s16, s16, exec_lo
	s_or_saveexec_b32 s63, s63
	v_mov_b32_e32 v14, 0x7f800001
	s_xor_b32 exec_lo, exec_lo, s63
	s_cbranch_execnz .LBB6_7580
.LBB6_6713:                             ;   in Loop: Header=BB6_6449 Depth=4
	s_or_b32 exec_lo, exec_lo, s63
	s_and_saveexec_b32 s63, s16
	s_cbranch_execz .LBB6_6715
.LBB6_6714:                             ;   in Loop: Header=BB6_6449 Depth=4
	v_and_b32_e32 v14, 0xffff, v7
	v_lshlrev_b32_e32 v7, 24, v7
	v_and_b32_e32 v15, 3, v14
	v_bfe_u32 v21, v14, 2, 5
	v_and_b32_e32 v7, 0x80000000, v7
	v_ffbh_u32_e32 v19, v15
	v_cmp_eq_u32_e32 vcc_lo, 0, v21
	v_min_u32_e32 v19, 32, v19
	v_subrev_nc_u32_e32 v20, 29, v19
	v_sub_nc_u32_e32 v19, 30, v19
	v_lshlrev_b32_e32 v14, v20, v14
	v_cndmask_b32_e32 v19, v21, v19, vcc_lo
	v_and_b32_e32 v14, 3, v14
	v_cndmask_b32_e32 v14, v15, v14, vcc_lo
	v_lshl_add_u32 v15, v19, 23, 0x37800000
	v_lshlrev_b32_e32 v14, 21, v14
	v_or3_b32 v14, v7, v15, v14
.LBB6_6715:                             ;   in Loop: Header=BB6_6449 Depth=4
	s_or_b32 exec_lo, exec_lo, s63
	v_mul_f32_e32 v7, v6, v14
	v_mov_b32_e32 v55, 0x80
	s_mov_b32 s63, exec_lo
	v_and_b32_e32 v14, 0x7f800000, v7
	v_cmpx_ne_u32_e32 0x7f800000, v14
	s_cbranch_execz .LBB6_6723
; %bb.6716:                             ;   in Loop: Header=BB6_6449 Depth=4
	v_mov_b32_e32 v55, 0
	s_mov_b32 s72, exec_lo
	v_cmpx_ne_u32_e32 0, v7
	s_cbranch_execz .LBB6_6722
; %bb.6717:                             ;   in Loop: Header=BB6_6449 Depth=4
	v_bfe_u32 v14, v7, 23, 8
	v_and_b32_e32 v15, 0x7fffff, v7
	v_sub_nc_u32_e32 v19, 0x70, v14
	v_cmp_gt_u32_e32 vcc_lo, 0x71, v14
	v_or_b32_e32 v20, 0x800000, v15
	v_cndmask_b32_e32 v19, 0, v19, vcc_lo
	v_cmp_eq_u32_e32 vcc_lo, 0, v14
	v_add_nc_u32_e32 v14, 0xffffff91, v14
	v_cndmask_b32_e64 v19, v19, 0x6f, vcc_lo
	v_cndmask_b32_e32 v15, v20, v15, vcc_lo
	v_cndmask_b32_e64 v14, v14, 0xffffff92, vcc_lo
	v_lshl_add_u32 v20, 0x200000, v19, -1
	v_lshrrev_b32_e32 v21, v19, v15
	v_lshlrev_b32_e64 v24, v19, 0x100000
	v_add_nc_u32_e32 v19, v19, v14
	v_and_b32_e32 v15, v20, v15
	v_bfe_u32 v23, v21, 21, 1
	v_cmp_eq_u32_e64 s16, v15, v24
	v_add_nc_u32_e32 v20, -1, v23
	v_cndmask_b32_e64 v15, 0, v20, s16
	v_lshrrev_b32_e32 v20, 23, v21
	s_mov_b32 s16, exec_lo
	v_add_nc_u32_e32 v15, v15, v21
	v_xor_b32_e32 v20, 1, v20
	v_and_b32_e32 v14, 0x1fffff, v15
	v_add_nc_u32_e32 v15, v14, v21
                                        ; implicit-def: $vgpr14
	v_cmpx_ne_u32_e64 v19, v20
	s_xor_b32 s16, exec_lo, s16
; %bb.6718:                             ;   in Loop: Header=BB6_6449 Depth=4
	v_cmp_lt_u32_e32 vcc_lo, 0xffffff, v15
	v_sub_nc_u32_e32 v14, v19, v20
	v_cndmask_b32_e64 v19, 0, 1, vcc_lo
	v_add_co_ci_u32_e64 v14, null, 0, v14, vcc_lo
	v_lshrrev_b32_e32 v15, v19, v15
; %bb.6719:                             ;   in Loop: Header=BB6_6449 Depth=4
	s_andn2_saveexec_b32 s16, s16
; %bb.6720:                             ;   in Loop: Header=BB6_6449 Depth=4
	v_bfe_u32 v14, v15, 23, 1
; %bb.6721:                             ;   in Loop: Header=BB6_6449 Depth=4
	s_or_b32 exec_lo, exec_lo, s16
	v_lshrrev_b32_e32 v15, 21, v15
	v_cmp_gt_i32_e32 vcc_lo, 32, v14
	v_min_i32_e32 v19, 31, v14
	v_and_b32_sdwa v7, v7, v117 dst_sel:DWORD dst_unused:UNUSED_PAD src0_sel:BYTE_3 src1_sel:DWORD
	v_cndmask_b32_e32 v15, 3, v15, vcc_lo
	v_lshlrev_b32_e32 v19, 2, v19
	v_and_b32_e32 v20, 3, v15
	v_or_b32_e32 v14, v14, v15
	v_or3_b32 v7, v19, v7, v20
	v_cmp_ne_u32_e32 vcc_lo, 0, v14
	v_cndmask_b32_e32 v55, 0, v7, vcc_lo
.LBB6_6722:                             ;   in Loop: Header=BB6_6449 Depth=4
	s_or_b32 exec_lo, exec_lo, s72
.LBB6_6723:                             ;   in Loop: Header=BB6_6449 Depth=4
	s_or_b32 exec_lo, exec_lo, s63
	flat_load_ubyte v7, v[8:9] offset:608 slc
	s_mov_b32 s16, 0
	s_mov_b32 s63, exec_lo
	s_waitcnt vmcnt(0) lgkmcnt(0)
	v_cmpx_lt_i16_e32 0x7f, v7
	s_xor_b32 s63, exec_lo, s63
	s_cbranch_execz .LBB6_7581
; %bb.6724:                             ;   in Loop: Header=BB6_6449 Depth=4
	s_mov_b32 s16, -1
	s_mov_b32 s72, exec_lo
	v_cmpx_eq_u16_e32 0x80, v7
; %bb.6725:                             ;   in Loop: Header=BB6_6449 Depth=4
	s_xor_b32 s16, exec_lo, -1
; %bb.6726:                             ;   in Loop: Header=BB6_6449 Depth=4
	s_or_b32 exec_lo, exec_lo, s72
	s_and_b32 s16, s16, exec_lo
	s_or_saveexec_b32 s63, s63
	v_mov_b32_e32 v14, 0x7f800001
	s_xor_b32 exec_lo, exec_lo, s63
	s_cbranch_execnz .LBB6_7582
.LBB6_6727:                             ;   in Loop: Header=BB6_6449 Depth=4
	s_or_b32 exec_lo, exec_lo, s63
	s_and_saveexec_b32 s63, s16
	s_cbranch_execz .LBB6_6729
.LBB6_6728:                             ;   in Loop: Header=BB6_6449 Depth=4
	v_and_b32_e32 v14, 0xffff, v7
	v_lshlrev_b32_e32 v7, 24, v7
	v_and_b32_e32 v15, 3, v14
	v_bfe_u32 v21, v14, 2, 5
	v_and_b32_e32 v7, 0x80000000, v7
	v_ffbh_u32_e32 v19, v15
	v_cmp_eq_u32_e32 vcc_lo, 0, v21
	v_min_u32_e32 v19, 32, v19
	v_subrev_nc_u32_e32 v20, 29, v19
	v_sub_nc_u32_e32 v19, 30, v19
	v_lshlrev_b32_e32 v14, v20, v14
	v_cndmask_b32_e32 v19, v21, v19, vcc_lo
	v_and_b32_e32 v14, 3, v14
	v_cndmask_b32_e32 v14, v15, v14, vcc_lo
	v_lshl_add_u32 v15, v19, 23, 0x37800000
	v_lshlrev_b32_e32 v14, 21, v14
	v_or3_b32 v14, v7, v15, v14
.LBB6_6729:                             ;   in Loop: Header=BB6_6449 Depth=4
	s_or_b32 exec_lo, exec_lo, s63
	v_mul_f32_e32 v7, v6, v14
	v_mov_b32_e32 v53, 0x80
	s_mov_b32 s63, exec_lo
	v_and_b32_e32 v14, 0x7f800000, v7
	v_cmpx_ne_u32_e32 0x7f800000, v14
	s_cbranch_execz .LBB6_6737
; %bb.6730:                             ;   in Loop: Header=BB6_6449 Depth=4
	v_mov_b32_e32 v53, 0
	s_mov_b32 s72, exec_lo
	v_cmpx_ne_u32_e32 0, v7
	s_cbranch_execz .LBB6_6736
; %bb.6731:                             ;   in Loop: Header=BB6_6449 Depth=4
	v_bfe_u32 v14, v7, 23, 8
	v_and_b32_e32 v15, 0x7fffff, v7
	v_sub_nc_u32_e32 v19, 0x70, v14
	v_cmp_gt_u32_e32 vcc_lo, 0x71, v14
	v_or_b32_e32 v20, 0x800000, v15
	v_cndmask_b32_e32 v19, 0, v19, vcc_lo
	v_cmp_eq_u32_e32 vcc_lo, 0, v14
	v_add_nc_u32_e32 v14, 0xffffff91, v14
	v_cndmask_b32_e64 v19, v19, 0x6f, vcc_lo
	v_cndmask_b32_e32 v15, v20, v15, vcc_lo
	v_cndmask_b32_e64 v14, v14, 0xffffff92, vcc_lo
	v_lshl_add_u32 v20, 0x200000, v19, -1
	v_lshrrev_b32_e32 v21, v19, v15
	v_lshlrev_b32_e64 v24, v19, 0x100000
	v_add_nc_u32_e32 v19, v19, v14
	v_and_b32_e32 v15, v20, v15
	v_bfe_u32 v23, v21, 21, 1
	v_cmp_eq_u32_e64 s16, v15, v24
	v_add_nc_u32_e32 v20, -1, v23
	v_cndmask_b32_e64 v15, 0, v20, s16
	v_lshrrev_b32_e32 v20, 23, v21
	s_mov_b32 s16, exec_lo
	v_add_nc_u32_e32 v15, v15, v21
	v_xor_b32_e32 v20, 1, v20
	v_and_b32_e32 v14, 0x1fffff, v15
	v_add_nc_u32_e32 v15, v14, v21
                                        ; implicit-def: $vgpr14
	v_cmpx_ne_u32_e64 v19, v20
	s_xor_b32 s16, exec_lo, s16
; %bb.6732:                             ;   in Loop: Header=BB6_6449 Depth=4
	v_cmp_lt_u32_e32 vcc_lo, 0xffffff, v15
	v_sub_nc_u32_e32 v14, v19, v20
	v_cndmask_b32_e64 v19, 0, 1, vcc_lo
	v_add_co_ci_u32_e64 v14, null, 0, v14, vcc_lo
	v_lshrrev_b32_e32 v15, v19, v15
; %bb.6733:                             ;   in Loop: Header=BB6_6449 Depth=4
	s_andn2_saveexec_b32 s16, s16
; %bb.6734:                             ;   in Loop: Header=BB6_6449 Depth=4
	v_bfe_u32 v14, v15, 23, 1
; %bb.6735:                             ;   in Loop: Header=BB6_6449 Depth=4
	s_or_b32 exec_lo, exec_lo, s16
	v_lshrrev_b32_e32 v15, 21, v15
	v_cmp_gt_i32_e32 vcc_lo, 32, v14
	v_min_i32_e32 v19, 31, v14
	v_and_b32_sdwa v7, v7, v117 dst_sel:DWORD dst_unused:UNUSED_PAD src0_sel:BYTE_3 src1_sel:DWORD
	v_cndmask_b32_e32 v15, 3, v15, vcc_lo
	v_lshlrev_b32_e32 v19, 2, v19
	v_and_b32_e32 v20, 3, v15
	v_or_b32_e32 v14, v14, v15
	v_or3_b32 v7, v19, v7, v20
	v_cmp_ne_u32_e32 vcc_lo, 0, v14
	v_cndmask_b32_e32 v53, 0, v7, vcc_lo
.LBB6_6736:                             ;   in Loop: Header=BB6_6449 Depth=4
	s_or_b32 exec_lo, exec_lo, s72
.LBB6_6737:                             ;   in Loop: Header=BB6_6449 Depth=4
	s_or_b32 exec_lo, exec_lo, s63
	flat_load_ubyte v7, v[8:9] offset:640 slc
	s_mov_b32 s16, 0
	s_mov_b32 s63, exec_lo
	s_waitcnt vmcnt(0) lgkmcnt(0)
	v_cmpx_lt_i16_e32 0x7f, v7
	s_xor_b32 s63, exec_lo, s63
	s_cbranch_execz .LBB6_7583
; %bb.6738:                             ;   in Loop: Header=BB6_6449 Depth=4
	s_mov_b32 s16, -1
	s_mov_b32 s72, exec_lo
	v_cmpx_eq_u16_e32 0x80, v7
; %bb.6739:                             ;   in Loop: Header=BB6_6449 Depth=4
	s_xor_b32 s16, exec_lo, -1
; %bb.6740:                             ;   in Loop: Header=BB6_6449 Depth=4
	s_or_b32 exec_lo, exec_lo, s72
	s_and_b32 s16, s16, exec_lo
	s_or_saveexec_b32 s63, s63
	v_mov_b32_e32 v14, 0x7f800001
	s_xor_b32 exec_lo, exec_lo, s63
	s_cbranch_execnz .LBB6_7584
.LBB6_6741:                             ;   in Loop: Header=BB6_6449 Depth=4
	s_or_b32 exec_lo, exec_lo, s63
	s_and_saveexec_b32 s63, s16
	s_cbranch_execz .LBB6_6743
.LBB6_6742:                             ;   in Loop: Header=BB6_6449 Depth=4
	v_and_b32_e32 v14, 0xffff, v7
	v_lshlrev_b32_e32 v7, 24, v7
	v_and_b32_e32 v15, 3, v14
	v_bfe_u32 v21, v14, 2, 5
	v_and_b32_e32 v7, 0x80000000, v7
	v_ffbh_u32_e32 v19, v15
	v_cmp_eq_u32_e32 vcc_lo, 0, v21
	v_min_u32_e32 v19, 32, v19
	v_subrev_nc_u32_e32 v20, 29, v19
	v_sub_nc_u32_e32 v19, 30, v19
	v_lshlrev_b32_e32 v14, v20, v14
	v_cndmask_b32_e32 v19, v21, v19, vcc_lo
	v_and_b32_e32 v14, 3, v14
	v_cndmask_b32_e32 v14, v15, v14, vcc_lo
	v_lshl_add_u32 v15, v19, 23, 0x37800000
	v_lshlrev_b32_e32 v14, 21, v14
	v_or3_b32 v14, v7, v15, v14
.LBB6_6743:                             ;   in Loop: Header=BB6_6449 Depth=4
	s_or_b32 exec_lo, exec_lo, s63
	v_mul_f32_e32 v7, v6, v14
	v_mov_b32_e32 v51, 0x80
	s_mov_b32 s63, exec_lo
	v_and_b32_e32 v14, 0x7f800000, v7
	v_cmpx_ne_u32_e32 0x7f800000, v14
	s_cbranch_execz .LBB6_6751
; %bb.6744:                             ;   in Loop: Header=BB6_6449 Depth=4
	v_mov_b32_e32 v51, 0
	s_mov_b32 s72, exec_lo
	v_cmpx_ne_u32_e32 0, v7
	s_cbranch_execz .LBB6_6750
; %bb.6745:                             ;   in Loop: Header=BB6_6449 Depth=4
	v_bfe_u32 v14, v7, 23, 8
	v_and_b32_e32 v15, 0x7fffff, v7
	v_sub_nc_u32_e32 v19, 0x70, v14
	v_cmp_gt_u32_e32 vcc_lo, 0x71, v14
	v_or_b32_e32 v20, 0x800000, v15
	v_cndmask_b32_e32 v19, 0, v19, vcc_lo
	v_cmp_eq_u32_e32 vcc_lo, 0, v14
	v_add_nc_u32_e32 v14, 0xffffff91, v14
	v_cndmask_b32_e64 v19, v19, 0x6f, vcc_lo
	v_cndmask_b32_e32 v15, v20, v15, vcc_lo
	v_cndmask_b32_e64 v14, v14, 0xffffff92, vcc_lo
	v_lshl_add_u32 v20, 0x200000, v19, -1
	v_lshrrev_b32_e32 v21, v19, v15
	v_lshlrev_b32_e64 v24, v19, 0x100000
	v_add_nc_u32_e32 v19, v19, v14
	v_and_b32_e32 v15, v20, v15
	v_bfe_u32 v23, v21, 21, 1
	v_cmp_eq_u32_e64 s16, v15, v24
	v_add_nc_u32_e32 v20, -1, v23
	v_cndmask_b32_e64 v15, 0, v20, s16
	v_lshrrev_b32_e32 v20, 23, v21
	s_mov_b32 s16, exec_lo
	v_add_nc_u32_e32 v15, v15, v21
	v_xor_b32_e32 v20, 1, v20
	v_and_b32_e32 v14, 0x1fffff, v15
	v_add_nc_u32_e32 v15, v14, v21
                                        ; implicit-def: $vgpr14
	v_cmpx_ne_u32_e64 v19, v20
	s_xor_b32 s16, exec_lo, s16
; %bb.6746:                             ;   in Loop: Header=BB6_6449 Depth=4
	v_cmp_lt_u32_e32 vcc_lo, 0xffffff, v15
	v_sub_nc_u32_e32 v14, v19, v20
	v_cndmask_b32_e64 v19, 0, 1, vcc_lo
	v_add_co_ci_u32_e64 v14, null, 0, v14, vcc_lo
	v_lshrrev_b32_e32 v15, v19, v15
; %bb.6747:                             ;   in Loop: Header=BB6_6449 Depth=4
	s_andn2_saveexec_b32 s16, s16
; %bb.6748:                             ;   in Loop: Header=BB6_6449 Depth=4
	v_bfe_u32 v14, v15, 23, 1
; %bb.6749:                             ;   in Loop: Header=BB6_6449 Depth=4
	s_or_b32 exec_lo, exec_lo, s16
	v_lshrrev_b32_e32 v15, 21, v15
	v_cmp_gt_i32_e32 vcc_lo, 32, v14
	v_min_i32_e32 v19, 31, v14
	v_and_b32_sdwa v7, v7, v117 dst_sel:DWORD dst_unused:UNUSED_PAD src0_sel:BYTE_3 src1_sel:DWORD
	v_cndmask_b32_e32 v15, 3, v15, vcc_lo
	v_lshlrev_b32_e32 v19, 2, v19
	v_and_b32_e32 v20, 3, v15
	v_or_b32_e32 v14, v14, v15
	v_or3_b32 v7, v19, v7, v20
	v_cmp_ne_u32_e32 vcc_lo, 0, v14
	v_cndmask_b32_e32 v51, 0, v7, vcc_lo
.LBB6_6750:                             ;   in Loop: Header=BB6_6449 Depth=4
	s_or_b32 exec_lo, exec_lo, s72
.LBB6_6751:                             ;   in Loop: Header=BB6_6449 Depth=4
	s_or_b32 exec_lo, exec_lo, s63
	flat_load_ubyte v7, v[8:9] offset:672 slc
	s_mov_b32 s16, 0
	s_mov_b32 s63, exec_lo
	s_waitcnt vmcnt(0) lgkmcnt(0)
	v_cmpx_lt_i16_e32 0x7f, v7
	s_xor_b32 s63, exec_lo, s63
	s_cbranch_execz .LBB6_7585
; %bb.6752:                             ;   in Loop: Header=BB6_6449 Depth=4
	s_mov_b32 s16, -1
	s_mov_b32 s72, exec_lo
	v_cmpx_eq_u16_e32 0x80, v7
; %bb.6753:                             ;   in Loop: Header=BB6_6449 Depth=4
	s_xor_b32 s16, exec_lo, -1
; %bb.6754:                             ;   in Loop: Header=BB6_6449 Depth=4
	s_or_b32 exec_lo, exec_lo, s72
	s_and_b32 s16, s16, exec_lo
	s_or_saveexec_b32 s63, s63
	v_mov_b32_e32 v14, 0x7f800001
	s_xor_b32 exec_lo, exec_lo, s63
	s_cbranch_execnz .LBB6_7586
.LBB6_6755:                             ;   in Loop: Header=BB6_6449 Depth=4
	s_or_b32 exec_lo, exec_lo, s63
	s_and_saveexec_b32 s63, s16
	s_cbranch_execz .LBB6_6757
.LBB6_6756:                             ;   in Loop: Header=BB6_6449 Depth=4
	v_and_b32_e32 v14, 0xffff, v7
	v_lshlrev_b32_e32 v7, 24, v7
	v_and_b32_e32 v15, 3, v14
	v_bfe_u32 v21, v14, 2, 5
	v_and_b32_e32 v7, 0x80000000, v7
	v_ffbh_u32_e32 v19, v15
	v_cmp_eq_u32_e32 vcc_lo, 0, v21
	v_min_u32_e32 v19, 32, v19
	v_subrev_nc_u32_e32 v20, 29, v19
	v_sub_nc_u32_e32 v19, 30, v19
	v_lshlrev_b32_e32 v14, v20, v14
	v_cndmask_b32_e32 v19, v21, v19, vcc_lo
	v_and_b32_e32 v14, 3, v14
	v_cndmask_b32_e32 v14, v15, v14, vcc_lo
	v_lshl_add_u32 v15, v19, 23, 0x37800000
	v_lshlrev_b32_e32 v14, 21, v14
	v_or3_b32 v14, v7, v15, v14
.LBB6_6757:                             ;   in Loop: Header=BB6_6449 Depth=4
	s_or_b32 exec_lo, exec_lo, s63
	v_mul_f32_e32 v7, v6, v14
	v_mov_b32_e32 v37, 0x80
	s_mov_b32 s63, exec_lo
	v_and_b32_e32 v14, 0x7f800000, v7
	v_cmpx_ne_u32_e32 0x7f800000, v14
	s_cbranch_execz .LBB6_6765
; %bb.6758:                             ;   in Loop: Header=BB6_6449 Depth=4
	v_mov_b32_e32 v37, 0
	s_mov_b32 s72, exec_lo
	v_cmpx_ne_u32_e32 0, v7
	s_cbranch_execz .LBB6_6764
; %bb.6759:                             ;   in Loop: Header=BB6_6449 Depth=4
	v_bfe_u32 v14, v7, 23, 8
	v_and_b32_e32 v15, 0x7fffff, v7
	v_sub_nc_u32_e32 v19, 0x70, v14
	v_cmp_gt_u32_e32 vcc_lo, 0x71, v14
	v_or_b32_e32 v20, 0x800000, v15
	v_cndmask_b32_e32 v19, 0, v19, vcc_lo
	v_cmp_eq_u32_e32 vcc_lo, 0, v14
	v_add_nc_u32_e32 v14, 0xffffff91, v14
	v_cndmask_b32_e64 v19, v19, 0x6f, vcc_lo
	v_cndmask_b32_e32 v15, v20, v15, vcc_lo
	v_cndmask_b32_e64 v14, v14, 0xffffff92, vcc_lo
	v_lshl_add_u32 v20, 0x200000, v19, -1
	v_lshrrev_b32_e32 v21, v19, v15
	v_lshlrev_b32_e64 v24, v19, 0x100000
	v_add_nc_u32_e32 v19, v19, v14
	v_and_b32_e32 v15, v20, v15
	v_bfe_u32 v23, v21, 21, 1
	v_cmp_eq_u32_e64 s16, v15, v24
	v_add_nc_u32_e32 v20, -1, v23
	v_cndmask_b32_e64 v15, 0, v20, s16
	v_lshrrev_b32_e32 v20, 23, v21
	s_mov_b32 s16, exec_lo
	v_add_nc_u32_e32 v15, v15, v21
	v_xor_b32_e32 v20, 1, v20
	v_and_b32_e32 v14, 0x1fffff, v15
	v_add_nc_u32_e32 v15, v14, v21
                                        ; implicit-def: $vgpr14
	v_cmpx_ne_u32_e64 v19, v20
	s_xor_b32 s16, exec_lo, s16
; %bb.6760:                             ;   in Loop: Header=BB6_6449 Depth=4
	v_cmp_lt_u32_e32 vcc_lo, 0xffffff, v15
	v_sub_nc_u32_e32 v14, v19, v20
	v_cndmask_b32_e64 v19, 0, 1, vcc_lo
	v_add_co_ci_u32_e64 v14, null, 0, v14, vcc_lo
	v_lshrrev_b32_e32 v15, v19, v15
; %bb.6761:                             ;   in Loop: Header=BB6_6449 Depth=4
	s_andn2_saveexec_b32 s16, s16
; %bb.6762:                             ;   in Loop: Header=BB6_6449 Depth=4
	v_bfe_u32 v14, v15, 23, 1
; %bb.6763:                             ;   in Loop: Header=BB6_6449 Depth=4
	s_or_b32 exec_lo, exec_lo, s16
	v_lshrrev_b32_e32 v15, 21, v15
	v_cmp_gt_i32_e32 vcc_lo, 32, v14
	v_min_i32_e32 v19, 31, v14
	v_and_b32_sdwa v7, v7, v117 dst_sel:DWORD dst_unused:UNUSED_PAD src0_sel:BYTE_3 src1_sel:DWORD
	v_cndmask_b32_e32 v15, 3, v15, vcc_lo
	v_lshlrev_b32_e32 v19, 2, v19
	v_and_b32_e32 v20, 3, v15
	v_or_b32_e32 v14, v14, v15
	v_or3_b32 v7, v19, v7, v20
	v_cmp_ne_u32_e32 vcc_lo, 0, v14
	v_cndmask_b32_e32 v37, 0, v7, vcc_lo
.LBB6_6764:                             ;   in Loop: Header=BB6_6449 Depth=4
	s_or_b32 exec_lo, exec_lo, s72
.LBB6_6765:                             ;   in Loop: Header=BB6_6449 Depth=4
	s_or_b32 exec_lo, exec_lo, s63
	flat_load_ubyte v7, v[8:9] offset:704 slc
	s_mov_b32 s16, 0
	s_mov_b32 s63, exec_lo
	s_waitcnt vmcnt(0) lgkmcnt(0)
	v_cmpx_lt_i16_e32 0x7f, v7
	s_xor_b32 s63, exec_lo, s63
	s_cbranch_execz .LBB6_7587
; %bb.6766:                             ;   in Loop: Header=BB6_6449 Depth=4
	s_mov_b32 s16, -1
	s_mov_b32 s72, exec_lo
	v_cmpx_eq_u16_e32 0x80, v7
; %bb.6767:                             ;   in Loop: Header=BB6_6449 Depth=4
	s_xor_b32 s16, exec_lo, -1
; %bb.6768:                             ;   in Loop: Header=BB6_6449 Depth=4
	s_or_b32 exec_lo, exec_lo, s72
	s_and_b32 s16, s16, exec_lo
	s_or_saveexec_b32 s63, s63
	v_mov_b32_e32 v14, 0x7f800001
	s_xor_b32 exec_lo, exec_lo, s63
	s_cbranch_execnz .LBB6_7588
.LBB6_6769:                             ;   in Loop: Header=BB6_6449 Depth=4
	s_or_b32 exec_lo, exec_lo, s63
	s_and_saveexec_b32 s63, s16
	s_cbranch_execz .LBB6_6771
.LBB6_6770:                             ;   in Loop: Header=BB6_6449 Depth=4
	v_and_b32_e32 v14, 0xffff, v7
	v_lshlrev_b32_e32 v7, 24, v7
	v_and_b32_e32 v15, 3, v14
	v_bfe_u32 v21, v14, 2, 5
	v_and_b32_e32 v7, 0x80000000, v7
	v_ffbh_u32_e32 v19, v15
	v_cmp_eq_u32_e32 vcc_lo, 0, v21
	v_min_u32_e32 v19, 32, v19
	v_subrev_nc_u32_e32 v20, 29, v19
	v_sub_nc_u32_e32 v19, 30, v19
	v_lshlrev_b32_e32 v14, v20, v14
	v_cndmask_b32_e32 v19, v21, v19, vcc_lo
	v_and_b32_e32 v14, 3, v14
	v_cndmask_b32_e32 v14, v15, v14, vcc_lo
	v_lshl_add_u32 v15, v19, 23, 0x37800000
	v_lshlrev_b32_e32 v14, 21, v14
	v_or3_b32 v14, v7, v15, v14
.LBB6_6771:                             ;   in Loop: Header=BB6_6449 Depth=4
	s_or_b32 exec_lo, exec_lo, s63
	v_mul_f32_e32 v7, v6, v14
	v_mov_b32_e32 v36, 0x80
	s_mov_b32 s63, exec_lo
	v_and_b32_e32 v14, 0x7f800000, v7
	v_cmpx_ne_u32_e32 0x7f800000, v14
	s_cbranch_execz .LBB6_6779
; %bb.6772:                             ;   in Loop: Header=BB6_6449 Depth=4
	v_mov_b32_e32 v36, 0
	s_mov_b32 s72, exec_lo
	v_cmpx_ne_u32_e32 0, v7
	s_cbranch_execz .LBB6_6778
; %bb.6773:                             ;   in Loop: Header=BB6_6449 Depth=4
	v_bfe_u32 v14, v7, 23, 8
	v_and_b32_e32 v15, 0x7fffff, v7
	v_sub_nc_u32_e32 v19, 0x70, v14
	v_cmp_gt_u32_e32 vcc_lo, 0x71, v14
	v_or_b32_e32 v20, 0x800000, v15
	v_cndmask_b32_e32 v19, 0, v19, vcc_lo
	v_cmp_eq_u32_e32 vcc_lo, 0, v14
	v_add_nc_u32_e32 v14, 0xffffff91, v14
	v_cndmask_b32_e64 v19, v19, 0x6f, vcc_lo
	v_cndmask_b32_e32 v15, v20, v15, vcc_lo
	v_cndmask_b32_e64 v14, v14, 0xffffff92, vcc_lo
	v_lshl_add_u32 v20, 0x200000, v19, -1
	v_lshrrev_b32_e32 v21, v19, v15
	v_lshlrev_b32_e64 v24, v19, 0x100000
	v_add_nc_u32_e32 v19, v19, v14
	v_and_b32_e32 v15, v20, v15
	v_bfe_u32 v23, v21, 21, 1
	v_cmp_eq_u32_e64 s16, v15, v24
	v_add_nc_u32_e32 v20, -1, v23
	v_cndmask_b32_e64 v15, 0, v20, s16
	v_lshrrev_b32_e32 v20, 23, v21
	s_mov_b32 s16, exec_lo
	v_add_nc_u32_e32 v15, v15, v21
	v_xor_b32_e32 v20, 1, v20
	v_and_b32_e32 v14, 0x1fffff, v15
	v_add_nc_u32_e32 v15, v14, v21
                                        ; implicit-def: $vgpr14
	v_cmpx_ne_u32_e64 v19, v20
	s_xor_b32 s16, exec_lo, s16
; %bb.6774:                             ;   in Loop: Header=BB6_6449 Depth=4
	v_cmp_lt_u32_e32 vcc_lo, 0xffffff, v15
	v_sub_nc_u32_e32 v14, v19, v20
	v_cndmask_b32_e64 v19, 0, 1, vcc_lo
	v_add_co_ci_u32_e64 v14, null, 0, v14, vcc_lo
	v_lshrrev_b32_e32 v15, v19, v15
; %bb.6775:                             ;   in Loop: Header=BB6_6449 Depth=4
	s_andn2_saveexec_b32 s16, s16
; %bb.6776:                             ;   in Loop: Header=BB6_6449 Depth=4
	v_bfe_u32 v14, v15, 23, 1
; %bb.6777:                             ;   in Loop: Header=BB6_6449 Depth=4
	s_or_b32 exec_lo, exec_lo, s16
	v_lshrrev_b32_e32 v15, 21, v15
	v_cmp_gt_i32_e32 vcc_lo, 32, v14
	v_min_i32_e32 v19, 31, v14
	v_and_b32_sdwa v7, v7, v117 dst_sel:DWORD dst_unused:UNUSED_PAD src0_sel:BYTE_3 src1_sel:DWORD
	v_cndmask_b32_e32 v15, 3, v15, vcc_lo
	v_lshlrev_b32_e32 v19, 2, v19
	v_and_b32_e32 v20, 3, v15
	v_or_b32_e32 v14, v14, v15
	v_or3_b32 v7, v19, v7, v20
	v_cmp_ne_u32_e32 vcc_lo, 0, v14
	v_cndmask_b32_e32 v36, 0, v7, vcc_lo
.LBB6_6778:                             ;   in Loop: Header=BB6_6449 Depth=4
	s_or_b32 exec_lo, exec_lo, s72
.LBB6_6779:                             ;   in Loop: Header=BB6_6449 Depth=4
	s_or_b32 exec_lo, exec_lo, s63
	flat_load_ubyte v7, v[8:9] offset:736 slc
	s_mov_b32 s16, 0
	s_mov_b32 s63, exec_lo
	s_waitcnt vmcnt(0) lgkmcnt(0)
	v_cmpx_lt_i16_e32 0x7f, v7
	s_xor_b32 s63, exec_lo, s63
	s_cbranch_execz .LBB6_7589
; %bb.6780:                             ;   in Loop: Header=BB6_6449 Depth=4
	s_mov_b32 s16, -1
	s_mov_b32 s72, exec_lo
	v_cmpx_eq_u16_e32 0x80, v7
; %bb.6781:                             ;   in Loop: Header=BB6_6449 Depth=4
	s_xor_b32 s16, exec_lo, -1
; %bb.6782:                             ;   in Loop: Header=BB6_6449 Depth=4
	s_or_b32 exec_lo, exec_lo, s72
	s_and_b32 s16, s16, exec_lo
	s_or_saveexec_b32 s63, s63
	v_mov_b32_e32 v14, 0x7f800001
	s_xor_b32 exec_lo, exec_lo, s63
	s_cbranch_execnz .LBB6_7590
.LBB6_6783:                             ;   in Loop: Header=BB6_6449 Depth=4
	s_or_b32 exec_lo, exec_lo, s63
	s_and_saveexec_b32 s63, s16
	s_cbranch_execz .LBB6_6785
.LBB6_6784:                             ;   in Loop: Header=BB6_6449 Depth=4
	v_and_b32_e32 v14, 0xffff, v7
	v_lshlrev_b32_e32 v7, 24, v7
	v_and_b32_e32 v15, 3, v14
	v_bfe_u32 v21, v14, 2, 5
	v_and_b32_e32 v7, 0x80000000, v7
	v_ffbh_u32_e32 v19, v15
	v_cmp_eq_u32_e32 vcc_lo, 0, v21
	v_min_u32_e32 v19, 32, v19
	v_subrev_nc_u32_e32 v20, 29, v19
	v_sub_nc_u32_e32 v19, 30, v19
	v_lshlrev_b32_e32 v14, v20, v14
	v_cndmask_b32_e32 v19, v21, v19, vcc_lo
	v_and_b32_e32 v14, 3, v14
	v_cndmask_b32_e32 v14, v15, v14, vcc_lo
	v_lshl_add_u32 v15, v19, 23, 0x37800000
	v_lshlrev_b32_e32 v14, 21, v14
	v_or3_b32 v14, v7, v15, v14
.LBB6_6785:                             ;   in Loop: Header=BB6_6449 Depth=4
	s_or_b32 exec_lo, exec_lo, s63
	v_mul_f32_e32 v7, v6, v14
	v_mov_b32_e32 v29, 0x80
	s_mov_b32 s63, exec_lo
	v_and_b32_e32 v14, 0x7f800000, v7
	v_cmpx_ne_u32_e32 0x7f800000, v14
	s_cbranch_execz .LBB6_6793
; %bb.6786:                             ;   in Loop: Header=BB6_6449 Depth=4
	v_mov_b32_e32 v29, 0
	s_mov_b32 s72, exec_lo
	v_cmpx_ne_u32_e32 0, v7
	s_cbranch_execz .LBB6_6792
; %bb.6787:                             ;   in Loop: Header=BB6_6449 Depth=4
	v_bfe_u32 v14, v7, 23, 8
	v_and_b32_e32 v15, 0x7fffff, v7
	v_sub_nc_u32_e32 v19, 0x70, v14
	v_cmp_gt_u32_e32 vcc_lo, 0x71, v14
	v_or_b32_e32 v20, 0x800000, v15
	v_cndmask_b32_e32 v19, 0, v19, vcc_lo
	v_cmp_eq_u32_e32 vcc_lo, 0, v14
	v_add_nc_u32_e32 v14, 0xffffff91, v14
	v_cndmask_b32_e64 v19, v19, 0x6f, vcc_lo
	v_cndmask_b32_e32 v15, v20, v15, vcc_lo
	v_cndmask_b32_e64 v14, v14, 0xffffff92, vcc_lo
	v_lshl_add_u32 v20, 0x200000, v19, -1
	v_lshrrev_b32_e32 v21, v19, v15
	v_lshlrev_b32_e64 v24, v19, 0x100000
	v_add_nc_u32_e32 v19, v19, v14
	v_and_b32_e32 v15, v20, v15
	v_bfe_u32 v23, v21, 21, 1
	v_cmp_eq_u32_e64 s16, v15, v24
	v_add_nc_u32_e32 v20, -1, v23
	v_cndmask_b32_e64 v15, 0, v20, s16
	v_lshrrev_b32_e32 v20, 23, v21
	s_mov_b32 s16, exec_lo
	v_add_nc_u32_e32 v15, v15, v21
	v_xor_b32_e32 v20, 1, v20
	v_and_b32_e32 v14, 0x1fffff, v15
	v_add_nc_u32_e32 v15, v14, v21
                                        ; implicit-def: $vgpr14
	v_cmpx_ne_u32_e64 v19, v20
	s_xor_b32 s16, exec_lo, s16
; %bb.6788:                             ;   in Loop: Header=BB6_6449 Depth=4
	v_cmp_lt_u32_e32 vcc_lo, 0xffffff, v15
	v_sub_nc_u32_e32 v14, v19, v20
	v_cndmask_b32_e64 v19, 0, 1, vcc_lo
	v_add_co_ci_u32_e64 v14, null, 0, v14, vcc_lo
	v_lshrrev_b32_e32 v15, v19, v15
; %bb.6789:                             ;   in Loop: Header=BB6_6449 Depth=4
	s_andn2_saveexec_b32 s16, s16
; %bb.6790:                             ;   in Loop: Header=BB6_6449 Depth=4
	v_bfe_u32 v14, v15, 23, 1
; %bb.6791:                             ;   in Loop: Header=BB6_6449 Depth=4
	s_or_b32 exec_lo, exec_lo, s16
	v_lshrrev_b32_e32 v15, 21, v15
	v_cmp_gt_i32_e32 vcc_lo, 32, v14
	v_min_i32_e32 v19, 31, v14
	v_and_b32_sdwa v7, v7, v117 dst_sel:DWORD dst_unused:UNUSED_PAD src0_sel:BYTE_3 src1_sel:DWORD
	v_cndmask_b32_e32 v15, 3, v15, vcc_lo
	v_lshlrev_b32_e32 v19, 2, v19
	v_and_b32_e32 v20, 3, v15
	v_or_b32_e32 v14, v14, v15
	v_or3_b32 v7, v19, v7, v20
	v_cmp_ne_u32_e32 vcc_lo, 0, v14
	v_cndmask_b32_e32 v29, 0, v7, vcc_lo
.LBB6_6792:                             ;   in Loop: Header=BB6_6449 Depth=4
	s_or_b32 exec_lo, exec_lo, s72
.LBB6_6793:                             ;   in Loop: Header=BB6_6449 Depth=4
	s_or_b32 exec_lo, exec_lo, s63
	flat_load_ubyte v7, v[8:9] offset:768 slc
	s_mov_b32 s16, 0
	s_mov_b32 s63, exec_lo
	s_waitcnt vmcnt(0) lgkmcnt(0)
	v_cmpx_lt_i16_e32 0x7f, v7
	s_xor_b32 s63, exec_lo, s63
	s_cbranch_execz .LBB6_7591
; %bb.6794:                             ;   in Loop: Header=BB6_6449 Depth=4
	s_mov_b32 s16, -1
	s_mov_b32 s72, exec_lo
	v_cmpx_eq_u16_e32 0x80, v7
; %bb.6795:                             ;   in Loop: Header=BB6_6449 Depth=4
	s_xor_b32 s16, exec_lo, -1
; %bb.6796:                             ;   in Loop: Header=BB6_6449 Depth=4
	s_or_b32 exec_lo, exec_lo, s72
	s_and_b32 s16, s16, exec_lo
	s_or_saveexec_b32 s63, s63
	v_mov_b32_e32 v14, 0x7f800001
	s_xor_b32 exec_lo, exec_lo, s63
	s_cbranch_execnz .LBB6_7592
.LBB6_6797:                             ;   in Loop: Header=BB6_6449 Depth=4
	s_or_b32 exec_lo, exec_lo, s63
	s_and_saveexec_b32 s63, s16
	s_cbranch_execz .LBB6_6799
.LBB6_6798:                             ;   in Loop: Header=BB6_6449 Depth=4
	v_and_b32_e32 v14, 0xffff, v7
	v_lshlrev_b32_e32 v7, 24, v7
	v_and_b32_e32 v15, 3, v14
	v_bfe_u32 v21, v14, 2, 5
	v_and_b32_e32 v7, 0x80000000, v7
	v_ffbh_u32_e32 v19, v15
	v_cmp_eq_u32_e32 vcc_lo, 0, v21
	v_min_u32_e32 v19, 32, v19
	v_subrev_nc_u32_e32 v20, 29, v19
	v_sub_nc_u32_e32 v19, 30, v19
	v_lshlrev_b32_e32 v14, v20, v14
	v_cndmask_b32_e32 v19, v21, v19, vcc_lo
	v_and_b32_e32 v14, 3, v14
	v_cndmask_b32_e32 v14, v15, v14, vcc_lo
	v_lshl_add_u32 v15, v19, 23, 0x37800000
	v_lshlrev_b32_e32 v14, 21, v14
	v_or3_b32 v14, v7, v15, v14
.LBB6_6799:                             ;   in Loop: Header=BB6_6449 Depth=4
	s_or_b32 exec_lo, exec_lo, s63
	v_mul_f32_e32 v7, v6, v14
	v_mov_b32_e32 v28, 0x80
	s_mov_b32 s63, exec_lo
	v_and_b32_e32 v14, 0x7f800000, v7
	v_cmpx_ne_u32_e32 0x7f800000, v14
	s_cbranch_execz .LBB6_6807
; %bb.6800:                             ;   in Loop: Header=BB6_6449 Depth=4
	v_mov_b32_e32 v28, 0
	s_mov_b32 s72, exec_lo
	v_cmpx_ne_u32_e32 0, v7
	s_cbranch_execz .LBB6_6806
; %bb.6801:                             ;   in Loop: Header=BB6_6449 Depth=4
	v_bfe_u32 v14, v7, 23, 8
	v_and_b32_e32 v15, 0x7fffff, v7
	v_sub_nc_u32_e32 v19, 0x70, v14
	v_cmp_gt_u32_e32 vcc_lo, 0x71, v14
	v_or_b32_e32 v20, 0x800000, v15
	v_cndmask_b32_e32 v19, 0, v19, vcc_lo
	v_cmp_eq_u32_e32 vcc_lo, 0, v14
	v_add_nc_u32_e32 v14, 0xffffff91, v14
	v_cndmask_b32_e64 v19, v19, 0x6f, vcc_lo
	v_cndmask_b32_e32 v15, v20, v15, vcc_lo
	v_cndmask_b32_e64 v14, v14, 0xffffff92, vcc_lo
	v_lshl_add_u32 v20, 0x200000, v19, -1
	v_lshrrev_b32_e32 v21, v19, v15
	v_lshlrev_b32_e64 v24, v19, 0x100000
	v_add_nc_u32_e32 v19, v19, v14
	v_and_b32_e32 v15, v20, v15
	v_bfe_u32 v23, v21, 21, 1
	v_cmp_eq_u32_e64 s16, v15, v24
	v_add_nc_u32_e32 v20, -1, v23
	v_cndmask_b32_e64 v15, 0, v20, s16
	v_lshrrev_b32_e32 v20, 23, v21
	s_mov_b32 s16, exec_lo
	v_add_nc_u32_e32 v15, v15, v21
	v_xor_b32_e32 v20, 1, v20
	v_and_b32_e32 v14, 0x1fffff, v15
	v_add_nc_u32_e32 v15, v14, v21
                                        ; implicit-def: $vgpr14
	v_cmpx_ne_u32_e64 v19, v20
	s_xor_b32 s16, exec_lo, s16
; %bb.6802:                             ;   in Loop: Header=BB6_6449 Depth=4
	v_cmp_lt_u32_e32 vcc_lo, 0xffffff, v15
	v_sub_nc_u32_e32 v14, v19, v20
	v_cndmask_b32_e64 v19, 0, 1, vcc_lo
	v_add_co_ci_u32_e64 v14, null, 0, v14, vcc_lo
	v_lshrrev_b32_e32 v15, v19, v15
; %bb.6803:                             ;   in Loop: Header=BB6_6449 Depth=4
	s_andn2_saveexec_b32 s16, s16
; %bb.6804:                             ;   in Loop: Header=BB6_6449 Depth=4
	v_bfe_u32 v14, v15, 23, 1
; %bb.6805:                             ;   in Loop: Header=BB6_6449 Depth=4
	s_or_b32 exec_lo, exec_lo, s16
	v_lshrrev_b32_e32 v15, 21, v15
	v_cmp_gt_i32_e32 vcc_lo, 32, v14
	v_min_i32_e32 v19, 31, v14
	v_and_b32_sdwa v7, v7, v117 dst_sel:DWORD dst_unused:UNUSED_PAD src0_sel:BYTE_3 src1_sel:DWORD
	v_cndmask_b32_e32 v15, 3, v15, vcc_lo
	v_lshlrev_b32_e32 v19, 2, v19
	v_and_b32_e32 v20, 3, v15
	v_or_b32_e32 v14, v14, v15
	v_or3_b32 v7, v19, v7, v20
	v_cmp_ne_u32_e32 vcc_lo, 0, v14
	v_cndmask_b32_e32 v28, 0, v7, vcc_lo
.LBB6_6806:                             ;   in Loop: Header=BB6_6449 Depth=4
	s_or_b32 exec_lo, exec_lo, s72
.LBB6_6807:                             ;   in Loop: Header=BB6_6449 Depth=4
	s_or_b32 exec_lo, exec_lo, s63
	flat_load_ubyte v7, v[8:9] offset:800 slc
	s_mov_b32 s16, 0
	s_mov_b32 s63, exec_lo
	s_waitcnt vmcnt(0) lgkmcnt(0)
	v_cmpx_lt_i16_e32 0x7f, v7
	s_xor_b32 s63, exec_lo, s63
	s_cbranch_execz .LBB6_7593
; %bb.6808:                             ;   in Loop: Header=BB6_6449 Depth=4
	s_mov_b32 s16, -1
	s_mov_b32 s72, exec_lo
	v_cmpx_eq_u16_e32 0x80, v7
; %bb.6809:                             ;   in Loop: Header=BB6_6449 Depth=4
	s_xor_b32 s16, exec_lo, -1
; %bb.6810:                             ;   in Loop: Header=BB6_6449 Depth=4
	s_or_b32 exec_lo, exec_lo, s72
	s_and_b32 s16, s16, exec_lo
	s_or_saveexec_b32 s63, s63
	v_mov_b32_e32 v14, 0x7f800001
	s_xor_b32 exec_lo, exec_lo, s63
	s_cbranch_execnz .LBB6_7594
.LBB6_6811:                             ;   in Loop: Header=BB6_6449 Depth=4
	s_or_b32 exec_lo, exec_lo, s63
	s_and_saveexec_b32 s63, s16
	s_cbranch_execz .LBB6_6813
.LBB6_6812:                             ;   in Loop: Header=BB6_6449 Depth=4
	v_and_b32_e32 v14, 0xffff, v7
	v_lshlrev_b32_e32 v7, 24, v7
	v_and_b32_e32 v15, 3, v14
	v_bfe_u32 v21, v14, 2, 5
	v_and_b32_e32 v7, 0x80000000, v7
	v_ffbh_u32_e32 v19, v15
	v_cmp_eq_u32_e32 vcc_lo, 0, v21
	v_min_u32_e32 v19, 32, v19
	v_subrev_nc_u32_e32 v20, 29, v19
	v_sub_nc_u32_e32 v19, 30, v19
	v_lshlrev_b32_e32 v14, v20, v14
	v_cndmask_b32_e32 v19, v21, v19, vcc_lo
	v_and_b32_e32 v14, 3, v14
	v_cndmask_b32_e32 v14, v15, v14, vcc_lo
	v_lshl_add_u32 v15, v19, 23, 0x37800000
	v_lshlrev_b32_e32 v14, 21, v14
	v_or3_b32 v14, v7, v15, v14
.LBB6_6813:                             ;   in Loop: Header=BB6_6449 Depth=4
	s_or_b32 exec_lo, exec_lo, s63
	v_mul_f32_e32 v7, v6, v14
	v_mov_b32_e32 v25, 0x80
	s_mov_b32 s63, exec_lo
	v_and_b32_e32 v14, 0x7f800000, v7
	v_cmpx_ne_u32_e32 0x7f800000, v14
	s_cbranch_execz .LBB6_6821
; %bb.6814:                             ;   in Loop: Header=BB6_6449 Depth=4
	v_mov_b32_e32 v25, 0
	s_mov_b32 s72, exec_lo
	v_cmpx_ne_u32_e32 0, v7
	s_cbranch_execz .LBB6_6820
; %bb.6815:                             ;   in Loop: Header=BB6_6449 Depth=4
	v_bfe_u32 v14, v7, 23, 8
	v_and_b32_e32 v15, 0x7fffff, v7
	v_sub_nc_u32_e32 v19, 0x70, v14
	v_cmp_gt_u32_e32 vcc_lo, 0x71, v14
	v_or_b32_e32 v20, 0x800000, v15
	v_cndmask_b32_e32 v19, 0, v19, vcc_lo
	v_cmp_eq_u32_e32 vcc_lo, 0, v14
	v_add_nc_u32_e32 v14, 0xffffff91, v14
	v_cndmask_b32_e64 v19, v19, 0x6f, vcc_lo
	v_cndmask_b32_e32 v15, v20, v15, vcc_lo
	v_cndmask_b32_e64 v14, v14, 0xffffff92, vcc_lo
	v_lshl_add_u32 v20, 0x200000, v19, -1
	v_lshrrev_b32_e32 v21, v19, v15
	v_lshlrev_b32_e64 v24, v19, 0x100000
	v_add_nc_u32_e32 v19, v19, v14
	v_and_b32_e32 v15, v20, v15
	v_bfe_u32 v23, v21, 21, 1
	v_cmp_eq_u32_e64 s16, v15, v24
	v_add_nc_u32_e32 v20, -1, v23
	v_cndmask_b32_e64 v15, 0, v20, s16
	v_lshrrev_b32_e32 v20, 23, v21
	s_mov_b32 s16, exec_lo
	v_add_nc_u32_e32 v15, v15, v21
	v_xor_b32_e32 v20, 1, v20
	v_and_b32_e32 v14, 0x1fffff, v15
	v_add_nc_u32_e32 v15, v14, v21
                                        ; implicit-def: $vgpr14
	v_cmpx_ne_u32_e64 v19, v20
	s_xor_b32 s16, exec_lo, s16
; %bb.6816:                             ;   in Loop: Header=BB6_6449 Depth=4
	v_cmp_lt_u32_e32 vcc_lo, 0xffffff, v15
	v_sub_nc_u32_e32 v14, v19, v20
	v_cndmask_b32_e64 v19, 0, 1, vcc_lo
	v_add_co_ci_u32_e64 v14, null, 0, v14, vcc_lo
	v_lshrrev_b32_e32 v15, v19, v15
; %bb.6817:                             ;   in Loop: Header=BB6_6449 Depth=4
	s_andn2_saveexec_b32 s16, s16
; %bb.6818:                             ;   in Loop: Header=BB6_6449 Depth=4
	v_bfe_u32 v14, v15, 23, 1
; %bb.6819:                             ;   in Loop: Header=BB6_6449 Depth=4
	s_or_b32 exec_lo, exec_lo, s16
	v_lshrrev_b32_e32 v15, 21, v15
	v_cmp_gt_i32_e32 vcc_lo, 32, v14
	v_min_i32_e32 v19, 31, v14
	v_and_b32_sdwa v7, v7, v117 dst_sel:DWORD dst_unused:UNUSED_PAD src0_sel:BYTE_3 src1_sel:DWORD
	v_cndmask_b32_e32 v15, 3, v15, vcc_lo
	v_lshlrev_b32_e32 v19, 2, v19
	v_and_b32_e32 v20, 3, v15
	v_or_b32_e32 v14, v14, v15
	v_or3_b32 v7, v19, v7, v20
	v_cmp_ne_u32_e32 vcc_lo, 0, v14
	v_cndmask_b32_e32 v25, 0, v7, vcc_lo
.LBB6_6820:                             ;   in Loop: Header=BB6_6449 Depth=4
	s_or_b32 exec_lo, exec_lo, s72
.LBB6_6821:                             ;   in Loop: Header=BB6_6449 Depth=4
	s_or_b32 exec_lo, exec_lo, s63
	flat_load_ubyte v7, v[8:9] offset:832 slc
	s_mov_b32 s16, 0
	s_mov_b32 s63, exec_lo
	s_waitcnt vmcnt(0) lgkmcnt(0)
	v_cmpx_lt_i16_e32 0x7f, v7
	s_xor_b32 s63, exec_lo, s63
	s_cbranch_execz .LBB6_7595
; %bb.6822:                             ;   in Loop: Header=BB6_6449 Depth=4
	s_mov_b32 s16, -1
	s_mov_b32 s72, exec_lo
	v_cmpx_eq_u16_e32 0x80, v7
; %bb.6823:                             ;   in Loop: Header=BB6_6449 Depth=4
	s_xor_b32 s16, exec_lo, -1
; %bb.6824:                             ;   in Loop: Header=BB6_6449 Depth=4
	s_or_b32 exec_lo, exec_lo, s72
	s_and_b32 s16, s16, exec_lo
	s_or_saveexec_b32 s63, s63
	v_mov_b32_e32 v14, 0x7f800001
	s_xor_b32 exec_lo, exec_lo, s63
	s_cbranch_execnz .LBB6_7596
.LBB6_6825:                             ;   in Loop: Header=BB6_6449 Depth=4
	s_or_b32 exec_lo, exec_lo, s63
	s_and_saveexec_b32 s63, s16
	s_cbranch_execz .LBB6_6827
.LBB6_6826:                             ;   in Loop: Header=BB6_6449 Depth=4
	v_and_b32_e32 v14, 0xffff, v7
	v_lshlrev_b32_e32 v7, 24, v7
	v_and_b32_e32 v15, 3, v14
	v_bfe_u32 v21, v14, 2, 5
	v_and_b32_e32 v7, 0x80000000, v7
	v_ffbh_u32_e32 v19, v15
	v_cmp_eq_u32_e32 vcc_lo, 0, v21
	v_min_u32_e32 v19, 32, v19
	v_subrev_nc_u32_e32 v20, 29, v19
	v_sub_nc_u32_e32 v19, 30, v19
	v_lshlrev_b32_e32 v14, v20, v14
	v_cndmask_b32_e32 v19, v21, v19, vcc_lo
	v_and_b32_e32 v14, 3, v14
	v_cndmask_b32_e32 v14, v15, v14, vcc_lo
	v_lshl_add_u32 v15, v19, 23, 0x37800000
	v_lshlrev_b32_e32 v14, 21, v14
	v_or3_b32 v14, v7, v15, v14
.LBB6_6827:                             ;   in Loop: Header=BB6_6449 Depth=4
	s_or_b32 exec_lo, exec_lo, s63
	v_mul_f32_e32 v7, v6, v14
	v_mov_b32_e32 v24, 0x80
	s_mov_b32 s63, exec_lo
	v_and_b32_e32 v14, 0x7f800000, v7
	v_cmpx_ne_u32_e32 0x7f800000, v14
	s_cbranch_execz .LBB6_6835
; %bb.6828:                             ;   in Loop: Header=BB6_6449 Depth=4
	v_mov_b32_e32 v24, 0
	s_mov_b32 s72, exec_lo
	v_cmpx_ne_u32_e32 0, v7
	s_cbranch_execz .LBB6_6834
; %bb.6829:                             ;   in Loop: Header=BB6_6449 Depth=4
	v_bfe_u32 v14, v7, 23, 8
	v_and_b32_e32 v15, 0x7fffff, v7
	v_sub_nc_u32_e32 v19, 0x70, v14
	v_cmp_gt_u32_e32 vcc_lo, 0x71, v14
	v_or_b32_e32 v20, 0x800000, v15
	v_cndmask_b32_e32 v19, 0, v19, vcc_lo
	v_cmp_eq_u32_e32 vcc_lo, 0, v14
	v_add_nc_u32_e32 v14, 0xffffff91, v14
	v_cndmask_b32_e64 v19, v19, 0x6f, vcc_lo
	v_cndmask_b32_e32 v15, v20, v15, vcc_lo
	v_cndmask_b32_e64 v14, v14, 0xffffff92, vcc_lo
	v_lshl_add_u32 v20, 0x200000, v19, -1
	v_lshrrev_b32_e32 v21, v19, v15
	v_lshlrev_b32_e64 v24, v19, 0x100000
	v_add_nc_u32_e32 v19, v19, v14
	v_and_b32_e32 v15, v20, v15
	v_bfe_u32 v23, v21, 21, 1
	v_cmp_eq_u32_e64 s16, v15, v24
	v_add_nc_u32_e32 v20, -1, v23
	v_cndmask_b32_e64 v15, 0, v20, s16
	v_lshrrev_b32_e32 v20, 23, v21
	s_mov_b32 s16, exec_lo
	v_add_nc_u32_e32 v15, v15, v21
	v_xor_b32_e32 v20, 1, v20
	v_and_b32_e32 v14, 0x1fffff, v15
	v_add_nc_u32_e32 v15, v14, v21
                                        ; implicit-def: $vgpr14
	v_cmpx_ne_u32_e64 v19, v20
	s_xor_b32 s16, exec_lo, s16
; %bb.6830:                             ;   in Loop: Header=BB6_6449 Depth=4
	v_cmp_lt_u32_e32 vcc_lo, 0xffffff, v15
	v_sub_nc_u32_e32 v14, v19, v20
	v_cndmask_b32_e64 v19, 0, 1, vcc_lo
	v_add_co_ci_u32_e64 v14, null, 0, v14, vcc_lo
	v_lshrrev_b32_e32 v15, v19, v15
; %bb.6831:                             ;   in Loop: Header=BB6_6449 Depth=4
	s_andn2_saveexec_b32 s16, s16
; %bb.6832:                             ;   in Loop: Header=BB6_6449 Depth=4
	v_bfe_u32 v14, v15, 23, 1
; %bb.6833:                             ;   in Loop: Header=BB6_6449 Depth=4
	s_or_b32 exec_lo, exec_lo, s16
	v_lshrrev_b32_e32 v15, 21, v15
	v_cmp_gt_i32_e32 vcc_lo, 32, v14
	v_min_i32_e32 v19, 31, v14
	v_and_b32_sdwa v7, v7, v117 dst_sel:DWORD dst_unused:UNUSED_PAD src0_sel:BYTE_3 src1_sel:DWORD
	v_cndmask_b32_e32 v15, 3, v15, vcc_lo
	v_lshlrev_b32_e32 v19, 2, v19
	v_and_b32_e32 v20, 3, v15
	v_or_b32_e32 v14, v14, v15
	v_or3_b32 v7, v19, v7, v20
	v_cmp_ne_u32_e32 vcc_lo, 0, v14
	v_cndmask_b32_e32 v24, 0, v7, vcc_lo
.LBB6_6834:                             ;   in Loop: Header=BB6_6449 Depth=4
	s_or_b32 exec_lo, exec_lo, s72
.LBB6_6835:                             ;   in Loop: Header=BB6_6449 Depth=4
	s_or_b32 exec_lo, exec_lo, s63
	flat_load_ubyte v7, v[8:9] offset:864 slc
	s_mov_b32 s16, 0
	s_mov_b32 s63, exec_lo
	s_waitcnt vmcnt(0) lgkmcnt(0)
	v_cmpx_lt_i16_e32 0x7f, v7
	s_xor_b32 s63, exec_lo, s63
	s_cbranch_execz .LBB6_7597
; %bb.6836:                             ;   in Loop: Header=BB6_6449 Depth=4
	s_mov_b32 s16, -1
	s_mov_b32 s72, exec_lo
	v_cmpx_eq_u16_e32 0x80, v7
; %bb.6837:                             ;   in Loop: Header=BB6_6449 Depth=4
	s_xor_b32 s16, exec_lo, -1
; %bb.6838:                             ;   in Loop: Header=BB6_6449 Depth=4
	s_or_b32 exec_lo, exec_lo, s72
	s_and_b32 s16, s16, exec_lo
	s_or_saveexec_b32 s63, s63
	v_mov_b32_e32 v14, 0x7f800001
	s_xor_b32 exec_lo, exec_lo, s63
	s_cbranch_execnz .LBB6_7598
.LBB6_6839:                             ;   in Loop: Header=BB6_6449 Depth=4
	s_or_b32 exec_lo, exec_lo, s63
	s_and_saveexec_b32 s63, s16
	s_cbranch_execz .LBB6_6841
.LBB6_6840:                             ;   in Loop: Header=BB6_6449 Depth=4
	v_and_b32_e32 v14, 0xffff, v7
	v_lshlrev_b32_e32 v7, 24, v7
	v_and_b32_e32 v15, 3, v14
	v_bfe_u32 v21, v14, 2, 5
	v_and_b32_e32 v7, 0x80000000, v7
	v_ffbh_u32_e32 v19, v15
	v_cmp_eq_u32_e32 vcc_lo, 0, v21
	v_min_u32_e32 v19, 32, v19
	v_subrev_nc_u32_e32 v20, 29, v19
	v_sub_nc_u32_e32 v19, 30, v19
	v_lshlrev_b32_e32 v14, v20, v14
	v_cndmask_b32_e32 v19, v21, v19, vcc_lo
	v_and_b32_e32 v14, 3, v14
	v_cndmask_b32_e32 v14, v15, v14, vcc_lo
	v_lshl_add_u32 v15, v19, 23, 0x37800000
	v_lshlrev_b32_e32 v14, 21, v14
	v_or3_b32 v14, v7, v15, v14
.LBB6_6841:                             ;   in Loop: Header=BB6_6449 Depth=4
	s_or_b32 exec_lo, exec_lo, s63
	v_mul_f32_e32 v7, v6, v14
	v_mov_b32_e32 v21, 0x80
	s_mov_b32 s63, exec_lo
	v_and_b32_e32 v14, 0x7f800000, v7
	v_cmpx_ne_u32_e32 0x7f800000, v14
	s_cbranch_execz .LBB6_6849
; %bb.6842:                             ;   in Loop: Header=BB6_6449 Depth=4
	v_mov_b32_e32 v21, 0
	s_mov_b32 s72, exec_lo
	v_cmpx_ne_u32_e32 0, v7
	s_cbranch_execz .LBB6_6848
; %bb.6843:                             ;   in Loop: Header=BB6_6449 Depth=4
	v_bfe_u32 v14, v7, 23, 8
	v_and_b32_e32 v15, 0x7fffff, v7
	v_sub_nc_u32_e32 v19, 0x70, v14
	v_cmp_gt_u32_e32 vcc_lo, 0x71, v14
	v_or_b32_e32 v20, 0x800000, v15
	v_cndmask_b32_e32 v19, 0, v19, vcc_lo
	v_cmp_eq_u32_e32 vcc_lo, 0, v14
	v_add_nc_u32_e32 v14, 0xffffff91, v14
	v_cndmask_b32_e64 v19, v19, 0x6f, vcc_lo
	v_cndmask_b32_e32 v15, v20, v15, vcc_lo
	v_cndmask_b32_e64 v14, v14, 0xffffff92, vcc_lo
	v_lshl_add_u32 v20, 0x200000, v19, -1
	v_lshrrev_b32_e32 v21, v19, v15
	v_lshlrev_b32_e64 v26, v19, 0x100000
	v_add_nc_u32_e32 v19, v19, v14
	v_and_b32_e32 v15, v20, v15
	v_bfe_u32 v23, v21, 21, 1
	v_cmp_eq_u32_e64 s16, v15, v26
	v_add_nc_u32_e32 v20, -1, v23
	v_cndmask_b32_e64 v15, 0, v20, s16
	v_lshrrev_b32_e32 v20, 23, v21
	s_mov_b32 s16, exec_lo
	v_add_nc_u32_e32 v15, v15, v21
	v_xor_b32_e32 v20, 1, v20
	v_and_b32_e32 v14, 0x1fffff, v15
	v_add_nc_u32_e32 v15, v14, v21
                                        ; implicit-def: $vgpr14
	v_cmpx_ne_u32_e64 v19, v20
	s_xor_b32 s16, exec_lo, s16
; %bb.6844:                             ;   in Loop: Header=BB6_6449 Depth=4
	v_cmp_lt_u32_e32 vcc_lo, 0xffffff, v15
	v_sub_nc_u32_e32 v14, v19, v20
	v_cndmask_b32_e64 v19, 0, 1, vcc_lo
	v_add_co_ci_u32_e64 v14, null, 0, v14, vcc_lo
	v_lshrrev_b32_e32 v15, v19, v15
; %bb.6845:                             ;   in Loop: Header=BB6_6449 Depth=4
	s_andn2_saveexec_b32 s16, s16
; %bb.6846:                             ;   in Loop: Header=BB6_6449 Depth=4
	v_bfe_u32 v14, v15, 23, 1
; %bb.6847:                             ;   in Loop: Header=BB6_6449 Depth=4
	s_or_b32 exec_lo, exec_lo, s16
	v_lshrrev_b32_e32 v15, 21, v15
	v_cmp_gt_i32_e32 vcc_lo, 32, v14
	v_min_i32_e32 v19, 31, v14
	v_and_b32_sdwa v7, v7, v117 dst_sel:DWORD dst_unused:UNUSED_PAD src0_sel:BYTE_3 src1_sel:DWORD
	v_cndmask_b32_e32 v15, 3, v15, vcc_lo
	v_lshlrev_b32_e32 v19, 2, v19
	v_and_b32_e32 v20, 3, v15
	v_or_b32_e32 v14, v14, v15
	v_or3_b32 v7, v19, v7, v20
	v_cmp_ne_u32_e32 vcc_lo, 0, v14
	v_cndmask_b32_e32 v21, 0, v7, vcc_lo
.LBB6_6848:                             ;   in Loop: Header=BB6_6449 Depth=4
	s_or_b32 exec_lo, exec_lo, s72
.LBB6_6849:                             ;   in Loop: Header=BB6_6449 Depth=4
	s_or_b32 exec_lo, exec_lo, s63
	flat_load_ubyte v7, v[8:9] offset:896 slc
	s_mov_b32 s16, 0
	s_mov_b32 s63, exec_lo
	s_waitcnt vmcnt(0) lgkmcnt(0)
	v_cmpx_lt_i16_e32 0x7f, v7
	s_xor_b32 s63, exec_lo, s63
	s_cbranch_execz .LBB6_7599
; %bb.6850:                             ;   in Loop: Header=BB6_6449 Depth=4
	s_mov_b32 s16, -1
	s_mov_b32 s72, exec_lo
	v_cmpx_eq_u16_e32 0x80, v7
; %bb.6851:                             ;   in Loop: Header=BB6_6449 Depth=4
	s_xor_b32 s16, exec_lo, -1
; %bb.6852:                             ;   in Loop: Header=BB6_6449 Depth=4
	s_or_b32 exec_lo, exec_lo, s72
	s_and_b32 s16, s16, exec_lo
	s_or_saveexec_b32 s63, s63
	v_mov_b32_e32 v14, 0x7f800001
	s_xor_b32 exec_lo, exec_lo, s63
	s_cbranch_execnz .LBB6_7600
.LBB6_6853:                             ;   in Loop: Header=BB6_6449 Depth=4
	s_or_b32 exec_lo, exec_lo, s63
	s_and_saveexec_b32 s63, s16
	s_cbranch_execz .LBB6_6855
.LBB6_6854:                             ;   in Loop: Header=BB6_6449 Depth=4
	v_and_b32_e32 v14, 0xffff, v7
	v_lshlrev_b32_e32 v7, 24, v7
	v_and_b32_e32 v15, 3, v14
	v_bfe_u32 v23, v14, 2, 5
	v_and_b32_e32 v7, 0x80000000, v7
	v_ffbh_u32_e32 v19, v15
	v_cmp_eq_u32_e32 vcc_lo, 0, v23
	v_min_u32_e32 v19, 32, v19
	v_subrev_nc_u32_e32 v20, 29, v19
	v_sub_nc_u32_e32 v19, 30, v19
	v_lshlrev_b32_e32 v14, v20, v14
	v_cndmask_b32_e32 v19, v23, v19, vcc_lo
	v_and_b32_e32 v14, 3, v14
	v_cndmask_b32_e32 v14, v15, v14, vcc_lo
	v_lshl_add_u32 v15, v19, 23, 0x37800000
	v_lshlrev_b32_e32 v14, 21, v14
	v_or3_b32 v14, v7, v15, v14
.LBB6_6855:                             ;   in Loop: Header=BB6_6449 Depth=4
	s_or_b32 exec_lo, exec_lo, s63
	v_mul_f32_e32 v7, v6, v14
	v_mov_b32_e32 v20, 0x80
	s_mov_b32 s63, exec_lo
	v_and_b32_e32 v14, 0x7f800000, v7
	v_cmpx_ne_u32_e32 0x7f800000, v14
	s_cbranch_execz .LBB6_6863
; %bb.6856:                             ;   in Loop: Header=BB6_6449 Depth=4
	v_mov_b32_e32 v20, 0
	s_mov_b32 s72, exec_lo
	v_cmpx_ne_u32_e32 0, v7
	s_cbranch_execz .LBB6_6862
; %bb.6857:                             ;   in Loop: Header=BB6_6449 Depth=4
	v_bfe_u32 v14, v7, 23, 8
	v_and_b32_e32 v15, 0x7fffff, v7
	v_sub_nc_u32_e32 v19, 0x70, v14
	v_cmp_gt_u32_e32 vcc_lo, 0x71, v14
	v_or_b32_e32 v20, 0x800000, v15
	v_cndmask_b32_e32 v19, 0, v19, vcc_lo
	v_cmp_eq_u32_e32 vcc_lo, 0, v14
	v_add_nc_u32_e32 v14, 0xffffff91, v14
	v_cndmask_b32_e64 v19, v19, 0x6f, vcc_lo
	v_cndmask_b32_e32 v15, v20, v15, vcc_lo
	v_cndmask_b32_e64 v14, v14, 0xffffff92, vcc_lo
	v_lshl_add_u32 v20, 0x200000, v19, -1
	v_lshrrev_b32_e32 v23, v19, v15
	v_lshlrev_b32_e64 v30, v19, 0x100000
	v_add_nc_u32_e32 v19, v19, v14
	v_and_b32_e32 v15, v20, v15
	v_bfe_u32 v26, v23, 21, 1
	v_cmp_eq_u32_e64 s16, v15, v30
	v_add_nc_u32_e32 v20, -1, v26
	v_cndmask_b32_e64 v15, 0, v20, s16
	v_lshrrev_b32_e32 v20, 23, v23
	s_mov_b32 s16, exec_lo
	v_add_nc_u32_e32 v15, v15, v23
	v_xor_b32_e32 v20, 1, v20
	v_and_b32_e32 v14, 0x1fffff, v15
	v_add_nc_u32_e32 v15, v14, v23
                                        ; implicit-def: $vgpr14
	v_cmpx_ne_u32_e64 v19, v20
	s_xor_b32 s16, exec_lo, s16
; %bb.6858:                             ;   in Loop: Header=BB6_6449 Depth=4
	v_cmp_lt_u32_e32 vcc_lo, 0xffffff, v15
	v_sub_nc_u32_e32 v14, v19, v20
	v_cndmask_b32_e64 v19, 0, 1, vcc_lo
	v_add_co_ci_u32_e64 v14, null, 0, v14, vcc_lo
	v_lshrrev_b32_e32 v15, v19, v15
; %bb.6859:                             ;   in Loop: Header=BB6_6449 Depth=4
	s_andn2_saveexec_b32 s16, s16
; %bb.6860:                             ;   in Loop: Header=BB6_6449 Depth=4
	v_bfe_u32 v14, v15, 23, 1
; %bb.6861:                             ;   in Loop: Header=BB6_6449 Depth=4
	s_or_b32 exec_lo, exec_lo, s16
	v_lshrrev_b32_e32 v15, 21, v15
	v_cmp_gt_i32_e32 vcc_lo, 32, v14
	v_min_i32_e32 v19, 31, v14
	v_and_b32_sdwa v7, v7, v117 dst_sel:DWORD dst_unused:UNUSED_PAD src0_sel:BYTE_3 src1_sel:DWORD
	v_cndmask_b32_e32 v15, 3, v15, vcc_lo
	v_lshlrev_b32_e32 v19, 2, v19
	v_and_b32_e32 v20, 3, v15
	v_or_b32_e32 v14, v14, v15
	v_or3_b32 v7, v19, v7, v20
	v_cmp_ne_u32_e32 vcc_lo, 0, v14
	v_cndmask_b32_e32 v20, 0, v7, vcc_lo
.LBB6_6862:                             ;   in Loop: Header=BB6_6449 Depth=4
	s_or_b32 exec_lo, exec_lo, s72
.LBB6_6863:                             ;   in Loop: Header=BB6_6449 Depth=4
	s_or_b32 exec_lo, exec_lo, s63
	flat_load_ubyte v7, v[8:9] offset:928 slc
	s_mov_b32 s16, 0
	s_mov_b32 s63, exec_lo
	s_waitcnt vmcnt(0) lgkmcnt(0)
	v_cmpx_lt_i16_e32 0x7f, v7
	s_xor_b32 s63, exec_lo, s63
	s_cbranch_execz .LBB6_7601
; %bb.6864:                             ;   in Loop: Header=BB6_6449 Depth=4
	s_mov_b32 s16, -1
	s_mov_b32 s72, exec_lo
	v_cmpx_eq_u16_e32 0x80, v7
; %bb.6865:                             ;   in Loop: Header=BB6_6449 Depth=4
	s_xor_b32 s16, exec_lo, -1
; %bb.6866:                             ;   in Loop: Header=BB6_6449 Depth=4
	s_or_b32 exec_lo, exec_lo, s72
	s_and_b32 s16, s16, exec_lo
	s_or_saveexec_b32 s63, s63
	v_mov_b32_e32 v14, 0x7f800001
	s_xor_b32 exec_lo, exec_lo, s63
	s_cbranch_execnz .LBB6_7602
.LBB6_6867:                             ;   in Loop: Header=BB6_6449 Depth=4
	s_or_b32 exec_lo, exec_lo, s63
	s_and_saveexec_b32 s63, s16
	s_cbranch_execz .LBB6_6869
.LBB6_6868:                             ;   in Loop: Header=BB6_6449 Depth=4
	v_and_b32_e32 v14, 0xffff, v7
	v_lshlrev_b32_e32 v7, 24, v7
	v_and_b32_e32 v15, 3, v14
	v_bfe_u32 v26, v14, 2, 5
	v_and_b32_e32 v7, 0x80000000, v7
	v_ffbh_u32_e32 v19, v15
	v_cmp_eq_u32_e32 vcc_lo, 0, v26
	v_min_u32_e32 v19, 32, v19
	v_subrev_nc_u32_e32 v23, 29, v19
	v_sub_nc_u32_e32 v19, 30, v19
	v_lshlrev_b32_e32 v14, v23, v14
	v_cndmask_b32_e32 v19, v26, v19, vcc_lo
	v_and_b32_e32 v14, 3, v14
	v_cndmask_b32_e32 v14, v15, v14, vcc_lo
	v_lshl_add_u32 v15, v19, 23, 0x37800000
	v_lshlrev_b32_e32 v14, 21, v14
	v_or3_b32 v14, v7, v15, v14
.LBB6_6869:                             ;   in Loop: Header=BB6_6449 Depth=4
	s_or_b32 exec_lo, exec_lo, s63
	v_mul_f32_e32 v7, v6, v14
	v_mov_b32_e32 v15, 0x80
	s_mov_b32 s63, exec_lo
	v_and_b32_e32 v14, 0x7f800000, v7
	v_cmpx_ne_u32_e32 0x7f800000, v14
	s_cbranch_execz .LBB6_6877
; %bb.6870:                             ;   in Loop: Header=BB6_6449 Depth=4
	v_mov_b32_e32 v15, 0
	s_mov_b32 s72, exec_lo
	v_cmpx_ne_u32_e32 0, v7
	s_cbranch_execz .LBB6_6876
; %bb.6871:                             ;   in Loop: Header=BB6_6449 Depth=4
	v_bfe_u32 v14, v7, 23, 8
	v_and_b32_e32 v15, 0x7fffff, v7
	v_sub_nc_u32_e32 v19, 0x70, v14
	v_cmp_gt_u32_e32 vcc_lo, 0x71, v14
	v_or_b32_e32 v23, 0x800000, v15
	v_cndmask_b32_e32 v19, 0, v19, vcc_lo
	v_cmp_eq_u32_e32 vcc_lo, 0, v14
	v_add_nc_u32_e32 v14, 0xffffff91, v14
	v_cndmask_b32_e64 v19, v19, 0x6f, vcc_lo
	v_cndmask_b32_e32 v15, v23, v15, vcc_lo
	v_cndmask_b32_e64 v14, v14, 0xffffff92, vcc_lo
	v_lshl_add_u32 v23, 0x200000, v19, -1
	v_lshrrev_b32_e32 v26, v19, v15
	v_lshlrev_b32_e64 v50, v19, 0x100000
	v_add_nc_u32_e32 v19, v19, v14
	v_and_b32_e32 v15, v23, v15
	v_bfe_u32 v30, v26, 21, 1
	v_cmp_eq_u32_e64 s16, v15, v50
	v_add_nc_u32_e32 v23, -1, v30
	v_cndmask_b32_e64 v15, 0, v23, s16
	v_lshrrev_b32_e32 v23, 23, v26
	s_mov_b32 s16, exec_lo
	v_add_nc_u32_e32 v15, v15, v26
	v_xor_b32_e32 v23, 1, v23
	v_and_b32_e32 v14, 0x1fffff, v15
	v_add_nc_u32_e32 v15, v14, v26
                                        ; implicit-def: $vgpr14
	v_cmpx_ne_u32_e64 v19, v23
	s_xor_b32 s16, exec_lo, s16
; %bb.6872:                             ;   in Loop: Header=BB6_6449 Depth=4
	v_cmp_lt_u32_e32 vcc_lo, 0xffffff, v15
	v_sub_nc_u32_e32 v14, v19, v23
	v_cndmask_b32_e64 v19, 0, 1, vcc_lo
	v_add_co_ci_u32_e64 v14, null, 0, v14, vcc_lo
	v_lshrrev_b32_e32 v15, v19, v15
; %bb.6873:                             ;   in Loop: Header=BB6_6449 Depth=4
	s_andn2_saveexec_b32 s16, s16
; %bb.6874:                             ;   in Loop: Header=BB6_6449 Depth=4
	v_bfe_u32 v14, v15, 23, 1
; %bb.6875:                             ;   in Loop: Header=BB6_6449 Depth=4
	s_or_b32 exec_lo, exec_lo, s16
	v_lshrrev_b32_e32 v15, 21, v15
	v_cmp_gt_i32_e32 vcc_lo, 32, v14
	v_min_i32_e32 v19, 31, v14
	v_and_b32_sdwa v7, v7, v117 dst_sel:DWORD dst_unused:UNUSED_PAD src0_sel:BYTE_3 src1_sel:DWORD
	v_cndmask_b32_e32 v15, 3, v15, vcc_lo
	v_lshlrev_b32_e32 v19, 2, v19
	v_and_b32_e32 v23, 3, v15
	v_or_b32_e32 v14, v14, v15
	v_or3_b32 v7, v19, v7, v23
	v_cmp_ne_u32_e32 vcc_lo, 0, v14
	v_cndmask_b32_e32 v15, 0, v7, vcc_lo
.LBB6_6876:                             ;   in Loop: Header=BB6_6449 Depth=4
	s_or_b32 exec_lo, exec_lo, s72
.LBB6_6877:                             ;   in Loop: Header=BB6_6449 Depth=4
	s_or_b32 exec_lo, exec_lo, s63
	flat_load_ubyte v7, v[8:9] offset:960 slc
	s_mov_b32 s16, 0
	s_mov_b32 s63, exec_lo
	s_waitcnt vmcnt(0) lgkmcnt(0)
	v_cmpx_lt_i16_e32 0x7f, v7
	s_xor_b32 s63, exec_lo, s63
	s_cbranch_execz .LBB6_7603
; %bb.6878:                             ;   in Loop: Header=BB6_6449 Depth=4
	s_mov_b32 s16, -1
	s_mov_b32 s72, exec_lo
	v_cmpx_eq_u16_e32 0x80, v7
; %bb.6879:                             ;   in Loop: Header=BB6_6449 Depth=4
	s_xor_b32 s16, exec_lo, -1
; %bb.6880:                             ;   in Loop: Header=BB6_6449 Depth=4
	s_or_b32 exec_lo, exec_lo, s72
	s_and_b32 s16, s16, exec_lo
	s_or_saveexec_b32 s63, s63
	v_mov_b32_e32 v14, 0x7f800001
	s_xor_b32 exec_lo, exec_lo, s63
	s_cbranch_execnz .LBB6_7604
.LBB6_6881:                             ;   in Loop: Header=BB6_6449 Depth=4
	s_or_b32 exec_lo, exec_lo, s63
	s_and_saveexec_b32 s63, s16
	s_cbranch_execz .LBB6_6883
.LBB6_6882:                             ;   in Loop: Header=BB6_6449 Depth=4
	v_and_b32_e32 v14, 0xffff, v7
	v_lshlrev_b32_e32 v7, 24, v7
	v_and_b32_e32 v19, 3, v14
	v_bfe_u32 v30, v14, 2, 5
	v_and_b32_e32 v7, 0x80000000, v7
	v_ffbh_u32_e32 v23, v19
	v_cmp_eq_u32_e32 vcc_lo, 0, v30
	v_min_u32_e32 v23, 32, v23
	v_subrev_nc_u32_e32 v26, 29, v23
	v_sub_nc_u32_e32 v23, 30, v23
	v_lshlrev_b32_e32 v14, v26, v14
	v_cndmask_b32_e32 v23, v30, v23, vcc_lo
	v_and_b32_e32 v14, 3, v14
	v_cndmask_b32_e32 v14, v19, v14, vcc_lo
	v_lshl_add_u32 v19, v23, 23, 0x37800000
	v_lshlrev_b32_e32 v14, 21, v14
	v_or3_b32 v14, v7, v19, v14
.LBB6_6883:                             ;   in Loop: Header=BB6_6449 Depth=4
	s_or_b32 exec_lo, exec_lo, s63
	v_mul_f32_e32 v7, v6, v14
	v_and_b32_e32 v14, 0x7f800000, v7
	v_cmp_ne_u32_e32 vcc_lo, 0x7f800000, v14
	v_mov_b32_e32 v14, 0x80
	s_and_saveexec_b32 s63, vcc_lo
	s_cbranch_execz .LBB6_6891
; %bb.6884:                             ;   in Loop: Header=BB6_6449 Depth=4
	v_mov_b32_e32 v14, 0
	s_mov_b32 s72, exec_lo
	v_cmpx_ne_u32_e32 0, v7
	s_cbranch_execz .LBB6_6890
; %bb.6885:                             ;   in Loop: Header=BB6_6449 Depth=4
	v_bfe_u32 v14, v7, 23, 8
	v_and_b32_e32 v19, 0x7fffff, v7
	v_sub_nc_u32_e32 v23, 0x70, v14
	v_cmp_gt_u32_e32 vcc_lo, 0x71, v14
	v_or_b32_e32 v26, 0x800000, v19
	v_cndmask_b32_e32 v23, 0, v23, vcc_lo
	v_cmp_eq_u32_e32 vcc_lo, 0, v14
	v_add_nc_u32_e32 v14, 0xffffff91, v14
	v_cndmask_b32_e64 v23, v23, 0x6f, vcc_lo
	v_cndmask_b32_e32 v19, v26, v19, vcc_lo
	v_cndmask_b32_e64 v14, v14, 0xffffff92, vcc_lo
	v_lshl_add_u32 v26, 0x200000, v23, -1
	v_lshrrev_b32_e32 v30, v23, v19
	v_lshlrev_b32_e64 v54, v23, 0x100000
	v_add_nc_u32_e32 v23, v23, v14
	v_and_b32_e32 v19, v26, v19
	v_bfe_u32 v50, v30, 21, 1
	v_cmp_eq_u32_e64 s16, v19, v54
	v_add_nc_u32_e32 v26, -1, v50
	v_cndmask_b32_e64 v19, 0, v26, s16
	v_lshrrev_b32_e32 v26, 23, v30
	s_mov_b32 s16, exec_lo
	v_add_nc_u32_e32 v19, v19, v30
	v_xor_b32_e32 v26, 1, v26
	v_and_b32_e32 v14, 0x1fffff, v19
	v_add_nc_u32_e32 v19, v14, v30
                                        ; implicit-def: $vgpr14
	v_cmpx_ne_u32_e64 v23, v26
	s_xor_b32 s16, exec_lo, s16
; %bb.6886:                             ;   in Loop: Header=BB6_6449 Depth=4
	v_cmp_lt_u32_e32 vcc_lo, 0xffffff, v19
	v_sub_nc_u32_e32 v14, v23, v26
	v_cndmask_b32_e64 v23, 0, 1, vcc_lo
	v_add_co_ci_u32_e64 v14, null, 0, v14, vcc_lo
	v_lshrrev_b32_e32 v19, v23, v19
; %bb.6887:                             ;   in Loop: Header=BB6_6449 Depth=4
	s_andn2_saveexec_b32 s16, s16
; %bb.6888:                             ;   in Loop: Header=BB6_6449 Depth=4
	v_bfe_u32 v14, v19, 23, 1
; %bb.6889:                             ;   in Loop: Header=BB6_6449 Depth=4
	s_or_b32 exec_lo, exec_lo, s16
	v_lshrrev_b32_e32 v19, 21, v19
	v_cmp_gt_i32_e32 vcc_lo, 32, v14
	v_min_i32_e32 v23, 31, v14
	v_and_b32_sdwa v7, v7, v117 dst_sel:DWORD dst_unused:UNUSED_PAD src0_sel:BYTE_3 src1_sel:DWORD
	v_cndmask_b32_e32 v19, 3, v19, vcc_lo
	v_lshlrev_b32_e32 v23, 2, v23
	v_and_b32_e32 v26, 3, v19
	v_or_b32_e32 v14, v14, v19
	v_or3_b32 v7, v23, v7, v26
	v_cmp_ne_u32_e32 vcc_lo, 0, v14
	v_cndmask_b32_e32 v14, 0, v7, vcc_lo
.LBB6_6890:                             ;   in Loop: Header=BB6_6449 Depth=4
	s_or_b32 exec_lo, exec_lo, s72
.LBB6_6891:                             ;   in Loop: Header=BB6_6449 Depth=4
	s_or_b32 exec_lo, exec_lo, s63
	flat_load_ubyte v7, v[8:9] offset:992 slc
	s_mov_b32 s16, 0
	s_mov_b32 s63, exec_lo
	s_waitcnt vmcnt(0) lgkmcnt(0)
	v_cmpx_lt_i16_e32 0x7f, v7
	s_xor_b32 s63, exec_lo, s63
	s_cbranch_execz .LBB6_7605
; %bb.6892:                             ;   in Loop: Header=BB6_6449 Depth=4
	s_mov_b32 s16, -1
	s_mov_b32 s72, exec_lo
	v_cmpx_eq_u16_e32 0x80, v7
; %bb.6893:                             ;   in Loop: Header=BB6_6449 Depth=4
	s_xor_b32 s16, exec_lo, -1
; %bb.6894:                             ;   in Loop: Header=BB6_6449 Depth=4
	s_or_b32 exec_lo, exec_lo, s72
	s_and_b32 s16, s16, exec_lo
	s_or_saveexec_b32 s63, s63
	v_mov_b32_e32 v19, 0x7f800001
	s_xor_b32 exec_lo, exec_lo, s63
	s_cbranch_execnz .LBB6_7606
.LBB6_6895:                             ;   in Loop: Header=BB6_6449 Depth=4
	s_or_b32 exec_lo, exec_lo, s63
	s_and_saveexec_b32 s63, s16
	s_cbranch_execz .LBB6_6897
.LBB6_6896:                             ;   in Loop: Header=BB6_6449 Depth=4
	v_and_b32_e32 v19, 0xffff, v7
	v_lshlrev_b32_e32 v7, 24, v7
	v_and_b32_e32 v23, 3, v19
	v_bfe_u32 v50, v19, 2, 5
	v_and_b32_e32 v7, 0x80000000, v7
	v_ffbh_u32_e32 v26, v23
	v_cmp_eq_u32_e32 vcc_lo, 0, v50
	v_min_u32_e32 v26, 32, v26
	v_subrev_nc_u32_e32 v30, 29, v26
	v_sub_nc_u32_e32 v26, 30, v26
	v_lshlrev_b32_e32 v19, v30, v19
	v_cndmask_b32_e32 v26, v50, v26, vcc_lo
	v_and_b32_e32 v19, 3, v19
	v_cndmask_b32_e32 v19, v23, v19, vcc_lo
	v_lshl_add_u32 v23, v26, 23, 0x37800000
	v_lshlrev_b32_e32 v19, 21, v19
	v_or3_b32 v19, v7, v23, v19
.LBB6_6897:                             ;   in Loop: Header=BB6_6449 Depth=4
	s_or_b32 exec_lo, exec_lo, s63
	v_mul_f32_e32 v6, v6, v19
	v_and_b32_e32 v7, 0x7f800000, v6
	v_cmp_ne_u32_e32 vcc_lo, 0x7f800000, v7
	v_mov_b32_e32 v7, 0x80
	s_and_saveexec_b32 s63, vcc_lo
	s_cbranch_execz .LBB6_6905
; %bb.6898:                             ;   in Loop: Header=BB6_6449 Depth=4
	v_mov_b32_e32 v7, 0
	s_mov_b32 s72, exec_lo
	v_cmpx_ne_u32_e32 0, v6
	s_cbranch_execz .LBB6_6904
; %bb.6899:                             ;   in Loop: Header=BB6_6449 Depth=4
	v_bfe_u32 v7, v6, 23, 8
	v_and_b32_e32 v19, 0x7fffff, v6
	v_sub_nc_u32_e32 v23, 0x70, v7
	v_cmp_gt_u32_e32 vcc_lo, 0x71, v7
	v_or_b32_e32 v26, 0x800000, v19
	v_cndmask_b32_e32 v23, 0, v23, vcc_lo
	v_cmp_eq_u32_e32 vcc_lo, 0, v7
	v_add_nc_u32_e32 v7, 0xffffff91, v7
	v_cndmask_b32_e64 v23, v23, 0x6f, vcc_lo
	v_cndmask_b32_e32 v19, v26, v19, vcc_lo
	v_cndmask_b32_e64 v7, v7, 0xffffff92, vcc_lo
	v_lshl_add_u32 v26, 0x200000, v23, -1
	v_lshrrev_b32_e32 v30, v23, v19
	v_lshlrev_b32_e64 v54, v23, 0x100000
	v_add_nc_u32_e32 v23, v23, v7
	v_and_b32_e32 v19, v26, v19
	v_bfe_u32 v50, v30, 21, 1
	v_cmp_eq_u32_e64 s16, v19, v54
	v_add_nc_u32_e32 v26, -1, v50
	v_cndmask_b32_e64 v19, 0, v26, s16
	v_lshrrev_b32_e32 v26, 23, v30
	s_mov_b32 s16, exec_lo
	v_add_nc_u32_e32 v19, v19, v30
	v_xor_b32_e32 v26, 1, v26
	v_and_b32_e32 v7, 0x1fffff, v19
	v_add_nc_u32_e32 v19, v7, v30
                                        ; implicit-def: $vgpr7
	v_cmpx_ne_u32_e64 v23, v26
	s_xor_b32 s16, exec_lo, s16
; %bb.6900:                             ;   in Loop: Header=BB6_6449 Depth=4
	v_cmp_lt_u32_e32 vcc_lo, 0xffffff, v19
	v_sub_nc_u32_e32 v7, v23, v26
	v_cndmask_b32_e64 v23, 0, 1, vcc_lo
	v_add_co_ci_u32_e64 v7, null, 0, v7, vcc_lo
	v_lshrrev_b32_e32 v19, v23, v19
; %bb.6901:                             ;   in Loop: Header=BB6_6449 Depth=4
	s_andn2_saveexec_b32 s16, s16
; %bb.6902:                             ;   in Loop: Header=BB6_6449 Depth=4
	v_bfe_u32 v7, v19, 23, 1
; %bb.6903:                             ;   in Loop: Header=BB6_6449 Depth=4
	s_or_b32 exec_lo, exec_lo, s16
	v_lshrrev_b32_e32 v19, 21, v19
	v_cmp_gt_i32_e32 vcc_lo, 32, v7
	v_min_i32_e32 v23, 31, v7
	v_and_b32_sdwa v6, v6, v117 dst_sel:DWORD dst_unused:UNUSED_PAD src0_sel:BYTE_3 src1_sel:DWORD
	v_cndmask_b32_e32 v19, 3, v19, vcc_lo
	v_lshlrev_b32_e32 v23, 2, v23
	v_and_b32_e32 v26, 3, v19
	v_or_b32_e32 v7, v7, v19
	v_or3_b32 v6, v23, v6, v26
	v_cmp_ne_u32_e32 vcc_lo, 0, v7
	v_cndmask_b32_e32 v7, 0, v6, vcc_lo
.LBB6_6904:                             ;   in Loop: Header=BB6_6449 Depth=4
	s_or_b32 exec_lo, exec_lo, s72
.LBB6_6905:                             ;   in Loop: Header=BB6_6449 Depth=4
	s_or_b32 exec_lo, exec_lo, s63
	s_clause 0x1f
	flat_load_ubyte v78, v[10:11] slc
	flat_load_ubyte v77, v[10:11] offset:32 slc
	flat_load_ubyte v76, v[10:11] offset:64 slc
	;; [unrolled: 1-line block ×31, first 2 shown]
	v_cmp_gt_i16_sdwa s16, v18, v116 src0_sel:BYTE_0 src1_sel:DWORD
	s_mov_b32 s63, 0
	s_and_saveexec_b32 s72, s16
	s_xor_b32 s16, exec_lo, s72
	s_cbranch_execz .LBB6_7607
; %bb.6906:                             ;   in Loop: Header=BB6_6449 Depth=4
	v_cmp_eq_u16_sdwa s73, v18, v117 src0_sel:BYTE_0 src1_sel:DWORD
	s_mov_b32 s63, -1
	s_and_saveexec_b32 s72, s73
; %bb.6907:                             ;   in Loop: Header=BB6_6449 Depth=4
	s_xor_b32 s63, exec_lo, -1
; %bb.6908:                             ;   in Loop: Header=BB6_6449 Depth=4
	s_or_b32 exec_lo, exec_lo, s72
	s_and_b32 s63, s63, exec_lo
	s_or_saveexec_b32 s16, s16
	v_mov_b32_e32 v79, 0x7f800001
	s_xor_b32 exec_lo, exec_lo, s16
	s_cbranch_execnz .LBB6_7608
.LBB6_6909:                             ;   in Loop: Header=BB6_6449 Depth=4
	s_or_b32 exec_lo, exec_lo, s16
	s_and_saveexec_b32 s16, s63
	s_cbranch_execz .LBB6_6911
.LBB6_6910:                             ;   in Loop: Header=BB6_6449 Depth=4
	v_and_b32_e32 v79, 3, v18
	v_lshrrev_b16 v89, 2, v18
	v_ffbh_u32_e32 v88, v79
	v_and_b32_e32 v89, 31, v89
	v_min_u32_e32 v88, 32, v88
	v_cmp_eq_u32_e32 vcc_lo, 0, v89
	v_subrev_nc_u32_e32 v90, 29, v88
	v_sub_nc_u32_e32 v88, 30, v88
	v_lshlrev_b32_e32 v90, v90, v18
	v_lshlrev_b32_e32 v18, 24, v18
	v_cndmask_b32_e32 v88, v89, v88, vcc_lo
	v_and_b32_e32 v90, 3, v90
	v_and_b32_e32 v18, 0x80000000, v18
	v_lshl_add_u32 v88, v88, 23, 0x37800000
	v_cndmask_b32_e32 v79, v79, v90, vcc_lo
	v_lshlrev_b32_e32 v79, 21, v79
	v_or3_b32 v79, v18, v88, v79
.LBB6_6911:                             ;   in Loop: Header=BB6_6449 Depth=4
	s_or_b32 exec_lo, exec_lo, s16
	s_waitcnt vmcnt(31) lgkmcnt(31)
	v_cmp_gt_i16_sdwa s16, v78, v116 src0_sel:BYTE_0 src1_sel:DWORD
	s_mov_b32 s63, 0
	s_and_saveexec_b32 s72, s16
	s_xor_b32 s16, exec_lo, s72
	s_cbranch_execz .LBB6_7609
; %bb.6912:                             ;   in Loop: Header=BB6_6449 Depth=4
	v_cmp_eq_u16_sdwa s73, v78, v117 src0_sel:BYTE_0 src1_sel:DWORD
	s_mov_b32 s63, -1
	s_and_saveexec_b32 s72, s73
; %bb.6913:                             ;   in Loop: Header=BB6_6449 Depth=4
	s_xor_b32 s63, exec_lo, -1
; %bb.6914:                             ;   in Loop: Header=BB6_6449 Depth=4
	s_or_b32 exec_lo, exec_lo, s72
	s_and_b32 s63, s63, exec_lo
	s_or_saveexec_b32 s16, s16
	v_mov_b32_e32 v18, 0x7f800001
	s_xor_b32 exec_lo, exec_lo, s16
	s_cbranch_execnz .LBB6_7610
.LBB6_6915:                             ;   in Loop: Header=BB6_6449 Depth=4
	s_or_b32 exec_lo, exec_lo, s16
	s_and_saveexec_b32 s16, s63
	s_cbranch_execz .LBB6_6917
.LBB6_6916:                             ;   in Loop: Header=BB6_6449 Depth=4
	v_and_b32_e32 v18, 3, v78
	v_lshrrev_b16 v89, 2, v78
	v_ffbh_u32_e32 v88, v18
	v_and_b32_e32 v89, 31, v89
	v_min_u32_e32 v88, 32, v88
	v_cmp_eq_u32_e32 vcc_lo, 0, v89
	v_subrev_nc_u32_e32 v90, 29, v88
	v_sub_nc_u32_e32 v88, 30, v88
	v_lshlrev_b32_e32 v90, v90, v78
	v_lshlrev_b32_e32 v78, 24, v78
	v_cndmask_b32_e32 v88, v89, v88, vcc_lo
	v_and_b32_e32 v90, 3, v90
	v_and_b32_e32 v78, 0x80000000, v78
	v_lshl_add_u32 v88, v88, 23, 0x37800000
	v_cndmask_b32_e32 v18, v18, v90, vcc_lo
	v_lshlrev_b32_e32 v18, 21, v18
	v_or3_b32 v18, v78, v88, v18
.LBB6_6917:                             ;   in Loop: Header=BB6_6449 Depth=4
	s_or_b32 exec_lo, exec_lo, s16
	v_add_f32_e32 v78, v79, v18
	v_and_b32_e32 v18, 0x7f800000, v78
	v_cmp_ne_u32_e32 vcc_lo, 0x7f800000, v18
	v_mov_b32_e32 v18, 0x80
	s_and_saveexec_b32 s63, vcc_lo
	s_cbranch_execz .LBB6_6925
; %bb.6918:                             ;   in Loop: Header=BB6_6449 Depth=4
	v_mov_b32_e32 v18, 0
	s_mov_b32 s72, exec_lo
	v_cmpx_ne_u32_e32 0, v78
	s_cbranch_execz .LBB6_6924
; %bb.6919:                             ;   in Loop: Header=BB6_6449 Depth=4
	v_bfe_u32 v79, v78, 23, 8
	v_and_b32_e32 v18, 0x7fffff, v78
	v_cmp_gt_u32_e64 s16, 0x71, v79
	v_sub_nc_u32_e32 v88, 0x70, v79
	v_cmp_eq_u32_e32 vcc_lo, 0, v79
	v_or_b32_e32 v89, 0x800000, v18
	v_cndmask_b32_e64 v88, 0, v88, s16
	v_cndmask_b32_e32 v18, v89, v18, vcc_lo
	v_cndmask_b32_e64 v88, v88, 0x6f, vcc_lo
	v_lshl_add_u32 v89, 0x200000, v88, -1
	v_lshlrev_b32_e64 v90, v88, 0x100000
	v_and_b32_e32 v89, v89, v18
	v_cmp_eq_u32_e64 s16, v89, v90
	v_lshrrev_b32_e32 v89, v88, v18
	v_add_nc_u32_e32 v18, 0xffffff91, v79
	v_lshrrev_b32_e32 v79, 23, v89
	v_cndmask_b32_e64 v18, v18, 0xffffff92, vcc_lo
	v_xor_b32_e32 v79, 1, v79
	v_add_nc_u32_e32 v18, v88, v18
	v_bfe_u32 v88, v89, 21, 1
	v_add_nc_u32_e32 v88, -1, v88
	v_cndmask_b32_e64 v88, 0, v88, s16
	s_mov_b32 s16, exec_lo
	v_add_nc_u32_e32 v88, v88, v89
	v_and_b32_e32 v88, 0x1fffff, v88
	v_add_nc_u32_e32 v88, v88, v89
                                        ; implicit-def: $vgpr89
	v_cmpx_ne_u32_e64 v18, v79
	s_xor_b32 s16, exec_lo, s16
; %bb.6920:                             ;   in Loop: Header=BB6_6449 Depth=4
	v_cmp_lt_u32_e32 vcc_lo, 0xffffff, v88
	v_sub_nc_u32_e32 v18, v18, v79
	v_cndmask_b32_e64 v79, 0, 1, vcc_lo
	v_add_co_ci_u32_e64 v89, null, 0, v18, vcc_lo
	v_lshrrev_b32_e32 v88, v79, v88
; %bb.6921:                             ;   in Loop: Header=BB6_6449 Depth=4
	s_andn2_saveexec_b32 s16, s16
; %bb.6922:                             ;   in Loop: Header=BB6_6449 Depth=4
	v_bfe_u32 v89, v88, 23, 1
; %bb.6923:                             ;   in Loop: Header=BB6_6449 Depth=4
	s_or_b32 exec_lo, exec_lo, s16
	v_and_b32_sdwa v18, v78, v117 dst_sel:DWORD dst_unused:UNUSED_PAD src0_sel:BYTE_3 src1_sel:DWORD
	v_lshrrev_b32_e32 v78, 21, v88
	v_cmp_gt_i32_e32 vcc_lo, 32, v89
	v_min_i32_e32 v79, 31, v89
	v_cndmask_b32_e32 v78, 3, v78, vcc_lo
	v_lshlrev_b32_e32 v79, 2, v79
	v_or_b32_e32 v88, v89, v78
	v_and_b32_e32 v78, 3, v78
	v_cmp_ne_u32_e32 vcc_lo, 0, v88
	v_or3_b32 v18, v79, v18, v78
	v_cndmask_b32_e32 v18, 0, v18, vcc_lo
.LBB6_6924:                             ;   in Loop: Header=BB6_6449 Depth=4
	s_or_b32 exec_lo, exec_lo, s72
.LBB6_6925:                             ;   in Loop: Header=BB6_6449 Depth=4
	s_or_b32 exec_lo, exec_lo, s63
	v_cmp_gt_i16_sdwa s16, v22, v116 src0_sel:BYTE_0 src1_sel:DWORD
	s_mov_b32 s63, 0
	s_and_saveexec_b32 s72, s16
	s_xor_b32 s16, exec_lo, s72
	s_cbranch_execz .LBB6_7611
; %bb.6926:                             ;   in Loop: Header=BB6_6449 Depth=4
	v_cmp_eq_u16_sdwa s73, v22, v117 src0_sel:BYTE_0 src1_sel:DWORD
	s_mov_b32 s63, -1
	s_and_saveexec_b32 s72, s73
; %bb.6927:                             ;   in Loop: Header=BB6_6449 Depth=4
	s_xor_b32 s63, exec_lo, -1
; %bb.6928:                             ;   in Loop: Header=BB6_6449 Depth=4
	s_or_b32 exec_lo, exec_lo, s72
	s_and_b32 s63, s63, exec_lo
	s_or_saveexec_b32 s16, s16
	v_mov_b32_e32 v78, 0x7f800001
	s_xor_b32 exec_lo, exec_lo, s16
	s_cbranch_execnz .LBB6_7612
.LBB6_6929:                             ;   in Loop: Header=BB6_6449 Depth=4
	s_or_b32 exec_lo, exec_lo, s16
	s_and_saveexec_b32 s16, s63
	s_cbranch_execz .LBB6_6931
.LBB6_6930:                             ;   in Loop: Header=BB6_6449 Depth=4
	v_and_b32_e32 v78, 3, v22
	v_lshrrev_b16 v88, 2, v22
	v_ffbh_u32_e32 v79, v78
	v_and_b32_e32 v88, 31, v88
	v_min_u32_e32 v79, 32, v79
	v_cmp_eq_u32_e32 vcc_lo, 0, v88
	v_subrev_nc_u32_e32 v89, 29, v79
	v_sub_nc_u32_e32 v79, 30, v79
	v_lshlrev_b32_e32 v89, v89, v22
	v_lshlrev_b32_e32 v22, 24, v22
	v_cndmask_b32_e32 v79, v88, v79, vcc_lo
	v_and_b32_e32 v89, 3, v89
	v_and_b32_e32 v22, 0x80000000, v22
	v_lshl_add_u32 v79, v79, 23, 0x37800000
	v_cndmask_b32_e32 v78, v78, v89, vcc_lo
	v_lshlrev_b32_e32 v78, 21, v78
	v_or3_b32 v78, v22, v79, v78
.LBB6_6931:                             ;   in Loop: Header=BB6_6449 Depth=4
	s_or_b32 exec_lo, exec_lo, s16
	s_waitcnt vmcnt(30) lgkmcnt(30)
	v_cmp_gt_i16_sdwa s63, v77, v116 src0_sel:BYTE_0 src1_sel:DWORD
	s_mov_b32 s16, 0
	s_and_saveexec_b32 s72, s63
	s_xor_b32 s63, exec_lo, s72
	s_cbranch_execz .LBB6_7613
; %bb.6932:                             ;   in Loop: Header=BB6_6449 Depth=4
	v_cmp_eq_u16_sdwa s73, v77, v117 src0_sel:BYTE_0 src1_sel:DWORD
	s_mov_b32 s16, -1
	s_and_saveexec_b32 s72, s73
; %bb.6933:                             ;   in Loop: Header=BB6_6449 Depth=4
	s_xor_b32 s16, exec_lo, -1
; %bb.6934:                             ;   in Loop: Header=BB6_6449 Depth=4
	s_or_b32 exec_lo, exec_lo, s72
	s_and_b32 s16, s16, exec_lo
	s_or_saveexec_b32 s63, s63
	v_mov_b32_e32 v22, 0x7f800001
	s_xor_b32 exec_lo, exec_lo, s63
	s_cbranch_execnz .LBB6_7614
.LBB6_6935:                             ;   in Loop: Header=BB6_6449 Depth=4
	s_or_b32 exec_lo, exec_lo, s63
	s_and_saveexec_b32 s63, s16
	s_cbranch_execz .LBB6_6937
.LBB6_6936:                             ;   in Loop: Header=BB6_6449 Depth=4
	v_and_b32_e32 v22, 3, v77
	v_lshrrev_b16 v88, 2, v77
	v_ffbh_u32_e32 v79, v22
	v_and_b32_e32 v88, 31, v88
	v_min_u32_e32 v79, 32, v79
	v_cmp_eq_u32_e32 vcc_lo, 0, v88
	v_subrev_nc_u32_e32 v89, 29, v79
	v_sub_nc_u32_e32 v79, 30, v79
	v_lshlrev_b32_e32 v89, v89, v77
	v_lshlrev_b32_e32 v77, 24, v77
	v_cndmask_b32_e32 v79, v88, v79, vcc_lo
	v_and_b32_e32 v89, 3, v89
	v_and_b32_e32 v77, 0x80000000, v77
	v_lshl_add_u32 v79, v79, 23, 0x37800000
	v_cndmask_b32_e32 v22, v22, v89, vcc_lo
	v_lshlrev_b32_e32 v22, 21, v22
	v_or3_b32 v22, v77, v79, v22
.LBB6_6937:                             ;   in Loop: Header=BB6_6449 Depth=4
	s_or_b32 exec_lo, exec_lo, s63
	v_add_f32_e32 v77, v78, v22
	v_and_b32_e32 v22, 0x7f800000, v77
	v_cmp_ne_u32_e32 vcc_lo, 0x7f800000, v22
	v_mov_b32_e32 v22, 0x80
	s_and_saveexec_b32 s63, vcc_lo
	s_cbranch_execz .LBB6_6945
; %bb.6938:                             ;   in Loop: Header=BB6_6449 Depth=4
	v_mov_b32_e32 v22, 0
	s_mov_b32 s72, exec_lo
	v_cmpx_ne_u32_e32 0, v77
	s_cbranch_execz .LBB6_6944
; %bb.6939:                             ;   in Loop: Header=BB6_6449 Depth=4
	v_bfe_u32 v78, v77, 23, 8
	v_and_b32_e32 v22, 0x7fffff, v77
	v_cmp_gt_u32_e64 s16, 0x71, v78
	v_sub_nc_u32_e32 v79, 0x70, v78
	v_cmp_eq_u32_e32 vcc_lo, 0, v78
	v_or_b32_e32 v88, 0x800000, v22
	v_cndmask_b32_e64 v79, 0, v79, s16
	v_cndmask_b32_e32 v22, v88, v22, vcc_lo
	v_cndmask_b32_e64 v79, v79, 0x6f, vcc_lo
	v_lshl_add_u32 v88, 0x200000, v79, -1
	v_lshlrev_b32_e64 v89, v79, 0x100000
	v_and_b32_e32 v88, v88, v22
	v_cmp_eq_u32_e64 s16, v88, v89
	v_lshrrev_b32_e32 v88, v79, v22
	v_add_nc_u32_e32 v22, 0xffffff91, v78
	v_lshrrev_b32_e32 v78, 23, v88
	v_cndmask_b32_e64 v22, v22, 0xffffff92, vcc_lo
	v_xor_b32_e32 v78, 1, v78
	v_add_nc_u32_e32 v22, v79, v22
	v_bfe_u32 v79, v88, 21, 1
	v_add_nc_u32_e32 v79, -1, v79
	v_cndmask_b32_e64 v79, 0, v79, s16
	s_mov_b32 s16, exec_lo
	v_add_nc_u32_e32 v79, v79, v88
	v_and_b32_e32 v79, 0x1fffff, v79
	v_add_nc_u32_e32 v79, v79, v88
                                        ; implicit-def: $vgpr88
	v_cmpx_ne_u32_e64 v22, v78
	s_xor_b32 s16, exec_lo, s16
; %bb.6940:                             ;   in Loop: Header=BB6_6449 Depth=4
	v_cmp_lt_u32_e32 vcc_lo, 0xffffff, v79
	v_sub_nc_u32_e32 v22, v22, v78
	v_cndmask_b32_e64 v78, 0, 1, vcc_lo
	v_add_co_ci_u32_e64 v88, null, 0, v22, vcc_lo
	v_lshrrev_b32_e32 v79, v78, v79
; %bb.6941:                             ;   in Loop: Header=BB6_6449 Depth=4
	s_andn2_saveexec_b32 s16, s16
; %bb.6942:                             ;   in Loop: Header=BB6_6449 Depth=4
	v_bfe_u32 v88, v79, 23, 1
; %bb.6943:                             ;   in Loop: Header=BB6_6449 Depth=4
	s_or_b32 exec_lo, exec_lo, s16
	v_and_b32_sdwa v22, v77, v117 dst_sel:DWORD dst_unused:UNUSED_PAD src0_sel:BYTE_3 src1_sel:DWORD
	v_lshrrev_b32_e32 v77, 21, v79
	v_cmp_gt_i32_e32 vcc_lo, 32, v88
	v_min_i32_e32 v78, 31, v88
	v_cndmask_b32_e32 v77, 3, v77, vcc_lo
	v_lshlrev_b32_e32 v78, 2, v78
	v_or_b32_e32 v79, v88, v77
	v_and_b32_e32 v77, 3, v77
	v_cmp_ne_u32_e32 vcc_lo, 0, v79
	v_or3_b32 v22, v78, v22, v77
	v_cndmask_b32_e32 v22, 0, v22, vcc_lo
.LBB6_6944:                             ;   in Loop: Header=BB6_6449 Depth=4
	s_or_b32 exec_lo, exec_lo, s72
.LBB6_6945:                             ;   in Loop: Header=BB6_6449 Depth=4
	s_or_b32 exec_lo, exec_lo, s63
	v_cmp_gt_i16_sdwa s16, v27, v116 src0_sel:BYTE_0 src1_sel:DWORD
	s_mov_b32 s63, 0
	s_and_saveexec_b32 s72, s16
	s_xor_b32 s16, exec_lo, s72
	s_cbranch_execz .LBB6_7615
; %bb.6946:                             ;   in Loop: Header=BB6_6449 Depth=4
	v_cmp_eq_u16_sdwa s73, v27, v117 src0_sel:BYTE_0 src1_sel:DWORD
	s_mov_b32 s63, -1
	s_and_saveexec_b32 s72, s73
; %bb.6947:                             ;   in Loop: Header=BB6_6449 Depth=4
	s_xor_b32 s63, exec_lo, -1
; %bb.6948:                             ;   in Loop: Header=BB6_6449 Depth=4
	s_or_b32 exec_lo, exec_lo, s72
	s_and_b32 s63, s63, exec_lo
	s_or_saveexec_b32 s16, s16
	v_mov_b32_e32 v77, 0x7f800001
	s_xor_b32 exec_lo, exec_lo, s16
	s_cbranch_execnz .LBB6_7616
.LBB6_6949:                             ;   in Loop: Header=BB6_6449 Depth=4
	s_or_b32 exec_lo, exec_lo, s16
	s_and_saveexec_b32 s16, s63
	s_cbranch_execz .LBB6_6951
.LBB6_6950:                             ;   in Loop: Header=BB6_6449 Depth=4
	v_and_b32_e32 v77, 3, v27
	v_lshrrev_b16 v79, 2, v27
	v_ffbh_u32_e32 v78, v77
	v_and_b32_e32 v79, 31, v79
	v_min_u32_e32 v78, 32, v78
	v_cmp_eq_u32_e32 vcc_lo, 0, v79
	v_subrev_nc_u32_e32 v88, 29, v78
	v_sub_nc_u32_e32 v78, 30, v78
	v_lshlrev_b32_e32 v88, v88, v27
	v_lshlrev_b32_e32 v27, 24, v27
	v_cndmask_b32_e32 v78, v79, v78, vcc_lo
	v_and_b32_e32 v88, 3, v88
	v_and_b32_e32 v27, 0x80000000, v27
	v_lshl_add_u32 v78, v78, 23, 0x37800000
	v_cndmask_b32_e32 v77, v77, v88, vcc_lo
	v_lshlrev_b32_e32 v77, 21, v77
	v_or3_b32 v77, v27, v78, v77
.LBB6_6951:                             ;   in Loop: Header=BB6_6449 Depth=4
	s_or_b32 exec_lo, exec_lo, s16
	s_waitcnt vmcnt(29) lgkmcnt(29)
	v_cmp_gt_i16_sdwa s63, v76, v116 src0_sel:BYTE_0 src1_sel:DWORD
	s_mov_b32 s16, 0
	s_and_saveexec_b32 s72, s63
	s_xor_b32 s63, exec_lo, s72
	s_cbranch_execz .LBB6_7617
; %bb.6952:                             ;   in Loop: Header=BB6_6449 Depth=4
	v_cmp_eq_u16_sdwa s73, v76, v117 src0_sel:BYTE_0 src1_sel:DWORD
	s_mov_b32 s16, -1
	s_and_saveexec_b32 s72, s73
; %bb.6953:                             ;   in Loop: Header=BB6_6449 Depth=4
	s_xor_b32 s16, exec_lo, -1
; %bb.6954:                             ;   in Loop: Header=BB6_6449 Depth=4
	s_or_b32 exec_lo, exec_lo, s72
	s_and_b32 s16, s16, exec_lo
	s_or_saveexec_b32 s63, s63
	v_mov_b32_e32 v27, 0x7f800001
	s_xor_b32 exec_lo, exec_lo, s63
	s_cbranch_execnz .LBB6_7618
.LBB6_6955:                             ;   in Loop: Header=BB6_6449 Depth=4
	s_or_b32 exec_lo, exec_lo, s63
	s_and_saveexec_b32 s63, s16
	s_cbranch_execz .LBB6_6957
.LBB6_6956:                             ;   in Loop: Header=BB6_6449 Depth=4
	v_and_b32_e32 v27, 3, v76
	v_lshrrev_b16 v79, 2, v76
	v_ffbh_u32_e32 v78, v27
	v_and_b32_e32 v79, 31, v79
	v_min_u32_e32 v78, 32, v78
	v_cmp_eq_u32_e32 vcc_lo, 0, v79
	v_subrev_nc_u32_e32 v88, 29, v78
	v_sub_nc_u32_e32 v78, 30, v78
	v_lshlrev_b32_e32 v88, v88, v76
	v_lshlrev_b32_e32 v76, 24, v76
	v_cndmask_b32_e32 v78, v79, v78, vcc_lo
	v_and_b32_e32 v88, 3, v88
	v_and_b32_e32 v76, 0x80000000, v76
	v_lshl_add_u32 v78, v78, 23, 0x37800000
	v_cndmask_b32_e32 v27, v27, v88, vcc_lo
	v_lshlrev_b32_e32 v27, 21, v27
	v_or3_b32 v27, v76, v78, v27
.LBB6_6957:                             ;   in Loop: Header=BB6_6449 Depth=4
	s_or_b32 exec_lo, exec_lo, s63
	v_add_f32_e32 v76, v77, v27
	v_and_b32_e32 v27, 0x7f800000, v76
	v_cmp_ne_u32_e32 vcc_lo, 0x7f800000, v27
	v_mov_b32_e32 v27, 0x80
	s_and_saveexec_b32 s63, vcc_lo
	s_cbranch_execz .LBB6_6965
; %bb.6958:                             ;   in Loop: Header=BB6_6449 Depth=4
	v_mov_b32_e32 v27, 0
	s_mov_b32 s72, exec_lo
	v_cmpx_ne_u32_e32 0, v76
	s_cbranch_execz .LBB6_6964
; %bb.6959:                             ;   in Loop: Header=BB6_6449 Depth=4
	v_bfe_u32 v77, v76, 23, 8
	v_and_b32_e32 v27, 0x7fffff, v76
	v_cmp_gt_u32_e64 s16, 0x71, v77
	v_sub_nc_u32_e32 v78, 0x70, v77
	v_cmp_eq_u32_e32 vcc_lo, 0, v77
	v_or_b32_e32 v79, 0x800000, v27
	v_cndmask_b32_e64 v78, 0, v78, s16
	v_cndmask_b32_e32 v27, v79, v27, vcc_lo
	v_cndmask_b32_e64 v78, v78, 0x6f, vcc_lo
	v_lshl_add_u32 v79, 0x200000, v78, -1
	v_lshlrev_b32_e64 v88, v78, 0x100000
	v_and_b32_e32 v79, v79, v27
	v_cmp_eq_u32_e64 s16, v79, v88
	v_lshrrev_b32_e32 v79, v78, v27
	v_add_nc_u32_e32 v27, 0xffffff91, v77
	v_lshrrev_b32_e32 v77, 23, v79
	v_cndmask_b32_e64 v27, v27, 0xffffff92, vcc_lo
	v_xor_b32_e32 v77, 1, v77
	v_add_nc_u32_e32 v27, v78, v27
	v_bfe_u32 v78, v79, 21, 1
	v_add_nc_u32_e32 v78, -1, v78
	v_cndmask_b32_e64 v78, 0, v78, s16
	s_mov_b32 s16, exec_lo
	v_add_nc_u32_e32 v78, v78, v79
	v_and_b32_e32 v78, 0x1fffff, v78
	v_add_nc_u32_e32 v78, v78, v79
                                        ; implicit-def: $vgpr79
	v_cmpx_ne_u32_e64 v27, v77
	s_xor_b32 s16, exec_lo, s16
; %bb.6960:                             ;   in Loop: Header=BB6_6449 Depth=4
	v_cmp_lt_u32_e32 vcc_lo, 0xffffff, v78
	v_sub_nc_u32_e32 v27, v27, v77
	v_cndmask_b32_e64 v77, 0, 1, vcc_lo
	v_add_co_ci_u32_e64 v79, null, 0, v27, vcc_lo
	v_lshrrev_b32_e32 v78, v77, v78
; %bb.6961:                             ;   in Loop: Header=BB6_6449 Depth=4
	s_andn2_saveexec_b32 s16, s16
; %bb.6962:                             ;   in Loop: Header=BB6_6449 Depth=4
	v_bfe_u32 v79, v78, 23, 1
; %bb.6963:                             ;   in Loop: Header=BB6_6449 Depth=4
	s_or_b32 exec_lo, exec_lo, s16
	v_and_b32_sdwa v27, v76, v117 dst_sel:DWORD dst_unused:UNUSED_PAD src0_sel:BYTE_3 src1_sel:DWORD
	v_lshrrev_b32_e32 v76, 21, v78
	v_cmp_gt_i32_e32 vcc_lo, 32, v79
	v_min_i32_e32 v77, 31, v79
	v_cndmask_b32_e32 v76, 3, v76, vcc_lo
	v_lshlrev_b32_e32 v77, 2, v77
	v_or_b32_e32 v78, v79, v76
	v_and_b32_e32 v76, 3, v76
	v_cmp_ne_u32_e32 vcc_lo, 0, v78
	v_or3_b32 v27, v77, v27, v76
	v_cndmask_b32_e32 v27, 0, v27, vcc_lo
.LBB6_6964:                             ;   in Loop: Header=BB6_6449 Depth=4
	s_or_b32 exec_lo, exec_lo, s72
.LBB6_6965:                             ;   in Loop: Header=BB6_6449 Depth=4
	s_or_b32 exec_lo, exec_lo, s63
	v_cmp_gt_i16_sdwa s16, v31, v116 src0_sel:BYTE_0 src1_sel:DWORD
	s_mov_b32 s63, 0
	s_and_saveexec_b32 s72, s16
	s_xor_b32 s16, exec_lo, s72
	s_cbranch_execz .LBB6_7619
; %bb.6966:                             ;   in Loop: Header=BB6_6449 Depth=4
	v_cmp_eq_u16_sdwa s73, v31, v117 src0_sel:BYTE_0 src1_sel:DWORD
	s_mov_b32 s63, -1
	s_and_saveexec_b32 s72, s73
; %bb.6967:                             ;   in Loop: Header=BB6_6449 Depth=4
	s_xor_b32 s63, exec_lo, -1
; %bb.6968:                             ;   in Loop: Header=BB6_6449 Depth=4
	s_or_b32 exec_lo, exec_lo, s72
	s_and_b32 s63, s63, exec_lo
	s_or_saveexec_b32 s16, s16
	v_mov_b32_e32 v76, 0x7f800001
	s_xor_b32 exec_lo, exec_lo, s16
	s_cbranch_execnz .LBB6_7620
.LBB6_6969:                             ;   in Loop: Header=BB6_6449 Depth=4
	s_or_b32 exec_lo, exec_lo, s16
	s_and_saveexec_b32 s16, s63
	s_cbranch_execz .LBB6_6971
.LBB6_6970:                             ;   in Loop: Header=BB6_6449 Depth=4
	v_and_b32_e32 v76, 3, v31
	v_lshrrev_b16 v78, 2, v31
	v_ffbh_u32_e32 v77, v76
	v_and_b32_e32 v78, 31, v78
	v_min_u32_e32 v77, 32, v77
	v_cmp_eq_u32_e32 vcc_lo, 0, v78
	v_subrev_nc_u32_e32 v79, 29, v77
	v_sub_nc_u32_e32 v77, 30, v77
	v_lshlrev_b32_e32 v79, v79, v31
	v_lshlrev_b32_e32 v31, 24, v31
	v_cndmask_b32_e32 v77, v78, v77, vcc_lo
	v_and_b32_e32 v79, 3, v79
	v_and_b32_e32 v31, 0x80000000, v31
	v_lshl_add_u32 v77, v77, 23, 0x37800000
	v_cndmask_b32_e32 v76, v76, v79, vcc_lo
	v_lshlrev_b32_e32 v76, 21, v76
	v_or3_b32 v76, v31, v77, v76
.LBB6_6971:                             ;   in Loop: Header=BB6_6449 Depth=4
	s_or_b32 exec_lo, exec_lo, s16
	s_waitcnt vmcnt(28) lgkmcnt(28)
	v_cmp_gt_i16_sdwa s63, v75, v116 src0_sel:BYTE_0 src1_sel:DWORD
	s_mov_b32 s16, 0
	s_and_saveexec_b32 s72, s63
	s_xor_b32 s63, exec_lo, s72
	s_cbranch_execz .LBB6_7621
; %bb.6972:                             ;   in Loop: Header=BB6_6449 Depth=4
	v_cmp_eq_u16_sdwa s73, v75, v117 src0_sel:BYTE_0 src1_sel:DWORD
	s_mov_b32 s16, -1
	s_and_saveexec_b32 s72, s73
; %bb.6973:                             ;   in Loop: Header=BB6_6449 Depth=4
	s_xor_b32 s16, exec_lo, -1
; %bb.6974:                             ;   in Loop: Header=BB6_6449 Depth=4
	s_or_b32 exec_lo, exec_lo, s72
	s_and_b32 s16, s16, exec_lo
	s_or_saveexec_b32 s63, s63
	v_mov_b32_e32 v31, 0x7f800001
	s_xor_b32 exec_lo, exec_lo, s63
	s_cbranch_execnz .LBB6_7622
.LBB6_6975:                             ;   in Loop: Header=BB6_6449 Depth=4
	s_or_b32 exec_lo, exec_lo, s63
	s_and_saveexec_b32 s63, s16
	s_cbranch_execz .LBB6_6977
.LBB6_6976:                             ;   in Loop: Header=BB6_6449 Depth=4
	v_and_b32_e32 v31, 3, v75
	v_lshrrev_b16 v78, 2, v75
	v_ffbh_u32_e32 v77, v31
	v_and_b32_e32 v78, 31, v78
	v_min_u32_e32 v77, 32, v77
	v_cmp_eq_u32_e32 vcc_lo, 0, v78
	v_subrev_nc_u32_e32 v79, 29, v77
	v_sub_nc_u32_e32 v77, 30, v77
	v_lshlrev_b32_e32 v79, v79, v75
	v_lshlrev_b32_e32 v75, 24, v75
	v_cndmask_b32_e32 v77, v78, v77, vcc_lo
	v_and_b32_e32 v79, 3, v79
	v_and_b32_e32 v75, 0x80000000, v75
	v_lshl_add_u32 v77, v77, 23, 0x37800000
	v_cndmask_b32_e32 v31, v31, v79, vcc_lo
	v_lshlrev_b32_e32 v31, 21, v31
	v_or3_b32 v31, v75, v77, v31
.LBB6_6977:                             ;   in Loop: Header=BB6_6449 Depth=4
	s_or_b32 exec_lo, exec_lo, s63
	v_add_f32_e32 v75, v76, v31
	v_and_b32_e32 v31, 0x7f800000, v75
	v_cmp_ne_u32_e32 vcc_lo, 0x7f800000, v31
	v_mov_b32_e32 v31, 0x80
	s_and_saveexec_b32 s63, vcc_lo
	s_cbranch_execz .LBB6_6985
; %bb.6978:                             ;   in Loop: Header=BB6_6449 Depth=4
	v_mov_b32_e32 v31, 0
	s_mov_b32 s72, exec_lo
	v_cmpx_ne_u32_e32 0, v75
	s_cbranch_execz .LBB6_6984
; %bb.6979:                             ;   in Loop: Header=BB6_6449 Depth=4
	v_bfe_u32 v76, v75, 23, 8
	v_and_b32_e32 v31, 0x7fffff, v75
	v_cmp_gt_u32_e64 s16, 0x71, v76
	v_sub_nc_u32_e32 v77, 0x70, v76
	v_cmp_eq_u32_e32 vcc_lo, 0, v76
	v_or_b32_e32 v78, 0x800000, v31
	v_cndmask_b32_e64 v77, 0, v77, s16
	v_cndmask_b32_e32 v31, v78, v31, vcc_lo
	v_cndmask_b32_e64 v77, v77, 0x6f, vcc_lo
	v_lshl_add_u32 v78, 0x200000, v77, -1
	v_lshlrev_b32_e64 v79, v77, 0x100000
	v_and_b32_e32 v78, v78, v31
	v_cmp_eq_u32_e64 s16, v78, v79
	v_lshrrev_b32_e32 v78, v77, v31
	v_add_nc_u32_e32 v31, 0xffffff91, v76
	v_lshrrev_b32_e32 v76, 23, v78
	v_cndmask_b32_e64 v31, v31, 0xffffff92, vcc_lo
	v_xor_b32_e32 v76, 1, v76
	v_add_nc_u32_e32 v31, v77, v31
	v_bfe_u32 v77, v78, 21, 1
	v_add_nc_u32_e32 v77, -1, v77
	v_cndmask_b32_e64 v77, 0, v77, s16
	s_mov_b32 s16, exec_lo
	v_add_nc_u32_e32 v77, v77, v78
	v_and_b32_e32 v77, 0x1fffff, v77
	v_add_nc_u32_e32 v77, v77, v78
                                        ; implicit-def: $vgpr78
	v_cmpx_ne_u32_e64 v31, v76
	s_xor_b32 s16, exec_lo, s16
; %bb.6980:                             ;   in Loop: Header=BB6_6449 Depth=4
	v_cmp_lt_u32_e32 vcc_lo, 0xffffff, v77
	v_sub_nc_u32_e32 v31, v31, v76
	v_cndmask_b32_e64 v76, 0, 1, vcc_lo
	v_add_co_ci_u32_e64 v78, null, 0, v31, vcc_lo
	v_lshrrev_b32_e32 v77, v76, v77
; %bb.6981:                             ;   in Loop: Header=BB6_6449 Depth=4
	s_andn2_saveexec_b32 s16, s16
; %bb.6982:                             ;   in Loop: Header=BB6_6449 Depth=4
	v_bfe_u32 v78, v77, 23, 1
; %bb.6983:                             ;   in Loop: Header=BB6_6449 Depth=4
	s_or_b32 exec_lo, exec_lo, s16
	v_and_b32_sdwa v31, v75, v117 dst_sel:DWORD dst_unused:UNUSED_PAD src0_sel:BYTE_3 src1_sel:DWORD
	v_lshrrev_b32_e32 v75, 21, v77
	v_cmp_gt_i32_e32 vcc_lo, 32, v78
	v_min_i32_e32 v76, 31, v78
	v_cndmask_b32_e32 v75, 3, v75, vcc_lo
	v_lshlrev_b32_e32 v76, 2, v76
	v_or_b32_e32 v77, v78, v75
	v_and_b32_e32 v75, 3, v75
	v_cmp_ne_u32_e32 vcc_lo, 0, v77
	v_or3_b32 v31, v76, v31, v75
	v_cndmask_b32_e32 v31, 0, v31, vcc_lo
.LBB6_6984:                             ;   in Loop: Header=BB6_6449 Depth=4
	s_or_b32 exec_lo, exec_lo, s72
.LBB6_6985:                             ;   in Loop: Header=BB6_6449 Depth=4
	s_or_b32 exec_lo, exec_lo, s63
	v_cmp_gt_i16_sdwa s16, v52, v116 src0_sel:BYTE_0 src1_sel:DWORD
	s_mov_b32 s63, 0
	s_and_saveexec_b32 s72, s16
	s_xor_b32 s16, exec_lo, s72
	s_cbranch_execz .LBB6_7623
; %bb.6986:                             ;   in Loop: Header=BB6_6449 Depth=4
	v_cmp_eq_u16_sdwa s73, v52, v117 src0_sel:BYTE_0 src1_sel:DWORD
	s_mov_b32 s63, -1
	s_and_saveexec_b32 s72, s73
; %bb.6987:                             ;   in Loop: Header=BB6_6449 Depth=4
	s_xor_b32 s63, exec_lo, -1
; %bb.6988:                             ;   in Loop: Header=BB6_6449 Depth=4
	s_or_b32 exec_lo, exec_lo, s72
	s_and_b32 s63, s63, exec_lo
	s_or_saveexec_b32 s16, s16
	v_mov_b32_e32 v75, 0x7f800001
	s_xor_b32 exec_lo, exec_lo, s16
	s_cbranch_execnz .LBB6_7624
.LBB6_6989:                             ;   in Loop: Header=BB6_6449 Depth=4
	s_or_b32 exec_lo, exec_lo, s16
	s_and_saveexec_b32 s16, s63
	s_cbranch_execz .LBB6_6991
.LBB6_6990:                             ;   in Loop: Header=BB6_6449 Depth=4
	v_and_b32_e32 v75, 3, v52
	v_lshrrev_b16 v77, 2, v52
	v_ffbh_u32_e32 v76, v75
	v_and_b32_e32 v77, 31, v77
	v_min_u32_e32 v76, 32, v76
	v_cmp_eq_u32_e32 vcc_lo, 0, v77
	v_subrev_nc_u32_e32 v78, 29, v76
	v_sub_nc_u32_e32 v76, 30, v76
	v_lshlrev_b32_e32 v78, v78, v52
	v_lshlrev_b32_e32 v52, 24, v52
	v_cndmask_b32_e32 v76, v77, v76, vcc_lo
	v_and_b32_e32 v78, 3, v78
	v_and_b32_e32 v52, 0x80000000, v52
	v_lshl_add_u32 v76, v76, 23, 0x37800000
	v_cndmask_b32_e32 v75, v75, v78, vcc_lo
	v_lshlrev_b32_e32 v75, 21, v75
	v_or3_b32 v75, v52, v76, v75
.LBB6_6991:                             ;   in Loop: Header=BB6_6449 Depth=4
	s_or_b32 exec_lo, exec_lo, s16
	s_waitcnt vmcnt(27) lgkmcnt(27)
	v_cmp_gt_i16_sdwa s63, v74, v116 src0_sel:BYTE_0 src1_sel:DWORD
	s_mov_b32 s16, 0
	s_and_saveexec_b32 s72, s63
	s_xor_b32 s63, exec_lo, s72
	s_cbranch_execz .LBB6_7625
; %bb.6992:                             ;   in Loop: Header=BB6_6449 Depth=4
	v_cmp_eq_u16_sdwa s73, v74, v117 src0_sel:BYTE_0 src1_sel:DWORD
	s_mov_b32 s16, -1
	s_and_saveexec_b32 s72, s73
; %bb.6993:                             ;   in Loop: Header=BB6_6449 Depth=4
	s_xor_b32 s16, exec_lo, -1
; %bb.6994:                             ;   in Loop: Header=BB6_6449 Depth=4
	s_or_b32 exec_lo, exec_lo, s72
	s_and_b32 s16, s16, exec_lo
	s_or_saveexec_b32 s63, s63
	v_mov_b32_e32 v52, 0x7f800001
	s_xor_b32 exec_lo, exec_lo, s63
	s_cbranch_execnz .LBB6_7626
.LBB6_6995:                             ;   in Loop: Header=BB6_6449 Depth=4
	s_or_b32 exec_lo, exec_lo, s63
	s_and_saveexec_b32 s63, s16
	s_cbranch_execz .LBB6_6997
.LBB6_6996:                             ;   in Loop: Header=BB6_6449 Depth=4
	v_and_b32_e32 v52, 3, v74
	v_lshrrev_b16 v77, 2, v74
	v_ffbh_u32_e32 v76, v52
	v_and_b32_e32 v77, 31, v77
	v_min_u32_e32 v76, 32, v76
	v_cmp_eq_u32_e32 vcc_lo, 0, v77
	v_subrev_nc_u32_e32 v78, 29, v76
	v_sub_nc_u32_e32 v76, 30, v76
	v_lshlrev_b32_e32 v78, v78, v74
	v_lshlrev_b32_e32 v74, 24, v74
	v_cndmask_b32_e32 v76, v77, v76, vcc_lo
	v_and_b32_e32 v78, 3, v78
	v_and_b32_e32 v74, 0x80000000, v74
	v_lshl_add_u32 v76, v76, 23, 0x37800000
	v_cndmask_b32_e32 v52, v52, v78, vcc_lo
	v_lshlrev_b32_e32 v52, 21, v52
	v_or3_b32 v52, v74, v76, v52
.LBB6_6997:                             ;   in Loop: Header=BB6_6449 Depth=4
	s_or_b32 exec_lo, exec_lo, s63
	v_add_f32_e32 v74, v75, v52
	v_and_b32_e32 v52, 0x7f800000, v74
	v_cmp_ne_u32_e32 vcc_lo, 0x7f800000, v52
	v_mov_b32_e32 v52, 0x80
	s_and_saveexec_b32 s63, vcc_lo
	s_cbranch_execz .LBB6_7005
; %bb.6998:                             ;   in Loop: Header=BB6_6449 Depth=4
	v_mov_b32_e32 v52, 0
	s_mov_b32 s72, exec_lo
	v_cmpx_ne_u32_e32 0, v74
	s_cbranch_execz .LBB6_7004
; %bb.6999:                             ;   in Loop: Header=BB6_6449 Depth=4
	v_bfe_u32 v75, v74, 23, 8
	v_and_b32_e32 v52, 0x7fffff, v74
	v_cmp_gt_u32_e64 s16, 0x71, v75
	v_sub_nc_u32_e32 v76, 0x70, v75
	v_cmp_eq_u32_e32 vcc_lo, 0, v75
	v_or_b32_e32 v77, 0x800000, v52
	v_cndmask_b32_e64 v76, 0, v76, s16
	v_cndmask_b32_e32 v52, v77, v52, vcc_lo
	v_cndmask_b32_e64 v76, v76, 0x6f, vcc_lo
	v_lshl_add_u32 v77, 0x200000, v76, -1
	v_lshlrev_b32_e64 v78, v76, 0x100000
	v_and_b32_e32 v77, v77, v52
	v_cmp_eq_u32_e64 s16, v77, v78
	v_lshrrev_b32_e32 v77, v76, v52
	v_add_nc_u32_e32 v52, 0xffffff91, v75
	v_lshrrev_b32_e32 v75, 23, v77
	v_cndmask_b32_e64 v52, v52, 0xffffff92, vcc_lo
	v_xor_b32_e32 v75, 1, v75
	v_add_nc_u32_e32 v52, v76, v52
	v_bfe_u32 v76, v77, 21, 1
	v_add_nc_u32_e32 v76, -1, v76
	v_cndmask_b32_e64 v76, 0, v76, s16
	s_mov_b32 s16, exec_lo
	v_add_nc_u32_e32 v76, v76, v77
	v_and_b32_e32 v76, 0x1fffff, v76
	v_add_nc_u32_e32 v76, v76, v77
                                        ; implicit-def: $vgpr77
	v_cmpx_ne_u32_e64 v52, v75
	s_xor_b32 s16, exec_lo, s16
; %bb.7000:                             ;   in Loop: Header=BB6_6449 Depth=4
	v_cmp_lt_u32_e32 vcc_lo, 0xffffff, v76
	v_sub_nc_u32_e32 v52, v52, v75
	v_cndmask_b32_e64 v75, 0, 1, vcc_lo
	v_add_co_ci_u32_e64 v77, null, 0, v52, vcc_lo
	v_lshrrev_b32_e32 v76, v75, v76
; %bb.7001:                             ;   in Loop: Header=BB6_6449 Depth=4
	s_andn2_saveexec_b32 s16, s16
; %bb.7002:                             ;   in Loop: Header=BB6_6449 Depth=4
	v_bfe_u32 v77, v76, 23, 1
; %bb.7003:                             ;   in Loop: Header=BB6_6449 Depth=4
	s_or_b32 exec_lo, exec_lo, s16
	v_and_b32_sdwa v52, v74, v117 dst_sel:DWORD dst_unused:UNUSED_PAD src0_sel:BYTE_3 src1_sel:DWORD
	v_lshrrev_b32_e32 v74, 21, v76
	v_cmp_gt_i32_e32 vcc_lo, 32, v77
	v_min_i32_e32 v75, 31, v77
	v_cndmask_b32_e32 v74, 3, v74, vcc_lo
	v_lshlrev_b32_e32 v75, 2, v75
	v_or_b32_e32 v76, v77, v74
	v_and_b32_e32 v74, 3, v74
	v_cmp_ne_u32_e32 vcc_lo, 0, v76
	v_or3_b32 v52, v75, v52, v74
	v_cndmask_b32_e32 v52, 0, v52, vcc_lo
.LBB6_7004:                             ;   in Loop: Header=BB6_6449 Depth=4
	s_or_b32 exec_lo, exec_lo, s72
.LBB6_7005:                             ;   in Loop: Header=BB6_6449 Depth=4
	s_or_b32 exec_lo, exec_lo, s63
	v_cmp_gt_i16_sdwa s16, v66, v116 src0_sel:BYTE_0 src1_sel:DWORD
	s_mov_b32 s63, 0
	s_and_saveexec_b32 s72, s16
	s_xor_b32 s16, exec_lo, s72
	s_cbranch_execz .LBB6_7627
; %bb.7006:                             ;   in Loop: Header=BB6_6449 Depth=4
	v_cmp_eq_u16_sdwa s73, v66, v117 src0_sel:BYTE_0 src1_sel:DWORD
	s_mov_b32 s63, -1
	s_and_saveexec_b32 s72, s73
; %bb.7007:                             ;   in Loop: Header=BB6_6449 Depth=4
	s_xor_b32 s63, exec_lo, -1
; %bb.7008:                             ;   in Loop: Header=BB6_6449 Depth=4
	s_or_b32 exec_lo, exec_lo, s72
	s_and_b32 s63, s63, exec_lo
	s_or_saveexec_b32 s16, s16
	v_mov_b32_e32 v74, 0x7f800001
	s_xor_b32 exec_lo, exec_lo, s16
	s_cbranch_execnz .LBB6_7628
.LBB6_7009:                             ;   in Loop: Header=BB6_6449 Depth=4
	s_or_b32 exec_lo, exec_lo, s16
	s_and_saveexec_b32 s16, s63
	s_cbranch_execz .LBB6_7011
.LBB6_7010:                             ;   in Loop: Header=BB6_6449 Depth=4
	v_and_b32_e32 v74, 3, v66
	v_lshrrev_b16 v76, 2, v66
	v_ffbh_u32_e32 v75, v74
	v_and_b32_e32 v76, 31, v76
	v_min_u32_e32 v75, 32, v75
	v_cmp_eq_u32_e32 vcc_lo, 0, v76
	v_subrev_nc_u32_e32 v77, 29, v75
	v_sub_nc_u32_e32 v75, 30, v75
	v_lshlrev_b32_e32 v77, v77, v66
	v_lshlrev_b32_e32 v66, 24, v66
	v_cndmask_b32_e32 v75, v76, v75, vcc_lo
	v_and_b32_e32 v77, 3, v77
	v_and_b32_e32 v66, 0x80000000, v66
	v_lshl_add_u32 v75, v75, 23, 0x37800000
	v_cndmask_b32_e32 v74, v74, v77, vcc_lo
	v_lshlrev_b32_e32 v74, 21, v74
	v_or3_b32 v74, v66, v75, v74
.LBB6_7011:                             ;   in Loop: Header=BB6_6449 Depth=4
	s_or_b32 exec_lo, exec_lo, s16
	s_waitcnt vmcnt(26) lgkmcnt(26)
	v_cmp_gt_i16_sdwa s63, v73, v116 src0_sel:BYTE_0 src1_sel:DWORD
	s_mov_b32 s16, 0
	s_and_saveexec_b32 s72, s63
	s_xor_b32 s63, exec_lo, s72
	s_cbranch_execz .LBB6_7629
; %bb.7012:                             ;   in Loop: Header=BB6_6449 Depth=4
	v_cmp_eq_u16_sdwa s73, v73, v117 src0_sel:BYTE_0 src1_sel:DWORD
	s_mov_b32 s16, -1
	s_and_saveexec_b32 s72, s73
; %bb.7013:                             ;   in Loop: Header=BB6_6449 Depth=4
	s_xor_b32 s16, exec_lo, -1
; %bb.7014:                             ;   in Loop: Header=BB6_6449 Depth=4
	s_or_b32 exec_lo, exec_lo, s72
	s_and_b32 s16, s16, exec_lo
	s_or_saveexec_b32 s63, s63
	v_mov_b32_e32 v66, 0x7f800001
	s_xor_b32 exec_lo, exec_lo, s63
	s_cbranch_execnz .LBB6_7630
.LBB6_7015:                             ;   in Loop: Header=BB6_6449 Depth=4
	s_or_b32 exec_lo, exec_lo, s63
	s_and_saveexec_b32 s63, s16
	s_cbranch_execz .LBB6_7017
.LBB6_7016:                             ;   in Loop: Header=BB6_6449 Depth=4
	v_and_b32_e32 v66, 3, v73
	v_lshrrev_b16 v76, 2, v73
	v_ffbh_u32_e32 v75, v66
	v_and_b32_e32 v76, 31, v76
	v_min_u32_e32 v75, 32, v75
	v_cmp_eq_u32_e32 vcc_lo, 0, v76
	v_subrev_nc_u32_e32 v77, 29, v75
	v_sub_nc_u32_e32 v75, 30, v75
	v_lshlrev_b32_e32 v77, v77, v73
	v_lshlrev_b32_e32 v73, 24, v73
	v_cndmask_b32_e32 v75, v76, v75, vcc_lo
	v_and_b32_e32 v77, 3, v77
	v_and_b32_e32 v73, 0x80000000, v73
	v_lshl_add_u32 v75, v75, 23, 0x37800000
	v_cndmask_b32_e32 v66, v66, v77, vcc_lo
	v_lshlrev_b32_e32 v66, 21, v66
	v_or3_b32 v66, v73, v75, v66
.LBB6_7017:                             ;   in Loop: Header=BB6_6449 Depth=4
	s_or_b32 exec_lo, exec_lo, s63
	v_add_f32_e32 v73, v74, v66
	v_and_b32_e32 v66, 0x7f800000, v73
	v_cmp_ne_u32_e32 vcc_lo, 0x7f800000, v66
	v_mov_b32_e32 v66, 0x80
	s_and_saveexec_b32 s63, vcc_lo
	s_cbranch_execz .LBB6_7025
; %bb.7018:                             ;   in Loop: Header=BB6_6449 Depth=4
	v_mov_b32_e32 v66, 0
	s_mov_b32 s72, exec_lo
	v_cmpx_ne_u32_e32 0, v73
	s_cbranch_execz .LBB6_7024
; %bb.7019:                             ;   in Loop: Header=BB6_6449 Depth=4
	v_bfe_u32 v74, v73, 23, 8
	v_and_b32_e32 v66, 0x7fffff, v73
	v_cmp_gt_u32_e64 s16, 0x71, v74
	v_sub_nc_u32_e32 v75, 0x70, v74
	v_cmp_eq_u32_e32 vcc_lo, 0, v74
	v_or_b32_e32 v76, 0x800000, v66
	v_cndmask_b32_e64 v75, 0, v75, s16
	v_cndmask_b32_e32 v66, v76, v66, vcc_lo
	v_cndmask_b32_e64 v75, v75, 0x6f, vcc_lo
	v_lshl_add_u32 v76, 0x200000, v75, -1
	v_lshlrev_b32_e64 v77, v75, 0x100000
	v_and_b32_e32 v76, v76, v66
	v_cmp_eq_u32_e64 s16, v76, v77
	v_lshrrev_b32_e32 v76, v75, v66
	v_add_nc_u32_e32 v66, 0xffffff91, v74
	v_lshrrev_b32_e32 v74, 23, v76
	v_cndmask_b32_e64 v66, v66, 0xffffff92, vcc_lo
	v_xor_b32_e32 v74, 1, v74
	v_add_nc_u32_e32 v66, v75, v66
	v_bfe_u32 v75, v76, 21, 1
	v_add_nc_u32_e32 v75, -1, v75
	v_cndmask_b32_e64 v75, 0, v75, s16
	s_mov_b32 s16, exec_lo
	v_add_nc_u32_e32 v75, v75, v76
	v_and_b32_e32 v75, 0x1fffff, v75
	v_add_nc_u32_e32 v75, v75, v76
                                        ; implicit-def: $vgpr76
	v_cmpx_ne_u32_e64 v66, v74
	s_xor_b32 s16, exec_lo, s16
; %bb.7020:                             ;   in Loop: Header=BB6_6449 Depth=4
	v_cmp_lt_u32_e32 vcc_lo, 0xffffff, v75
	v_sub_nc_u32_e32 v66, v66, v74
	v_cndmask_b32_e64 v74, 0, 1, vcc_lo
	v_add_co_ci_u32_e64 v76, null, 0, v66, vcc_lo
	v_lshrrev_b32_e32 v75, v74, v75
; %bb.7021:                             ;   in Loop: Header=BB6_6449 Depth=4
	s_andn2_saveexec_b32 s16, s16
; %bb.7022:                             ;   in Loop: Header=BB6_6449 Depth=4
	v_bfe_u32 v76, v75, 23, 1
; %bb.7023:                             ;   in Loop: Header=BB6_6449 Depth=4
	s_or_b32 exec_lo, exec_lo, s16
	v_and_b32_sdwa v66, v73, v117 dst_sel:DWORD dst_unused:UNUSED_PAD src0_sel:BYTE_3 src1_sel:DWORD
	v_lshrrev_b32_e32 v73, 21, v75
	v_cmp_gt_i32_e32 vcc_lo, 32, v76
	v_min_i32_e32 v74, 31, v76
	v_cndmask_b32_e32 v73, 3, v73, vcc_lo
	v_lshlrev_b32_e32 v74, 2, v74
	v_or_b32_e32 v75, v76, v73
	v_and_b32_e32 v73, 3, v73
	v_cmp_ne_u32_e32 vcc_lo, 0, v75
	v_or3_b32 v66, v74, v66, v73
	v_cndmask_b32_e32 v66, 0, v66, vcc_lo
.LBB6_7024:                             ;   in Loop: Header=BB6_6449 Depth=4
	s_or_b32 exec_lo, exec_lo, s72
.LBB6_7025:                             ;   in Loop: Header=BB6_6449 Depth=4
	s_or_b32 exec_lo, exec_lo, s63
	v_cmp_gt_i16_sdwa s16, v81, v116 src0_sel:BYTE_0 src1_sel:DWORD
	s_mov_b32 s63, 0
	s_and_saveexec_b32 s72, s16
	s_xor_b32 s16, exec_lo, s72
	s_cbranch_execz .LBB6_7631
; %bb.7026:                             ;   in Loop: Header=BB6_6449 Depth=4
	v_cmp_eq_u16_sdwa s73, v81, v117 src0_sel:BYTE_0 src1_sel:DWORD
	s_mov_b32 s63, -1
	s_and_saveexec_b32 s72, s73
; %bb.7027:                             ;   in Loop: Header=BB6_6449 Depth=4
	s_xor_b32 s63, exec_lo, -1
; %bb.7028:                             ;   in Loop: Header=BB6_6449 Depth=4
	s_or_b32 exec_lo, exec_lo, s72
	s_and_b32 s63, s63, exec_lo
	s_or_saveexec_b32 s16, s16
	v_mov_b32_e32 v73, 0x7f800001
	s_xor_b32 exec_lo, exec_lo, s16
	s_cbranch_execnz .LBB6_7632
.LBB6_7029:                             ;   in Loop: Header=BB6_6449 Depth=4
	s_or_b32 exec_lo, exec_lo, s16
	s_and_saveexec_b32 s16, s63
	s_cbranch_execz .LBB6_7031
.LBB6_7030:                             ;   in Loop: Header=BB6_6449 Depth=4
	v_and_b32_e32 v73, 3, v81
	v_lshrrev_b16 v75, 2, v81
	v_ffbh_u32_e32 v74, v73
	v_and_b32_e32 v75, 31, v75
	v_min_u32_e32 v74, 32, v74
	v_cmp_eq_u32_e32 vcc_lo, 0, v75
	v_subrev_nc_u32_e32 v76, 29, v74
	v_sub_nc_u32_e32 v74, 30, v74
	v_lshlrev_b32_e32 v76, v76, v81
	v_lshlrev_b32_e32 v81, 24, v81
	v_cndmask_b32_e32 v74, v75, v74, vcc_lo
	v_and_b32_e32 v76, 3, v76
	v_and_b32_e32 v81, 0x80000000, v81
	v_lshl_add_u32 v74, v74, 23, 0x37800000
	v_cndmask_b32_e32 v73, v73, v76, vcc_lo
	v_lshlrev_b32_e32 v73, 21, v73
	v_or3_b32 v73, v81, v74, v73
.LBB6_7031:                             ;   in Loop: Header=BB6_6449 Depth=4
	s_or_b32 exec_lo, exec_lo, s16
	s_waitcnt vmcnt(25) lgkmcnt(25)
	v_cmp_gt_i16_sdwa s63, v72, v116 src0_sel:BYTE_0 src1_sel:DWORD
	s_mov_b32 s16, 0
	s_and_saveexec_b32 s72, s63
	s_xor_b32 s63, exec_lo, s72
	s_cbranch_execz .LBB6_7633
; %bb.7032:                             ;   in Loop: Header=BB6_6449 Depth=4
	v_cmp_eq_u16_sdwa s73, v72, v117 src0_sel:BYTE_0 src1_sel:DWORD
	s_mov_b32 s16, -1
	s_and_saveexec_b32 s72, s73
; %bb.7033:                             ;   in Loop: Header=BB6_6449 Depth=4
	s_xor_b32 s16, exec_lo, -1
; %bb.7034:                             ;   in Loop: Header=BB6_6449 Depth=4
	s_or_b32 exec_lo, exec_lo, s72
	s_and_b32 s16, s16, exec_lo
	s_or_saveexec_b32 s63, s63
	v_mov_b32_e32 v81, 0x7f800001
	s_xor_b32 exec_lo, exec_lo, s63
	s_cbranch_execnz .LBB6_7634
.LBB6_7035:                             ;   in Loop: Header=BB6_6449 Depth=4
	s_or_b32 exec_lo, exec_lo, s63
	s_and_saveexec_b32 s63, s16
	s_cbranch_execz .LBB6_7037
.LBB6_7036:                             ;   in Loop: Header=BB6_6449 Depth=4
	v_and_b32_e32 v81, 3, v72
	v_lshrrev_b16 v75, 2, v72
	v_ffbh_u32_e32 v74, v81
	v_and_b32_e32 v75, 31, v75
	v_min_u32_e32 v74, 32, v74
	v_cmp_eq_u32_e32 vcc_lo, 0, v75
	v_subrev_nc_u32_e32 v76, 29, v74
	v_sub_nc_u32_e32 v74, 30, v74
	v_lshlrev_b32_e32 v76, v76, v72
	v_lshlrev_b32_e32 v72, 24, v72
	v_cndmask_b32_e32 v74, v75, v74, vcc_lo
	v_and_b32_e32 v76, 3, v76
	v_and_b32_e32 v72, 0x80000000, v72
	v_lshl_add_u32 v74, v74, 23, 0x37800000
	v_cndmask_b32_e32 v81, v81, v76, vcc_lo
	v_lshlrev_b32_e32 v81, 21, v81
	v_or3_b32 v81, v72, v74, v81
.LBB6_7037:                             ;   in Loop: Header=BB6_6449 Depth=4
	s_or_b32 exec_lo, exec_lo, s63
	v_add_f32_e32 v72, v73, v81
	v_and_b32_e32 v81, 0x7f800000, v72
	v_cmp_ne_u32_e32 vcc_lo, 0x7f800000, v81
	v_mov_b32_e32 v81, 0x80
	s_and_saveexec_b32 s63, vcc_lo
	s_cbranch_execz .LBB6_7045
; %bb.7038:                             ;   in Loop: Header=BB6_6449 Depth=4
	v_mov_b32_e32 v81, 0
	s_mov_b32 s72, exec_lo
	v_cmpx_ne_u32_e32 0, v72
	s_cbranch_execz .LBB6_7044
; %bb.7039:                             ;   in Loop: Header=BB6_6449 Depth=4
	v_bfe_u32 v73, v72, 23, 8
	v_and_b32_e32 v81, 0x7fffff, v72
	v_cmp_gt_u32_e64 s16, 0x71, v73
	v_sub_nc_u32_e32 v74, 0x70, v73
	v_cmp_eq_u32_e32 vcc_lo, 0, v73
	v_or_b32_e32 v75, 0x800000, v81
	v_cndmask_b32_e64 v74, 0, v74, s16
	v_cndmask_b32_e32 v81, v75, v81, vcc_lo
	v_cndmask_b32_e64 v74, v74, 0x6f, vcc_lo
	v_lshl_add_u32 v75, 0x200000, v74, -1
	v_lshlrev_b32_e64 v76, v74, 0x100000
	v_and_b32_e32 v75, v75, v81
	v_cmp_eq_u32_e64 s16, v75, v76
	v_lshrrev_b32_e32 v75, v74, v81
	v_add_nc_u32_e32 v81, 0xffffff91, v73
	v_lshrrev_b32_e32 v73, 23, v75
	v_cndmask_b32_e64 v81, v81, 0xffffff92, vcc_lo
	v_xor_b32_e32 v73, 1, v73
	v_add_nc_u32_e32 v81, v74, v81
	v_bfe_u32 v74, v75, 21, 1
	v_add_nc_u32_e32 v74, -1, v74
	v_cndmask_b32_e64 v74, 0, v74, s16
	s_mov_b32 s16, exec_lo
	v_add_nc_u32_e32 v74, v74, v75
	v_and_b32_e32 v74, 0x1fffff, v74
	v_add_nc_u32_e32 v74, v74, v75
                                        ; implicit-def: $vgpr75
	v_cmpx_ne_u32_e64 v81, v73
	s_xor_b32 s16, exec_lo, s16
; %bb.7040:                             ;   in Loop: Header=BB6_6449 Depth=4
	v_cmp_lt_u32_e32 vcc_lo, 0xffffff, v74
	v_sub_nc_u32_e32 v81, v81, v73
	v_cndmask_b32_e64 v73, 0, 1, vcc_lo
	v_add_co_ci_u32_e64 v75, null, 0, v81, vcc_lo
	v_lshrrev_b32_e32 v74, v73, v74
; %bb.7041:                             ;   in Loop: Header=BB6_6449 Depth=4
	s_andn2_saveexec_b32 s16, s16
; %bb.7042:                             ;   in Loop: Header=BB6_6449 Depth=4
	v_bfe_u32 v75, v74, 23, 1
; %bb.7043:                             ;   in Loop: Header=BB6_6449 Depth=4
	s_or_b32 exec_lo, exec_lo, s16
	v_and_b32_sdwa v81, v72, v117 dst_sel:DWORD dst_unused:UNUSED_PAD src0_sel:BYTE_3 src1_sel:DWORD
	v_lshrrev_b32_e32 v72, 21, v74
	v_cmp_gt_i32_e32 vcc_lo, 32, v75
	v_min_i32_e32 v73, 31, v75
	v_cndmask_b32_e32 v72, 3, v72, vcc_lo
	v_lshlrev_b32_e32 v73, 2, v73
	v_or_b32_e32 v74, v75, v72
	v_and_b32_e32 v72, 3, v72
	v_cmp_ne_u32_e32 vcc_lo, 0, v74
	v_or3_b32 v81, v73, v81, v72
	v_cndmask_b32_e32 v81, 0, v81, vcc_lo
.LBB6_7044:                             ;   in Loop: Header=BB6_6449 Depth=4
	s_or_b32 exec_lo, exec_lo, s72
.LBB6_7045:                             ;   in Loop: Header=BB6_6449 Depth=4
	s_or_b32 exec_lo, exec_lo, s63
	v_cmp_gt_i16_sdwa s16, v85, v116 src0_sel:BYTE_0 src1_sel:DWORD
	s_mov_b32 s63, 0
	s_and_saveexec_b32 s72, s16
	s_xor_b32 s16, exec_lo, s72
	s_cbranch_execz .LBB6_7635
; %bb.7046:                             ;   in Loop: Header=BB6_6449 Depth=4
	v_cmp_eq_u16_sdwa s73, v85, v117 src0_sel:BYTE_0 src1_sel:DWORD
	s_mov_b32 s63, -1
	s_and_saveexec_b32 s72, s73
; %bb.7047:                             ;   in Loop: Header=BB6_6449 Depth=4
	s_xor_b32 s63, exec_lo, -1
; %bb.7048:                             ;   in Loop: Header=BB6_6449 Depth=4
	s_or_b32 exec_lo, exec_lo, s72
	s_and_b32 s63, s63, exec_lo
	s_or_saveexec_b32 s16, s16
	v_mov_b32_e32 v72, 0x7f800001
	s_xor_b32 exec_lo, exec_lo, s16
	s_cbranch_execnz .LBB6_7636
.LBB6_7049:                             ;   in Loop: Header=BB6_6449 Depth=4
	s_or_b32 exec_lo, exec_lo, s16
	s_and_saveexec_b32 s16, s63
	s_cbranch_execz .LBB6_7051
.LBB6_7050:                             ;   in Loop: Header=BB6_6449 Depth=4
	v_and_b32_e32 v72, 3, v85
	v_lshrrev_b16 v74, 2, v85
	v_ffbh_u32_e32 v73, v72
	v_and_b32_e32 v74, 31, v74
	v_min_u32_e32 v73, 32, v73
	v_cmp_eq_u32_e32 vcc_lo, 0, v74
	v_subrev_nc_u32_e32 v75, 29, v73
	v_sub_nc_u32_e32 v73, 30, v73
	v_lshlrev_b32_e32 v75, v75, v85
	v_lshlrev_b32_e32 v85, 24, v85
	v_cndmask_b32_e32 v73, v74, v73, vcc_lo
	v_and_b32_e32 v75, 3, v75
	v_and_b32_e32 v85, 0x80000000, v85
	v_lshl_add_u32 v73, v73, 23, 0x37800000
	v_cndmask_b32_e32 v72, v72, v75, vcc_lo
	v_lshlrev_b32_e32 v72, 21, v72
	v_or3_b32 v72, v85, v73, v72
.LBB6_7051:                             ;   in Loop: Header=BB6_6449 Depth=4
	s_or_b32 exec_lo, exec_lo, s16
	s_waitcnt vmcnt(24) lgkmcnt(24)
	v_cmp_gt_i16_sdwa s63, v63, v116 src0_sel:BYTE_0 src1_sel:DWORD
	s_mov_b32 s16, 0
	s_and_saveexec_b32 s72, s63
	s_xor_b32 s63, exec_lo, s72
	s_cbranch_execz .LBB6_7637
; %bb.7052:                             ;   in Loop: Header=BB6_6449 Depth=4
	v_cmp_eq_u16_sdwa s73, v63, v117 src0_sel:BYTE_0 src1_sel:DWORD
	s_mov_b32 s16, -1
	s_and_saveexec_b32 s72, s73
; %bb.7053:                             ;   in Loop: Header=BB6_6449 Depth=4
	s_xor_b32 s16, exec_lo, -1
; %bb.7054:                             ;   in Loop: Header=BB6_6449 Depth=4
	s_or_b32 exec_lo, exec_lo, s72
	s_and_b32 s16, s16, exec_lo
	s_or_saveexec_b32 s63, s63
	v_mov_b32_e32 v85, 0x7f800001
	s_xor_b32 exec_lo, exec_lo, s63
	s_cbranch_execnz .LBB6_7638
.LBB6_7055:                             ;   in Loop: Header=BB6_6449 Depth=4
	s_or_b32 exec_lo, exec_lo, s63
	s_and_saveexec_b32 s63, s16
	s_cbranch_execz .LBB6_7057
.LBB6_7056:                             ;   in Loop: Header=BB6_6449 Depth=4
	v_and_b32_e32 v85, 3, v63
	v_lshrrev_b16 v74, 2, v63
	v_ffbh_u32_e32 v73, v85
	v_and_b32_e32 v74, 31, v74
	v_min_u32_e32 v73, 32, v73
	v_cmp_eq_u32_e32 vcc_lo, 0, v74
	v_subrev_nc_u32_e32 v75, 29, v73
	v_sub_nc_u32_e32 v73, 30, v73
	v_lshlrev_b32_e32 v75, v75, v63
	v_lshlrev_b32_e32 v63, 24, v63
	v_cndmask_b32_e32 v73, v74, v73, vcc_lo
	v_and_b32_e32 v75, 3, v75
	v_and_b32_e32 v63, 0x80000000, v63
	v_lshl_add_u32 v73, v73, 23, 0x37800000
	v_cndmask_b32_e32 v85, v85, v75, vcc_lo
	v_lshlrev_b32_e32 v85, 21, v85
	v_or3_b32 v85, v63, v73, v85
.LBB6_7057:                             ;   in Loop: Header=BB6_6449 Depth=4
	s_or_b32 exec_lo, exec_lo, s63
	v_add_f32_e32 v63, v72, v85
	v_and_b32_e32 v85, 0x7f800000, v63
	v_cmp_ne_u32_e32 vcc_lo, 0x7f800000, v85
	v_mov_b32_e32 v85, 0x80
	s_and_saveexec_b32 s63, vcc_lo
	s_cbranch_execz .LBB6_7065
; %bb.7058:                             ;   in Loop: Header=BB6_6449 Depth=4
	v_mov_b32_e32 v85, 0
	s_mov_b32 s72, exec_lo
	v_cmpx_ne_u32_e32 0, v63
	s_cbranch_execz .LBB6_7064
; %bb.7059:                             ;   in Loop: Header=BB6_6449 Depth=4
	v_bfe_u32 v72, v63, 23, 8
	v_and_b32_e32 v85, 0x7fffff, v63
	v_cmp_gt_u32_e64 s16, 0x71, v72
	v_sub_nc_u32_e32 v73, 0x70, v72
	v_cmp_eq_u32_e32 vcc_lo, 0, v72
	v_or_b32_e32 v74, 0x800000, v85
	v_cndmask_b32_e64 v73, 0, v73, s16
	v_cndmask_b32_e32 v85, v74, v85, vcc_lo
	v_cndmask_b32_e64 v73, v73, 0x6f, vcc_lo
	v_lshl_add_u32 v74, 0x200000, v73, -1
	v_lshlrev_b32_e64 v75, v73, 0x100000
	v_and_b32_e32 v74, v74, v85
	v_cmp_eq_u32_e64 s16, v74, v75
	v_lshrrev_b32_e32 v74, v73, v85
	v_add_nc_u32_e32 v85, 0xffffff91, v72
	v_lshrrev_b32_e32 v72, 23, v74
	v_cndmask_b32_e64 v85, v85, 0xffffff92, vcc_lo
	v_xor_b32_e32 v72, 1, v72
	v_add_nc_u32_e32 v85, v73, v85
	v_bfe_u32 v73, v74, 21, 1
	v_add_nc_u32_e32 v73, -1, v73
	v_cndmask_b32_e64 v73, 0, v73, s16
	s_mov_b32 s16, exec_lo
	v_add_nc_u32_e32 v73, v73, v74
	v_and_b32_e32 v73, 0x1fffff, v73
	v_add_nc_u32_e32 v73, v73, v74
                                        ; implicit-def: $vgpr74
	v_cmpx_ne_u32_e64 v85, v72
	s_xor_b32 s16, exec_lo, s16
; %bb.7060:                             ;   in Loop: Header=BB6_6449 Depth=4
	v_cmp_lt_u32_e32 vcc_lo, 0xffffff, v73
	v_sub_nc_u32_e32 v85, v85, v72
	v_cndmask_b32_e64 v72, 0, 1, vcc_lo
	v_add_co_ci_u32_e64 v74, null, 0, v85, vcc_lo
	v_lshrrev_b32_e32 v73, v72, v73
; %bb.7061:                             ;   in Loop: Header=BB6_6449 Depth=4
	s_andn2_saveexec_b32 s16, s16
; %bb.7062:                             ;   in Loop: Header=BB6_6449 Depth=4
	v_bfe_u32 v74, v73, 23, 1
; %bb.7063:                             ;   in Loop: Header=BB6_6449 Depth=4
	s_or_b32 exec_lo, exec_lo, s16
	v_and_b32_sdwa v85, v63, v117 dst_sel:DWORD dst_unused:UNUSED_PAD src0_sel:BYTE_3 src1_sel:DWORD
	v_lshrrev_b32_e32 v63, 21, v73
	v_cmp_gt_i32_e32 vcc_lo, 32, v74
	v_min_i32_e32 v72, 31, v74
	v_cndmask_b32_e32 v63, 3, v63, vcc_lo
	v_lshlrev_b32_e32 v72, 2, v72
	v_or_b32_e32 v73, v74, v63
	v_and_b32_e32 v63, 3, v63
	v_cmp_ne_u32_e32 vcc_lo, 0, v73
	v_or3_b32 v85, v72, v85, v63
	v_cndmask_b32_e32 v85, 0, v85, vcc_lo
.LBB6_7064:                             ;   in Loop: Header=BB6_6449 Depth=4
	s_or_b32 exec_lo, exec_lo, s72
.LBB6_7065:                             ;   in Loop: Header=BB6_6449 Depth=4
	s_or_b32 exec_lo, exec_lo, s63
	v_cmp_gt_i16_sdwa s16, v97, v116 src0_sel:BYTE_0 src1_sel:DWORD
	s_mov_b32 s63, 0
	s_and_saveexec_b32 s72, s16
	s_xor_b32 s16, exec_lo, s72
	s_cbranch_execz .LBB6_7639
; %bb.7066:                             ;   in Loop: Header=BB6_6449 Depth=4
	v_cmp_eq_u16_sdwa s73, v97, v117 src0_sel:BYTE_0 src1_sel:DWORD
	s_mov_b32 s63, -1
	s_and_saveexec_b32 s72, s73
; %bb.7067:                             ;   in Loop: Header=BB6_6449 Depth=4
	s_xor_b32 s63, exec_lo, -1
; %bb.7068:                             ;   in Loop: Header=BB6_6449 Depth=4
	s_or_b32 exec_lo, exec_lo, s72
	s_and_b32 s63, s63, exec_lo
	s_or_saveexec_b32 s16, s16
	v_mov_b32_e32 v63, 0x7f800001
	s_xor_b32 exec_lo, exec_lo, s16
	s_cbranch_execnz .LBB6_7640
.LBB6_7069:                             ;   in Loop: Header=BB6_6449 Depth=4
	s_or_b32 exec_lo, exec_lo, s16
	s_and_saveexec_b32 s16, s63
	s_cbranch_execz .LBB6_7071
.LBB6_7070:                             ;   in Loop: Header=BB6_6449 Depth=4
	v_and_b32_e32 v63, 3, v97
	v_lshrrev_b16 v73, 2, v97
	v_ffbh_u32_e32 v72, v63
	v_and_b32_e32 v73, 31, v73
	v_min_u32_e32 v72, 32, v72
	v_cmp_eq_u32_e32 vcc_lo, 0, v73
	v_subrev_nc_u32_e32 v74, 29, v72
	v_sub_nc_u32_e32 v72, 30, v72
	v_lshlrev_b32_e32 v74, v74, v97
	v_lshlrev_b32_e32 v97, 24, v97
	v_cndmask_b32_e32 v72, v73, v72, vcc_lo
	v_and_b32_e32 v74, 3, v74
	v_and_b32_e32 v97, 0x80000000, v97
	v_lshl_add_u32 v72, v72, 23, 0x37800000
	v_cndmask_b32_e32 v63, v63, v74, vcc_lo
	v_lshlrev_b32_e32 v63, 21, v63
	v_or3_b32 v63, v97, v72, v63
.LBB6_7071:                             ;   in Loop: Header=BB6_6449 Depth=4
	s_or_b32 exec_lo, exec_lo, s16
	s_waitcnt vmcnt(23) lgkmcnt(23)
	v_cmp_gt_i16_sdwa s63, v62, v116 src0_sel:BYTE_0 src1_sel:DWORD
	s_mov_b32 s16, 0
	s_and_saveexec_b32 s72, s63
	s_xor_b32 s63, exec_lo, s72
	s_cbranch_execz .LBB6_7641
; %bb.7072:                             ;   in Loop: Header=BB6_6449 Depth=4
	v_cmp_eq_u16_sdwa s73, v62, v117 src0_sel:BYTE_0 src1_sel:DWORD
	s_mov_b32 s16, -1
	s_and_saveexec_b32 s72, s73
; %bb.7073:                             ;   in Loop: Header=BB6_6449 Depth=4
	s_xor_b32 s16, exec_lo, -1
; %bb.7074:                             ;   in Loop: Header=BB6_6449 Depth=4
	s_or_b32 exec_lo, exec_lo, s72
	s_and_b32 s16, s16, exec_lo
	s_or_saveexec_b32 s63, s63
	v_mov_b32_e32 v97, 0x7f800001
	s_xor_b32 exec_lo, exec_lo, s63
	s_cbranch_execnz .LBB6_7642
.LBB6_7075:                             ;   in Loop: Header=BB6_6449 Depth=4
	s_or_b32 exec_lo, exec_lo, s63
	s_and_saveexec_b32 s63, s16
	s_cbranch_execz .LBB6_7077
.LBB6_7076:                             ;   in Loop: Header=BB6_6449 Depth=4
	v_and_b32_e32 v97, 3, v62
	v_lshrrev_b16 v73, 2, v62
	v_ffbh_u32_e32 v72, v97
	v_and_b32_e32 v73, 31, v73
	v_min_u32_e32 v72, 32, v72
	v_cmp_eq_u32_e32 vcc_lo, 0, v73
	v_subrev_nc_u32_e32 v74, 29, v72
	v_sub_nc_u32_e32 v72, 30, v72
	v_lshlrev_b32_e32 v74, v74, v62
	v_lshlrev_b32_e32 v62, 24, v62
	v_cndmask_b32_e32 v72, v73, v72, vcc_lo
	v_and_b32_e32 v74, 3, v74
	v_and_b32_e32 v62, 0x80000000, v62
	v_lshl_add_u32 v72, v72, 23, 0x37800000
	v_cndmask_b32_e32 v97, v97, v74, vcc_lo
	v_lshlrev_b32_e32 v97, 21, v97
	v_or3_b32 v97, v62, v72, v97
.LBB6_7077:                             ;   in Loop: Header=BB6_6449 Depth=4
	s_or_b32 exec_lo, exec_lo, s63
	v_add_f32_e32 v62, v63, v97
	v_and_b32_e32 v97, 0x7f800000, v62
	v_cmp_ne_u32_e32 vcc_lo, 0x7f800000, v97
	v_mov_b32_e32 v97, 0x80
	s_and_saveexec_b32 s63, vcc_lo
	s_cbranch_execz .LBB6_7085
; %bb.7078:                             ;   in Loop: Header=BB6_6449 Depth=4
	v_mov_b32_e32 v97, 0
	s_mov_b32 s72, exec_lo
	v_cmpx_ne_u32_e32 0, v62
	s_cbranch_execz .LBB6_7084
; %bb.7079:                             ;   in Loop: Header=BB6_6449 Depth=4
	v_bfe_u32 v63, v62, 23, 8
	v_and_b32_e32 v97, 0x7fffff, v62
	v_cmp_gt_u32_e64 s16, 0x71, v63
	v_sub_nc_u32_e32 v72, 0x70, v63
	v_cmp_eq_u32_e32 vcc_lo, 0, v63
	v_or_b32_e32 v73, 0x800000, v97
	v_cndmask_b32_e64 v72, 0, v72, s16
	v_cndmask_b32_e32 v97, v73, v97, vcc_lo
	v_cndmask_b32_e64 v72, v72, 0x6f, vcc_lo
	v_lshl_add_u32 v73, 0x200000, v72, -1
	v_lshlrev_b32_e64 v74, v72, 0x100000
	v_and_b32_e32 v73, v73, v97
	v_cmp_eq_u32_e64 s16, v73, v74
	v_lshrrev_b32_e32 v73, v72, v97
	v_add_nc_u32_e32 v97, 0xffffff91, v63
	v_lshrrev_b32_e32 v63, 23, v73
	v_cndmask_b32_e64 v97, v97, 0xffffff92, vcc_lo
	v_xor_b32_e32 v63, 1, v63
	v_add_nc_u32_e32 v97, v72, v97
	v_bfe_u32 v72, v73, 21, 1
	v_add_nc_u32_e32 v72, -1, v72
	v_cndmask_b32_e64 v72, 0, v72, s16
	s_mov_b32 s16, exec_lo
	v_add_nc_u32_e32 v72, v72, v73
	v_and_b32_e32 v72, 0x1fffff, v72
	v_add_nc_u32_e32 v72, v72, v73
                                        ; implicit-def: $vgpr73
	v_cmpx_ne_u32_e64 v97, v63
	s_xor_b32 s16, exec_lo, s16
; %bb.7080:                             ;   in Loop: Header=BB6_6449 Depth=4
	v_cmp_lt_u32_e32 vcc_lo, 0xffffff, v72
	v_sub_nc_u32_e32 v97, v97, v63
	v_cndmask_b32_e64 v63, 0, 1, vcc_lo
	v_add_co_ci_u32_e64 v73, null, 0, v97, vcc_lo
	v_lshrrev_b32_e32 v72, v63, v72
; %bb.7081:                             ;   in Loop: Header=BB6_6449 Depth=4
	s_andn2_saveexec_b32 s16, s16
; %bb.7082:                             ;   in Loop: Header=BB6_6449 Depth=4
	v_bfe_u32 v73, v72, 23, 1
; %bb.7083:                             ;   in Loop: Header=BB6_6449 Depth=4
	s_or_b32 exec_lo, exec_lo, s16
	v_and_b32_sdwa v97, v62, v117 dst_sel:DWORD dst_unused:UNUSED_PAD src0_sel:BYTE_3 src1_sel:DWORD
	v_lshrrev_b32_e32 v62, 21, v72
	v_cmp_gt_i32_e32 vcc_lo, 32, v73
	v_min_i32_e32 v63, 31, v73
	v_cndmask_b32_e32 v62, 3, v62, vcc_lo
	v_lshlrev_b32_e32 v63, 2, v63
	v_or_b32_e32 v72, v73, v62
	v_and_b32_e32 v62, 3, v62
	v_cmp_ne_u32_e32 vcc_lo, 0, v72
	v_or3_b32 v97, v63, v97, v62
	v_cndmask_b32_e32 v97, 0, v97, vcc_lo
.LBB6_7084:                             ;   in Loop: Header=BB6_6449 Depth=4
	s_or_b32 exec_lo, exec_lo, s72
.LBB6_7085:                             ;   in Loop: Header=BB6_6449 Depth=4
	s_or_b32 exec_lo, exec_lo, s63
	v_cmp_gt_i16_sdwa s16, v113, v116 src0_sel:BYTE_0 src1_sel:DWORD
	s_mov_b32 s63, 0
	s_and_saveexec_b32 s72, s16
	s_xor_b32 s16, exec_lo, s72
	s_cbranch_execz .LBB6_7643
; %bb.7086:                             ;   in Loop: Header=BB6_6449 Depth=4
	v_cmp_eq_u16_sdwa s73, v113, v117 src0_sel:BYTE_0 src1_sel:DWORD
	s_mov_b32 s63, -1
	s_and_saveexec_b32 s72, s73
; %bb.7087:                             ;   in Loop: Header=BB6_6449 Depth=4
	s_xor_b32 s63, exec_lo, -1
; %bb.7088:                             ;   in Loop: Header=BB6_6449 Depth=4
	s_or_b32 exec_lo, exec_lo, s72
	s_and_b32 s63, s63, exec_lo
	s_or_saveexec_b32 s16, s16
	v_mov_b32_e32 v62, 0x7f800001
	s_xor_b32 exec_lo, exec_lo, s16
	s_cbranch_execnz .LBB6_7644
.LBB6_7089:                             ;   in Loop: Header=BB6_6449 Depth=4
	s_or_b32 exec_lo, exec_lo, s16
	s_and_saveexec_b32 s16, s63
	s_cbranch_execz .LBB6_7091
.LBB6_7090:                             ;   in Loop: Header=BB6_6449 Depth=4
	v_and_b32_e32 v62, 3, v113
	v_lshrrev_b16 v72, 2, v113
	v_ffbh_u32_e32 v63, v62
	v_and_b32_e32 v72, 31, v72
	v_min_u32_e32 v63, 32, v63
	v_cmp_eq_u32_e32 vcc_lo, 0, v72
	v_subrev_nc_u32_e32 v73, 29, v63
	v_sub_nc_u32_e32 v63, 30, v63
	v_lshlrev_b32_e32 v73, v73, v113
	v_lshlrev_b32_e32 v113, 24, v113
	v_cndmask_b32_e32 v63, v72, v63, vcc_lo
	v_and_b32_e32 v73, 3, v73
	v_and_b32_e32 v113, 0x80000000, v113
	v_lshl_add_u32 v63, v63, 23, 0x37800000
	v_cndmask_b32_e32 v62, v62, v73, vcc_lo
	v_lshlrev_b32_e32 v62, 21, v62
	v_or3_b32 v62, v113, v63, v62
.LBB6_7091:                             ;   in Loop: Header=BB6_6449 Depth=4
	s_or_b32 exec_lo, exec_lo, s16
	s_waitcnt vmcnt(22) lgkmcnt(22)
	v_cmp_gt_i16_sdwa s63, v61, v116 src0_sel:BYTE_0 src1_sel:DWORD
	s_mov_b32 s16, 0
	s_and_saveexec_b32 s72, s63
	s_xor_b32 s63, exec_lo, s72
	s_cbranch_execz .LBB6_7645
; %bb.7092:                             ;   in Loop: Header=BB6_6449 Depth=4
	v_cmp_eq_u16_sdwa s73, v61, v117 src0_sel:BYTE_0 src1_sel:DWORD
	s_mov_b32 s16, -1
	s_and_saveexec_b32 s72, s73
; %bb.7093:                             ;   in Loop: Header=BB6_6449 Depth=4
	s_xor_b32 s16, exec_lo, -1
; %bb.7094:                             ;   in Loop: Header=BB6_6449 Depth=4
	s_or_b32 exec_lo, exec_lo, s72
	s_and_b32 s16, s16, exec_lo
	s_or_saveexec_b32 s63, s63
	v_mov_b32_e32 v113, 0x7f800001
	s_xor_b32 exec_lo, exec_lo, s63
	s_cbranch_execnz .LBB6_7646
.LBB6_7095:                             ;   in Loop: Header=BB6_6449 Depth=4
	s_or_b32 exec_lo, exec_lo, s63
	s_and_saveexec_b32 s63, s16
	s_cbranch_execz .LBB6_7097
.LBB6_7096:                             ;   in Loop: Header=BB6_6449 Depth=4
	v_and_b32_e32 v113, 3, v61
	v_lshrrev_b16 v72, 2, v61
	v_ffbh_u32_e32 v63, v113
	v_and_b32_e32 v72, 31, v72
	v_min_u32_e32 v63, 32, v63
	v_cmp_eq_u32_e32 vcc_lo, 0, v72
	v_subrev_nc_u32_e32 v73, 29, v63
	v_sub_nc_u32_e32 v63, 30, v63
	v_lshlrev_b32_e32 v73, v73, v61
	v_lshlrev_b32_e32 v61, 24, v61
	v_cndmask_b32_e32 v63, v72, v63, vcc_lo
	v_and_b32_e32 v73, 3, v73
	v_and_b32_e32 v61, 0x80000000, v61
	v_lshl_add_u32 v63, v63, 23, 0x37800000
	v_cndmask_b32_e32 v113, v113, v73, vcc_lo
	v_lshlrev_b32_e32 v113, 21, v113
	v_or3_b32 v113, v61, v63, v113
.LBB6_7097:                             ;   in Loop: Header=BB6_6449 Depth=4
	s_or_b32 exec_lo, exec_lo, s63
	v_add_f32_e32 v61, v62, v113
	v_and_b32_e32 v113, 0x7f800000, v61
	v_cmp_ne_u32_e32 vcc_lo, 0x7f800000, v113
	v_mov_b32_e32 v113, 0x80
	s_and_saveexec_b32 s63, vcc_lo
	s_cbranch_execz .LBB6_7105
; %bb.7098:                             ;   in Loop: Header=BB6_6449 Depth=4
	v_mov_b32_e32 v113, 0
	s_mov_b32 s72, exec_lo
	v_cmpx_ne_u32_e32 0, v61
	s_cbranch_execz .LBB6_7104
; %bb.7099:                             ;   in Loop: Header=BB6_6449 Depth=4
	v_bfe_u32 v62, v61, 23, 8
	v_and_b32_e32 v113, 0x7fffff, v61
	v_cmp_gt_u32_e64 s16, 0x71, v62
	v_sub_nc_u32_e32 v63, 0x70, v62
	v_cmp_eq_u32_e32 vcc_lo, 0, v62
	v_or_b32_e32 v72, 0x800000, v113
	v_cndmask_b32_e64 v63, 0, v63, s16
	v_cndmask_b32_e32 v113, v72, v113, vcc_lo
	v_cndmask_b32_e64 v63, v63, 0x6f, vcc_lo
	v_lshl_add_u32 v72, 0x200000, v63, -1
	v_lshlrev_b32_e64 v73, v63, 0x100000
	v_and_b32_e32 v72, v72, v113
	v_cmp_eq_u32_e64 s16, v72, v73
	v_lshrrev_b32_e32 v72, v63, v113
	v_add_nc_u32_e32 v113, 0xffffff91, v62
	v_lshrrev_b32_e32 v62, 23, v72
	v_cndmask_b32_e64 v113, v113, 0xffffff92, vcc_lo
	v_xor_b32_e32 v62, 1, v62
	v_add_nc_u32_e32 v113, v63, v113
	v_bfe_u32 v63, v72, 21, 1
	v_add_nc_u32_e32 v63, -1, v63
	v_cndmask_b32_e64 v63, 0, v63, s16
	s_mov_b32 s16, exec_lo
	v_add_nc_u32_e32 v63, v63, v72
	v_and_b32_e32 v63, 0x1fffff, v63
	v_add_nc_u32_e32 v63, v63, v72
                                        ; implicit-def: $vgpr72
	v_cmpx_ne_u32_e64 v113, v62
	s_xor_b32 s16, exec_lo, s16
; %bb.7100:                             ;   in Loop: Header=BB6_6449 Depth=4
	v_cmp_lt_u32_e32 vcc_lo, 0xffffff, v63
	v_sub_nc_u32_e32 v113, v113, v62
	v_cndmask_b32_e64 v62, 0, 1, vcc_lo
	v_add_co_ci_u32_e64 v72, null, 0, v113, vcc_lo
	v_lshrrev_b32_e32 v63, v62, v63
; %bb.7101:                             ;   in Loop: Header=BB6_6449 Depth=4
	s_andn2_saveexec_b32 s16, s16
; %bb.7102:                             ;   in Loop: Header=BB6_6449 Depth=4
	v_bfe_u32 v72, v63, 23, 1
; %bb.7103:                             ;   in Loop: Header=BB6_6449 Depth=4
	s_or_b32 exec_lo, exec_lo, s16
	v_and_b32_sdwa v113, v61, v117 dst_sel:DWORD dst_unused:UNUSED_PAD src0_sel:BYTE_3 src1_sel:DWORD
	v_lshrrev_b32_e32 v61, 21, v63
	v_cmp_gt_i32_e32 vcc_lo, 32, v72
	v_min_i32_e32 v62, 31, v72
	v_cndmask_b32_e32 v61, 3, v61, vcc_lo
	v_lshlrev_b32_e32 v62, 2, v62
	v_or_b32_e32 v63, v72, v61
	v_and_b32_e32 v61, 3, v61
	v_cmp_ne_u32_e32 vcc_lo, 0, v63
	v_or3_b32 v113, v62, v113, v61
	v_cndmask_b32_e32 v113, 0, v113, vcc_lo
.LBB6_7104:                             ;   in Loop: Header=BB6_6449 Depth=4
	s_or_b32 exec_lo, exec_lo, s72
.LBB6_7105:                             ;   in Loop: Header=BB6_6449 Depth=4
	s_or_b32 exec_lo, exec_lo, s63
	v_cmp_gt_i16_sdwa s16, v102, v116 src0_sel:BYTE_0 src1_sel:DWORD
	s_mov_b32 s63, 0
	s_and_saveexec_b32 s72, s16
	s_xor_b32 s16, exec_lo, s72
	s_cbranch_execz .LBB6_7647
; %bb.7106:                             ;   in Loop: Header=BB6_6449 Depth=4
	v_cmp_eq_u16_sdwa s73, v102, v117 src0_sel:BYTE_0 src1_sel:DWORD
	s_mov_b32 s63, -1
	s_and_saveexec_b32 s72, s73
; %bb.7107:                             ;   in Loop: Header=BB6_6449 Depth=4
	s_xor_b32 s63, exec_lo, -1
; %bb.7108:                             ;   in Loop: Header=BB6_6449 Depth=4
	s_or_b32 exec_lo, exec_lo, s72
	s_and_b32 s63, s63, exec_lo
	s_or_saveexec_b32 s16, s16
	v_mov_b32_e32 v61, 0x7f800001
	s_xor_b32 exec_lo, exec_lo, s16
	s_cbranch_execnz .LBB6_7648
.LBB6_7109:                             ;   in Loop: Header=BB6_6449 Depth=4
	s_or_b32 exec_lo, exec_lo, s16
	s_and_saveexec_b32 s16, s63
	s_cbranch_execz .LBB6_7111
.LBB6_7110:                             ;   in Loop: Header=BB6_6449 Depth=4
	v_and_b32_e32 v61, 3, v102
	v_lshrrev_b16 v63, 2, v102
	v_ffbh_u32_e32 v62, v61
	v_and_b32_e32 v63, 31, v63
	v_min_u32_e32 v62, 32, v62
	v_cmp_eq_u32_e32 vcc_lo, 0, v63
	v_subrev_nc_u32_e32 v72, 29, v62
	v_sub_nc_u32_e32 v62, 30, v62
	v_lshlrev_b32_e32 v72, v72, v102
	v_lshlrev_b32_e32 v102, 24, v102
	v_cndmask_b32_e32 v62, v63, v62, vcc_lo
	v_and_b32_e32 v72, 3, v72
	v_and_b32_e32 v102, 0x80000000, v102
	v_lshl_add_u32 v62, v62, 23, 0x37800000
	v_cndmask_b32_e32 v61, v61, v72, vcc_lo
	v_lshlrev_b32_e32 v61, 21, v61
	v_or3_b32 v61, v102, v62, v61
.LBB6_7111:                             ;   in Loop: Header=BB6_6449 Depth=4
	s_or_b32 exec_lo, exec_lo, s16
	s_waitcnt vmcnt(21) lgkmcnt(21)
	v_cmp_gt_i16_sdwa s63, v60, v116 src0_sel:BYTE_0 src1_sel:DWORD
	s_mov_b32 s16, 0
	s_and_saveexec_b32 s72, s63
	s_xor_b32 s63, exec_lo, s72
	s_cbranch_execz .LBB6_7649
; %bb.7112:                             ;   in Loop: Header=BB6_6449 Depth=4
	v_cmp_eq_u16_sdwa s73, v60, v117 src0_sel:BYTE_0 src1_sel:DWORD
	s_mov_b32 s16, -1
	s_and_saveexec_b32 s72, s73
; %bb.7113:                             ;   in Loop: Header=BB6_6449 Depth=4
	s_xor_b32 s16, exec_lo, -1
; %bb.7114:                             ;   in Loop: Header=BB6_6449 Depth=4
	s_or_b32 exec_lo, exec_lo, s72
	s_and_b32 s16, s16, exec_lo
	s_or_saveexec_b32 s63, s63
	v_mov_b32_e32 v102, 0x7f800001
	s_xor_b32 exec_lo, exec_lo, s63
	s_cbranch_execnz .LBB6_7650
.LBB6_7115:                             ;   in Loop: Header=BB6_6449 Depth=4
	s_or_b32 exec_lo, exec_lo, s63
	s_and_saveexec_b32 s63, s16
	s_cbranch_execz .LBB6_7117
.LBB6_7116:                             ;   in Loop: Header=BB6_6449 Depth=4
	v_and_b32_e32 v102, 3, v60
	v_lshrrev_b16 v63, 2, v60
	v_ffbh_u32_e32 v62, v102
	v_and_b32_e32 v63, 31, v63
	v_min_u32_e32 v62, 32, v62
	v_cmp_eq_u32_e32 vcc_lo, 0, v63
	v_subrev_nc_u32_e32 v72, 29, v62
	v_sub_nc_u32_e32 v62, 30, v62
	v_lshlrev_b32_e32 v72, v72, v60
	v_lshlrev_b32_e32 v60, 24, v60
	v_cndmask_b32_e32 v62, v63, v62, vcc_lo
	v_and_b32_e32 v72, 3, v72
	v_and_b32_e32 v60, 0x80000000, v60
	v_lshl_add_u32 v62, v62, 23, 0x37800000
	v_cndmask_b32_e32 v102, v102, v72, vcc_lo
	v_lshlrev_b32_e32 v102, 21, v102
	v_or3_b32 v102, v60, v62, v102
.LBB6_7117:                             ;   in Loop: Header=BB6_6449 Depth=4
	s_or_b32 exec_lo, exec_lo, s63
	v_add_f32_e32 v60, v61, v102
	v_and_b32_e32 v102, 0x7f800000, v60
	v_cmp_ne_u32_e32 vcc_lo, 0x7f800000, v102
	v_mov_b32_e32 v102, 0x80
	s_and_saveexec_b32 s63, vcc_lo
	s_cbranch_execz .LBB6_7125
; %bb.7118:                             ;   in Loop: Header=BB6_6449 Depth=4
	v_mov_b32_e32 v102, 0
	s_mov_b32 s72, exec_lo
	v_cmpx_ne_u32_e32 0, v60
	s_cbranch_execz .LBB6_7124
; %bb.7119:                             ;   in Loop: Header=BB6_6449 Depth=4
	v_bfe_u32 v61, v60, 23, 8
	v_and_b32_e32 v102, 0x7fffff, v60
	v_cmp_gt_u32_e64 s16, 0x71, v61
	v_sub_nc_u32_e32 v62, 0x70, v61
	v_cmp_eq_u32_e32 vcc_lo, 0, v61
	v_or_b32_e32 v63, 0x800000, v102
	v_cndmask_b32_e64 v62, 0, v62, s16
	v_cndmask_b32_e32 v102, v63, v102, vcc_lo
	v_cndmask_b32_e64 v62, v62, 0x6f, vcc_lo
	v_lshl_add_u32 v63, 0x200000, v62, -1
	v_lshlrev_b32_e64 v72, v62, 0x100000
	v_and_b32_e32 v63, v63, v102
	v_cmp_eq_u32_e64 s16, v63, v72
	v_lshrrev_b32_e32 v63, v62, v102
	v_add_nc_u32_e32 v102, 0xffffff91, v61
	v_lshrrev_b32_e32 v61, 23, v63
	v_cndmask_b32_e64 v102, v102, 0xffffff92, vcc_lo
	v_xor_b32_e32 v61, 1, v61
	v_add_nc_u32_e32 v102, v62, v102
	v_bfe_u32 v62, v63, 21, 1
	v_add_nc_u32_e32 v62, -1, v62
	v_cndmask_b32_e64 v62, 0, v62, s16
	s_mov_b32 s16, exec_lo
	v_add_nc_u32_e32 v62, v62, v63
	v_and_b32_e32 v62, 0x1fffff, v62
	v_add_nc_u32_e32 v62, v62, v63
                                        ; implicit-def: $vgpr63
	v_cmpx_ne_u32_e64 v102, v61
	s_xor_b32 s16, exec_lo, s16
; %bb.7120:                             ;   in Loop: Header=BB6_6449 Depth=4
	v_cmp_lt_u32_e32 vcc_lo, 0xffffff, v62
	v_sub_nc_u32_e32 v102, v102, v61
	v_cndmask_b32_e64 v61, 0, 1, vcc_lo
	v_add_co_ci_u32_e64 v63, null, 0, v102, vcc_lo
	v_lshrrev_b32_e32 v62, v61, v62
; %bb.7121:                             ;   in Loop: Header=BB6_6449 Depth=4
	s_andn2_saveexec_b32 s16, s16
; %bb.7122:                             ;   in Loop: Header=BB6_6449 Depth=4
	v_bfe_u32 v63, v62, 23, 1
; %bb.7123:                             ;   in Loop: Header=BB6_6449 Depth=4
	s_or_b32 exec_lo, exec_lo, s16
	v_and_b32_sdwa v102, v60, v117 dst_sel:DWORD dst_unused:UNUSED_PAD src0_sel:BYTE_3 src1_sel:DWORD
	v_lshrrev_b32_e32 v60, 21, v62
	v_cmp_gt_i32_e32 vcc_lo, 32, v63
	v_min_i32_e32 v61, 31, v63
	v_cndmask_b32_e32 v60, 3, v60, vcc_lo
	v_lshlrev_b32_e32 v61, 2, v61
	v_or_b32_e32 v62, v63, v60
	v_and_b32_e32 v60, 3, v60
	v_cmp_ne_u32_e32 vcc_lo, 0, v62
	v_or3_b32 v102, v61, v102, v60
	v_cndmask_b32_e32 v102, 0, v102, vcc_lo
.LBB6_7124:                             ;   in Loop: Header=BB6_6449 Depth=4
	s_or_b32 exec_lo, exec_lo, s72
.LBB6_7125:                             ;   in Loop: Header=BB6_6449 Depth=4
	s_or_b32 exec_lo, exec_lo, s63
	v_cmp_gt_i16_sdwa s16, v101, v116 src0_sel:BYTE_0 src1_sel:DWORD
	s_mov_b32 s63, 0
	s_and_saveexec_b32 s72, s16
	s_xor_b32 s16, exec_lo, s72
	s_cbranch_execz .LBB6_7651
; %bb.7126:                             ;   in Loop: Header=BB6_6449 Depth=4
	v_cmp_eq_u16_sdwa s73, v101, v117 src0_sel:BYTE_0 src1_sel:DWORD
	s_mov_b32 s63, -1
	s_and_saveexec_b32 s72, s73
; %bb.7127:                             ;   in Loop: Header=BB6_6449 Depth=4
	s_xor_b32 s63, exec_lo, -1
; %bb.7128:                             ;   in Loop: Header=BB6_6449 Depth=4
	s_or_b32 exec_lo, exec_lo, s72
	s_and_b32 s63, s63, exec_lo
	s_or_saveexec_b32 s16, s16
	v_mov_b32_e32 v60, 0x7f800001
	s_xor_b32 exec_lo, exec_lo, s16
	s_cbranch_execnz .LBB6_7652
.LBB6_7129:                             ;   in Loop: Header=BB6_6449 Depth=4
	s_or_b32 exec_lo, exec_lo, s16
	s_and_saveexec_b32 s16, s63
	s_cbranch_execz .LBB6_7131
.LBB6_7130:                             ;   in Loop: Header=BB6_6449 Depth=4
	v_and_b32_e32 v60, 3, v101
	v_lshrrev_b16 v62, 2, v101
	v_ffbh_u32_e32 v61, v60
	v_and_b32_e32 v62, 31, v62
	v_min_u32_e32 v61, 32, v61
	v_cmp_eq_u32_e32 vcc_lo, 0, v62
	v_subrev_nc_u32_e32 v63, 29, v61
	v_sub_nc_u32_e32 v61, 30, v61
	v_lshlrev_b32_e32 v63, v63, v101
	v_lshlrev_b32_e32 v101, 24, v101
	v_cndmask_b32_e32 v61, v62, v61, vcc_lo
	v_and_b32_e32 v63, 3, v63
	v_and_b32_e32 v101, 0x80000000, v101
	v_lshl_add_u32 v61, v61, 23, 0x37800000
	v_cndmask_b32_e32 v60, v60, v63, vcc_lo
	v_lshlrev_b32_e32 v60, 21, v60
	v_or3_b32 v60, v101, v61, v60
.LBB6_7131:                             ;   in Loop: Header=BB6_6449 Depth=4
	s_or_b32 exec_lo, exec_lo, s16
	s_waitcnt vmcnt(20) lgkmcnt(20)
	v_cmp_gt_i16_sdwa s63, v59, v116 src0_sel:BYTE_0 src1_sel:DWORD
	s_mov_b32 s16, 0
	s_and_saveexec_b32 s72, s63
	s_xor_b32 s63, exec_lo, s72
	s_cbranch_execz .LBB6_7653
; %bb.7132:                             ;   in Loop: Header=BB6_6449 Depth=4
	v_cmp_eq_u16_sdwa s73, v59, v117 src0_sel:BYTE_0 src1_sel:DWORD
	s_mov_b32 s16, -1
	s_and_saveexec_b32 s72, s73
; %bb.7133:                             ;   in Loop: Header=BB6_6449 Depth=4
	s_xor_b32 s16, exec_lo, -1
; %bb.7134:                             ;   in Loop: Header=BB6_6449 Depth=4
	s_or_b32 exec_lo, exec_lo, s72
	s_and_b32 s16, s16, exec_lo
	s_or_saveexec_b32 s63, s63
	v_mov_b32_e32 v101, 0x7f800001
	s_xor_b32 exec_lo, exec_lo, s63
	s_cbranch_execnz .LBB6_7654
.LBB6_7135:                             ;   in Loop: Header=BB6_6449 Depth=4
	s_or_b32 exec_lo, exec_lo, s63
	s_and_saveexec_b32 s63, s16
	s_cbranch_execz .LBB6_7137
.LBB6_7136:                             ;   in Loop: Header=BB6_6449 Depth=4
	v_and_b32_e32 v101, 3, v59
	v_lshrrev_b16 v62, 2, v59
	v_ffbh_u32_e32 v61, v101
	v_and_b32_e32 v62, 31, v62
	v_min_u32_e32 v61, 32, v61
	v_cmp_eq_u32_e32 vcc_lo, 0, v62
	v_subrev_nc_u32_e32 v63, 29, v61
	v_sub_nc_u32_e32 v61, 30, v61
	v_lshlrev_b32_e32 v63, v63, v59
	v_lshlrev_b32_e32 v59, 24, v59
	v_cndmask_b32_e32 v61, v62, v61, vcc_lo
	v_and_b32_e32 v63, 3, v63
	v_and_b32_e32 v59, 0x80000000, v59
	v_lshl_add_u32 v61, v61, 23, 0x37800000
	v_cndmask_b32_e32 v101, v101, v63, vcc_lo
	v_lshlrev_b32_e32 v101, 21, v101
	v_or3_b32 v101, v59, v61, v101
.LBB6_7137:                             ;   in Loop: Header=BB6_6449 Depth=4
	s_or_b32 exec_lo, exec_lo, s63
	v_add_f32_e32 v59, v60, v101
	v_and_b32_e32 v101, 0x7f800000, v59
	v_cmp_ne_u32_e32 vcc_lo, 0x7f800000, v101
	v_mov_b32_e32 v101, 0x80
	s_and_saveexec_b32 s63, vcc_lo
	s_cbranch_execz .LBB6_7145
; %bb.7138:                             ;   in Loop: Header=BB6_6449 Depth=4
	v_mov_b32_e32 v101, 0
	s_mov_b32 s72, exec_lo
	v_cmpx_ne_u32_e32 0, v59
	s_cbranch_execz .LBB6_7144
; %bb.7139:                             ;   in Loop: Header=BB6_6449 Depth=4
	v_bfe_u32 v60, v59, 23, 8
	v_and_b32_e32 v101, 0x7fffff, v59
	v_cmp_gt_u32_e64 s16, 0x71, v60
	v_sub_nc_u32_e32 v61, 0x70, v60
	v_cmp_eq_u32_e32 vcc_lo, 0, v60
	v_or_b32_e32 v62, 0x800000, v101
	v_cndmask_b32_e64 v61, 0, v61, s16
	v_cndmask_b32_e32 v101, v62, v101, vcc_lo
	v_cndmask_b32_e64 v61, v61, 0x6f, vcc_lo
	v_lshl_add_u32 v62, 0x200000, v61, -1
	v_lshlrev_b32_e64 v63, v61, 0x100000
	v_and_b32_e32 v62, v62, v101
	v_cmp_eq_u32_e64 s16, v62, v63
	v_lshrrev_b32_e32 v62, v61, v101
	v_add_nc_u32_e32 v101, 0xffffff91, v60
	v_lshrrev_b32_e32 v60, 23, v62
	v_cndmask_b32_e64 v101, v101, 0xffffff92, vcc_lo
	v_xor_b32_e32 v60, 1, v60
	v_add_nc_u32_e32 v101, v61, v101
	v_bfe_u32 v61, v62, 21, 1
	v_add_nc_u32_e32 v61, -1, v61
	v_cndmask_b32_e64 v61, 0, v61, s16
	s_mov_b32 s16, exec_lo
	v_add_nc_u32_e32 v61, v61, v62
	v_and_b32_e32 v61, 0x1fffff, v61
	v_add_nc_u32_e32 v61, v61, v62
                                        ; implicit-def: $vgpr62
	v_cmpx_ne_u32_e64 v101, v60
	s_xor_b32 s16, exec_lo, s16
; %bb.7140:                             ;   in Loop: Header=BB6_6449 Depth=4
	v_cmp_lt_u32_e32 vcc_lo, 0xffffff, v61
	v_sub_nc_u32_e32 v101, v101, v60
	v_cndmask_b32_e64 v60, 0, 1, vcc_lo
	v_add_co_ci_u32_e64 v62, null, 0, v101, vcc_lo
	v_lshrrev_b32_e32 v61, v60, v61
; %bb.7141:                             ;   in Loop: Header=BB6_6449 Depth=4
	s_andn2_saveexec_b32 s16, s16
; %bb.7142:                             ;   in Loop: Header=BB6_6449 Depth=4
	v_bfe_u32 v62, v61, 23, 1
; %bb.7143:                             ;   in Loop: Header=BB6_6449 Depth=4
	s_or_b32 exec_lo, exec_lo, s16
	v_and_b32_sdwa v101, v59, v117 dst_sel:DWORD dst_unused:UNUSED_PAD src0_sel:BYTE_3 src1_sel:DWORD
	v_lshrrev_b32_e32 v59, 21, v61
	v_cmp_gt_i32_e32 vcc_lo, 32, v62
	v_min_i32_e32 v60, 31, v62
	v_cndmask_b32_e32 v59, 3, v59, vcc_lo
	v_lshlrev_b32_e32 v60, 2, v60
	v_or_b32_e32 v61, v62, v59
	v_and_b32_e32 v59, 3, v59
	v_cmp_ne_u32_e32 vcc_lo, 0, v61
	v_or3_b32 v101, v60, v101, v59
	v_cndmask_b32_e32 v101, 0, v101, vcc_lo
.LBB6_7144:                             ;   in Loop: Header=BB6_6449 Depth=4
	s_or_b32 exec_lo, exec_lo, s72
.LBB6_7145:                             ;   in Loop: Header=BB6_6449 Depth=4
	s_or_b32 exec_lo, exec_lo, s63
	v_cmp_gt_i16_sdwa s16, v87, v116 src0_sel:BYTE_0 src1_sel:DWORD
	s_mov_b32 s63, 0
	s_and_saveexec_b32 s72, s16
	s_xor_b32 s16, exec_lo, s72
	s_cbranch_execz .LBB6_7655
; %bb.7146:                             ;   in Loop: Header=BB6_6449 Depth=4
	v_cmp_eq_u16_sdwa s73, v87, v117 src0_sel:BYTE_0 src1_sel:DWORD
	s_mov_b32 s63, -1
	s_and_saveexec_b32 s72, s73
; %bb.7147:                             ;   in Loop: Header=BB6_6449 Depth=4
	s_xor_b32 s63, exec_lo, -1
; %bb.7148:                             ;   in Loop: Header=BB6_6449 Depth=4
	s_or_b32 exec_lo, exec_lo, s72
	s_and_b32 s63, s63, exec_lo
	s_or_saveexec_b32 s16, s16
	v_mov_b32_e32 v59, 0x7f800001
	s_xor_b32 exec_lo, exec_lo, s16
	s_cbranch_execnz .LBB6_7656
.LBB6_7149:                             ;   in Loop: Header=BB6_6449 Depth=4
	s_or_b32 exec_lo, exec_lo, s16
	s_and_saveexec_b32 s16, s63
	s_cbranch_execz .LBB6_7151
.LBB6_7150:                             ;   in Loop: Header=BB6_6449 Depth=4
	v_and_b32_e32 v59, 3, v87
	v_lshrrev_b16 v61, 2, v87
	v_ffbh_u32_e32 v60, v59
	v_and_b32_e32 v61, 31, v61
	v_min_u32_e32 v60, 32, v60
	v_cmp_eq_u32_e32 vcc_lo, 0, v61
	v_subrev_nc_u32_e32 v62, 29, v60
	v_sub_nc_u32_e32 v60, 30, v60
	v_lshlrev_b32_e32 v62, v62, v87
	v_lshlrev_b32_e32 v87, 24, v87
	v_cndmask_b32_e32 v60, v61, v60, vcc_lo
	v_and_b32_e32 v62, 3, v62
	v_and_b32_e32 v87, 0x80000000, v87
	v_lshl_add_u32 v60, v60, 23, 0x37800000
	v_cndmask_b32_e32 v59, v59, v62, vcc_lo
	v_lshlrev_b32_e32 v59, 21, v59
	v_or3_b32 v59, v87, v60, v59
.LBB6_7151:                             ;   in Loop: Header=BB6_6449 Depth=4
	s_or_b32 exec_lo, exec_lo, s16
	s_waitcnt vmcnt(19) lgkmcnt(19)
	v_cmp_gt_i16_sdwa s63, v45, v116 src0_sel:BYTE_0 src1_sel:DWORD
	s_mov_b32 s16, 0
	s_and_saveexec_b32 s72, s63
	s_xor_b32 s63, exec_lo, s72
	s_cbranch_execz .LBB6_7657
; %bb.7152:                             ;   in Loop: Header=BB6_6449 Depth=4
	v_cmp_eq_u16_sdwa s73, v45, v117 src0_sel:BYTE_0 src1_sel:DWORD
	s_mov_b32 s16, -1
	s_and_saveexec_b32 s72, s73
; %bb.7153:                             ;   in Loop: Header=BB6_6449 Depth=4
	s_xor_b32 s16, exec_lo, -1
; %bb.7154:                             ;   in Loop: Header=BB6_6449 Depth=4
	s_or_b32 exec_lo, exec_lo, s72
	s_and_b32 s16, s16, exec_lo
	s_or_saveexec_b32 s63, s63
	v_mov_b32_e32 v87, 0x7f800001
	s_xor_b32 exec_lo, exec_lo, s63
	s_cbranch_execnz .LBB6_7658
.LBB6_7155:                             ;   in Loop: Header=BB6_6449 Depth=4
	s_or_b32 exec_lo, exec_lo, s63
	s_and_saveexec_b32 s63, s16
	s_cbranch_execz .LBB6_7157
.LBB6_7156:                             ;   in Loop: Header=BB6_6449 Depth=4
	v_and_b32_e32 v87, 3, v45
	v_lshrrev_b16 v61, 2, v45
	v_ffbh_u32_e32 v60, v87
	v_and_b32_e32 v61, 31, v61
	v_min_u32_e32 v60, 32, v60
	v_cmp_eq_u32_e32 vcc_lo, 0, v61
	v_subrev_nc_u32_e32 v62, 29, v60
	v_sub_nc_u32_e32 v60, 30, v60
	v_lshlrev_b32_e32 v62, v62, v45
	v_lshlrev_b32_e32 v45, 24, v45
	v_cndmask_b32_e32 v60, v61, v60, vcc_lo
	v_and_b32_e32 v62, 3, v62
	v_and_b32_e32 v45, 0x80000000, v45
	v_lshl_add_u32 v60, v60, 23, 0x37800000
	v_cndmask_b32_e32 v87, v87, v62, vcc_lo
	v_lshlrev_b32_e32 v87, 21, v87
	v_or3_b32 v87, v45, v60, v87
.LBB6_7157:                             ;   in Loop: Header=BB6_6449 Depth=4
	s_or_b32 exec_lo, exec_lo, s63
	v_add_f32_e32 v45, v59, v87
	v_and_b32_e32 v87, 0x7f800000, v45
	v_cmp_ne_u32_e32 vcc_lo, 0x7f800000, v87
	v_mov_b32_e32 v87, 0x80
	s_and_saveexec_b32 s63, vcc_lo
	s_cbranch_execz .LBB6_7165
; %bb.7158:                             ;   in Loop: Header=BB6_6449 Depth=4
	v_mov_b32_e32 v87, 0
	s_mov_b32 s72, exec_lo
	v_cmpx_ne_u32_e32 0, v45
	s_cbranch_execz .LBB6_7164
; %bb.7159:                             ;   in Loop: Header=BB6_6449 Depth=4
	v_bfe_u32 v59, v45, 23, 8
	v_and_b32_e32 v87, 0x7fffff, v45
	v_cmp_gt_u32_e64 s16, 0x71, v59
	v_sub_nc_u32_e32 v60, 0x70, v59
	v_cmp_eq_u32_e32 vcc_lo, 0, v59
	v_or_b32_e32 v61, 0x800000, v87
	v_cndmask_b32_e64 v60, 0, v60, s16
	v_cndmask_b32_e32 v87, v61, v87, vcc_lo
	v_cndmask_b32_e64 v60, v60, 0x6f, vcc_lo
	v_lshl_add_u32 v61, 0x200000, v60, -1
	v_lshlrev_b32_e64 v62, v60, 0x100000
	v_and_b32_e32 v61, v61, v87
	v_cmp_eq_u32_e64 s16, v61, v62
	v_lshrrev_b32_e32 v61, v60, v87
	v_add_nc_u32_e32 v87, 0xffffff91, v59
	v_lshrrev_b32_e32 v59, 23, v61
	v_cndmask_b32_e64 v87, v87, 0xffffff92, vcc_lo
	v_xor_b32_e32 v59, 1, v59
	v_add_nc_u32_e32 v87, v60, v87
	v_bfe_u32 v60, v61, 21, 1
	v_add_nc_u32_e32 v60, -1, v60
	v_cndmask_b32_e64 v60, 0, v60, s16
	s_mov_b32 s16, exec_lo
	v_add_nc_u32_e32 v60, v60, v61
	v_and_b32_e32 v60, 0x1fffff, v60
	v_add_nc_u32_e32 v60, v60, v61
                                        ; implicit-def: $vgpr61
	v_cmpx_ne_u32_e64 v87, v59
	s_xor_b32 s16, exec_lo, s16
; %bb.7160:                             ;   in Loop: Header=BB6_6449 Depth=4
	v_cmp_lt_u32_e32 vcc_lo, 0xffffff, v60
	v_sub_nc_u32_e32 v87, v87, v59
	v_cndmask_b32_e64 v59, 0, 1, vcc_lo
	v_add_co_ci_u32_e64 v61, null, 0, v87, vcc_lo
	v_lshrrev_b32_e32 v60, v59, v60
; %bb.7161:                             ;   in Loop: Header=BB6_6449 Depth=4
	s_andn2_saveexec_b32 s16, s16
; %bb.7162:                             ;   in Loop: Header=BB6_6449 Depth=4
	v_bfe_u32 v61, v60, 23, 1
; %bb.7163:                             ;   in Loop: Header=BB6_6449 Depth=4
	s_or_b32 exec_lo, exec_lo, s16
	v_and_b32_sdwa v87, v45, v117 dst_sel:DWORD dst_unused:UNUSED_PAD src0_sel:BYTE_3 src1_sel:DWORD
	v_lshrrev_b32_e32 v45, 21, v60
	v_cmp_gt_i32_e32 vcc_lo, 32, v61
	v_min_i32_e32 v59, 31, v61
	v_cndmask_b32_e32 v45, 3, v45, vcc_lo
	v_lshlrev_b32_e32 v59, 2, v59
	v_or_b32_e32 v60, v61, v45
	v_and_b32_e32 v45, 3, v45
	v_cmp_ne_u32_e32 vcc_lo, 0, v60
	v_or3_b32 v87, v59, v87, v45
	v_cndmask_b32_e32 v87, 0, v87, vcc_lo
.LBB6_7164:                             ;   in Loop: Header=BB6_6449 Depth=4
	s_or_b32 exec_lo, exec_lo, s72
.LBB6_7165:                             ;   in Loop: Header=BB6_6449 Depth=4
	s_or_b32 exec_lo, exec_lo, s63
	v_cmp_gt_i16_sdwa s16, v86, v116 src0_sel:BYTE_0 src1_sel:DWORD
	s_mov_b32 s63, 0
	s_and_saveexec_b32 s72, s16
	s_xor_b32 s16, exec_lo, s72
	s_cbranch_execz .LBB6_7659
; %bb.7166:                             ;   in Loop: Header=BB6_6449 Depth=4
	v_cmp_eq_u16_sdwa s73, v86, v117 src0_sel:BYTE_0 src1_sel:DWORD
	s_mov_b32 s63, -1
	s_and_saveexec_b32 s72, s73
; %bb.7167:                             ;   in Loop: Header=BB6_6449 Depth=4
	s_xor_b32 s63, exec_lo, -1
; %bb.7168:                             ;   in Loop: Header=BB6_6449 Depth=4
	s_or_b32 exec_lo, exec_lo, s72
	s_and_b32 s63, s63, exec_lo
	s_or_saveexec_b32 s16, s16
	v_mov_b32_e32 v45, 0x7f800001
	s_xor_b32 exec_lo, exec_lo, s16
	s_cbranch_execnz .LBB6_7660
.LBB6_7169:                             ;   in Loop: Header=BB6_6449 Depth=4
	s_or_b32 exec_lo, exec_lo, s16
	s_and_saveexec_b32 s16, s63
	s_cbranch_execz .LBB6_7171
.LBB6_7170:                             ;   in Loop: Header=BB6_6449 Depth=4
	v_and_b32_e32 v45, 3, v86
	v_lshrrev_b16 v60, 2, v86
	v_ffbh_u32_e32 v59, v45
	v_and_b32_e32 v60, 31, v60
	v_min_u32_e32 v59, 32, v59
	v_cmp_eq_u32_e32 vcc_lo, 0, v60
	v_subrev_nc_u32_e32 v61, 29, v59
	v_sub_nc_u32_e32 v59, 30, v59
	v_lshlrev_b32_e32 v61, v61, v86
	v_lshlrev_b32_e32 v86, 24, v86
	v_cndmask_b32_e32 v59, v60, v59, vcc_lo
	v_and_b32_e32 v61, 3, v61
	v_and_b32_e32 v86, 0x80000000, v86
	v_lshl_add_u32 v59, v59, 23, 0x37800000
	v_cndmask_b32_e32 v45, v45, v61, vcc_lo
	v_lshlrev_b32_e32 v45, 21, v45
	v_or3_b32 v45, v86, v59, v45
.LBB6_7171:                             ;   in Loop: Header=BB6_6449 Depth=4
	s_or_b32 exec_lo, exec_lo, s16
	s_waitcnt vmcnt(18) lgkmcnt(18)
	v_cmp_gt_i16_sdwa s63, v58, v116 src0_sel:BYTE_0 src1_sel:DWORD
	s_mov_b32 s16, 0
	s_and_saveexec_b32 s72, s63
	s_xor_b32 s63, exec_lo, s72
	s_cbranch_execz .LBB6_7661
; %bb.7172:                             ;   in Loop: Header=BB6_6449 Depth=4
	v_cmp_eq_u16_sdwa s73, v58, v117 src0_sel:BYTE_0 src1_sel:DWORD
	s_mov_b32 s16, -1
	s_and_saveexec_b32 s72, s73
; %bb.7173:                             ;   in Loop: Header=BB6_6449 Depth=4
	s_xor_b32 s16, exec_lo, -1
; %bb.7174:                             ;   in Loop: Header=BB6_6449 Depth=4
	s_or_b32 exec_lo, exec_lo, s72
	s_and_b32 s16, s16, exec_lo
	s_or_saveexec_b32 s63, s63
	v_mov_b32_e32 v86, 0x7f800001
	s_xor_b32 exec_lo, exec_lo, s63
	s_cbranch_execnz .LBB6_7662
.LBB6_7175:                             ;   in Loop: Header=BB6_6449 Depth=4
	s_or_b32 exec_lo, exec_lo, s63
	s_and_saveexec_b32 s63, s16
	s_cbranch_execz .LBB6_7177
.LBB6_7176:                             ;   in Loop: Header=BB6_6449 Depth=4
	v_and_b32_e32 v86, 3, v58
	v_lshrrev_b16 v60, 2, v58
	v_ffbh_u32_e32 v59, v86
	v_and_b32_e32 v60, 31, v60
	v_min_u32_e32 v59, 32, v59
	v_cmp_eq_u32_e32 vcc_lo, 0, v60
	v_subrev_nc_u32_e32 v61, 29, v59
	v_sub_nc_u32_e32 v59, 30, v59
	v_lshlrev_b32_e32 v61, v61, v58
	v_lshlrev_b32_e32 v58, 24, v58
	v_cndmask_b32_e32 v59, v60, v59, vcc_lo
	v_and_b32_e32 v61, 3, v61
	v_and_b32_e32 v58, 0x80000000, v58
	v_lshl_add_u32 v59, v59, 23, 0x37800000
	v_cndmask_b32_e32 v86, v86, v61, vcc_lo
	v_lshlrev_b32_e32 v86, 21, v86
	v_or3_b32 v86, v58, v59, v86
.LBB6_7177:                             ;   in Loop: Header=BB6_6449 Depth=4
	s_or_b32 exec_lo, exec_lo, s63
	v_add_f32_e32 v45, v45, v86
	v_and_b32_e32 v86, 0x7f800000, v45
	v_cmp_ne_u32_e32 vcc_lo, 0x7f800000, v86
	v_mov_b32_e32 v86, 0x80
	s_and_saveexec_b32 s63, vcc_lo
	s_cbranch_execz .LBB6_7185
; %bb.7178:                             ;   in Loop: Header=BB6_6449 Depth=4
	v_mov_b32_e32 v86, 0
	s_mov_b32 s72, exec_lo
	v_cmpx_ne_u32_e32 0, v45
	s_cbranch_execz .LBB6_7184
; %bb.7179:                             ;   in Loop: Header=BB6_6449 Depth=4
	v_bfe_u32 v58, v45, 23, 8
	v_and_b32_e32 v86, 0x7fffff, v45
	v_cmp_gt_u32_e64 s16, 0x71, v58
	v_sub_nc_u32_e32 v59, 0x70, v58
	v_cmp_eq_u32_e32 vcc_lo, 0, v58
	v_or_b32_e32 v60, 0x800000, v86
	v_cndmask_b32_e64 v59, 0, v59, s16
	v_cndmask_b32_e32 v86, v60, v86, vcc_lo
	v_cndmask_b32_e64 v59, v59, 0x6f, vcc_lo
	v_lshl_add_u32 v60, 0x200000, v59, -1
	v_lshlrev_b32_e64 v61, v59, 0x100000
	v_and_b32_e32 v60, v60, v86
	v_cmp_eq_u32_e64 s16, v60, v61
	v_lshrrev_b32_e32 v60, v59, v86
	v_add_nc_u32_e32 v86, 0xffffff91, v58
	v_lshrrev_b32_e32 v58, 23, v60
	v_cndmask_b32_e64 v86, v86, 0xffffff92, vcc_lo
	v_xor_b32_e32 v58, 1, v58
	v_add_nc_u32_e32 v86, v59, v86
	v_bfe_u32 v59, v60, 21, 1
	v_add_nc_u32_e32 v59, -1, v59
	v_cndmask_b32_e64 v59, 0, v59, s16
	s_mov_b32 s16, exec_lo
	v_add_nc_u32_e32 v59, v59, v60
	v_and_b32_e32 v59, 0x1fffff, v59
	v_add_nc_u32_e32 v59, v59, v60
                                        ; implicit-def: $vgpr60
	v_cmpx_ne_u32_e64 v86, v58
	s_xor_b32 s16, exec_lo, s16
; %bb.7180:                             ;   in Loop: Header=BB6_6449 Depth=4
	v_cmp_lt_u32_e32 vcc_lo, 0xffffff, v59
	v_sub_nc_u32_e32 v86, v86, v58
	v_cndmask_b32_e64 v58, 0, 1, vcc_lo
	v_add_co_ci_u32_e64 v60, null, 0, v86, vcc_lo
	v_lshrrev_b32_e32 v59, v58, v59
; %bb.7181:                             ;   in Loop: Header=BB6_6449 Depth=4
	s_andn2_saveexec_b32 s16, s16
; %bb.7182:                             ;   in Loop: Header=BB6_6449 Depth=4
	v_bfe_u32 v60, v59, 23, 1
; %bb.7183:                             ;   in Loop: Header=BB6_6449 Depth=4
	s_or_b32 exec_lo, exec_lo, s16
	v_and_b32_sdwa v86, v45, v117 dst_sel:DWORD dst_unused:UNUSED_PAD src0_sel:BYTE_3 src1_sel:DWORD
	v_lshrrev_b32_e32 v45, 21, v59
	v_cmp_gt_i32_e32 vcc_lo, 32, v60
	v_min_i32_e32 v58, 31, v60
	v_cndmask_b32_e32 v45, 3, v45, vcc_lo
	v_lshlrev_b32_e32 v58, 2, v58
	v_or_b32_e32 v59, v60, v45
	v_and_b32_e32 v45, 3, v45
	v_cmp_ne_u32_e32 vcc_lo, 0, v59
	v_or3_b32 v86, v58, v86, v45
	v_cndmask_b32_e32 v86, 0, v86, vcc_lo
.LBB6_7184:                             ;   in Loop: Header=BB6_6449 Depth=4
	s_or_b32 exec_lo, exec_lo, s72
.LBB6_7185:                             ;   in Loop: Header=BB6_6449 Depth=4
	s_or_b32 exec_lo, exec_lo, s63
	v_cmp_gt_i16_sdwa s16, v83, v116 src0_sel:BYTE_0 src1_sel:DWORD
	s_mov_b32 s63, 0
	s_and_saveexec_b32 s72, s16
	s_xor_b32 s16, exec_lo, s72
	s_cbranch_execz .LBB6_7663
; %bb.7186:                             ;   in Loop: Header=BB6_6449 Depth=4
	v_cmp_eq_u16_sdwa s73, v83, v117 src0_sel:BYTE_0 src1_sel:DWORD
	s_mov_b32 s63, -1
	s_and_saveexec_b32 s72, s73
; %bb.7187:                             ;   in Loop: Header=BB6_6449 Depth=4
	s_xor_b32 s63, exec_lo, -1
; %bb.7188:                             ;   in Loop: Header=BB6_6449 Depth=4
	s_or_b32 exec_lo, exec_lo, s72
	s_and_b32 s63, s63, exec_lo
	s_or_saveexec_b32 s16, s16
	v_mov_b32_e32 v45, 0x7f800001
	s_xor_b32 exec_lo, exec_lo, s16
	s_cbranch_execnz .LBB6_7664
.LBB6_7189:                             ;   in Loop: Header=BB6_6449 Depth=4
	s_or_b32 exec_lo, exec_lo, s16
	s_and_saveexec_b32 s16, s63
	s_cbranch_execz .LBB6_7191
.LBB6_7190:                             ;   in Loop: Header=BB6_6449 Depth=4
	v_and_b32_e32 v45, 3, v83
	v_lshrrev_b16 v59, 2, v83
	v_ffbh_u32_e32 v58, v45
	v_and_b32_e32 v59, 31, v59
	v_min_u32_e32 v58, 32, v58
	v_cmp_eq_u32_e32 vcc_lo, 0, v59
	v_subrev_nc_u32_e32 v60, 29, v58
	v_sub_nc_u32_e32 v58, 30, v58
	v_lshlrev_b32_e32 v60, v60, v83
	v_lshlrev_b32_e32 v83, 24, v83
	v_cndmask_b32_e32 v58, v59, v58, vcc_lo
	v_and_b32_e32 v60, 3, v60
	v_and_b32_e32 v83, 0x80000000, v83
	v_lshl_add_u32 v58, v58, 23, 0x37800000
	v_cndmask_b32_e32 v45, v45, v60, vcc_lo
	v_lshlrev_b32_e32 v45, 21, v45
	v_or3_b32 v45, v83, v58, v45
.LBB6_7191:                             ;   in Loop: Header=BB6_6449 Depth=4
	s_or_b32 exec_lo, exec_lo, s16
	s_waitcnt vmcnt(17) lgkmcnt(17)
	v_cmp_gt_i16_sdwa s63, v57, v116 src0_sel:BYTE_0 src1_sel:DWORD
	s_mov_b32 s16, 0
	s_and_saveexec_b32 s72, s63
	s_xor_b32 s63, exec_lo, s72
	s_cbranch_execz .LBB6_7665
; %bb.7192:                             ;   in Loop: Header=BB6_6449 Depth=4
	v_cmp_eq_u16_sdwa s73, v57, v117 src0_sel:BYTE_0 src1_sel:DWORD
	s_mov_b32 s16, -1
	s_and_saveexec_b32 s72, s73
; %bb.7193:                             ;   in Loop: Header=BB6_6449 Depth=4
	s_xor_b32 s16, exec_lo, -1
; %bb.7194:                             ;   in Loop: Header=BB6_6449 Depth=4
	s_or_b32 exec_lo, exec_lo, s72
	s_and_b32 s16, s16, exec_lo
	s_or_saveexec_b32 s63, s63
	v_mov_b32_e32 v83, 0x7f800001
	s_xor_b32 exec_lo, exec_lo, s63
	s_cbranch_execnz .LBB6_7666
.LBB6_7195:                             ;   in Loop: Header=BB6_6449 Depth=4
	s_or_b32 exec_lo, exec_lo, s63
	s_and_saveexec_b32 s63, s16
	s_cbranch_execz .LBB6_7197
.LBB6_7196:                             ;   in Loop: Header=BB6_6449 Depth=4
	v_and_b32_e32 v83, 3, v57
	v_lshrrev_b16 v59, 2, v57
	v_ffbh_u32_e32 v58, v83
	v_and_b32_e32 v59, 31, v59
	v_min_u32_e32 v58, 32, v58
	v_cmp_eq_u32_e32 vcc_lo, 0, v59
	v_subrev_nc_u32_e32 v60, 29, v58
	v_sub_nc_u32_e32 v58, 30, v58
	v_lshlrev_b32_e32 v60, v60, v57
	v_lshlrev_b32_e32 v57, 24, v57
	v_cndmask_b32_e32 v58, v59, v58, vcc_lo
	v_and_b32_e32 v60, 3, v60
	v_and_b32_e32 v57, 0x80000000, v57
	v_lshl_add_u32 v58, v58, 23, 0x37800000
	v_cndmask_b32_e32 v83, v83, v60, vcc_lo
	v_lshlrev_b32_e32 v83, 21, v83
	v_or3_b32 v83, v57, v58, v83
.LBB6_7197:                             ;   in Loop: Header=BB6_6449 Depth=4
	s_or_b32 exec_lo, exec_lo, s63
	v_add_f32_e32 v45, v45, v83
	v_and_b32_e32 v83, 0x7f800000, v45
	v_cmp_ne_u32_e32 vcc_lo, 0x7f800000, v83
	v_mov_b32_e32 v83, 0x80
	s_and_saveexec_b32 s63, vcc_lo
	s_cbranch_execz .LBB6_7205
; %bb.7198:                             ;   in Loop: Header=BB6_6449 Depth=4
	v_mov_b32_e32 v83, 0
	s_mov_b32 s72, exec_lo
	v_cmpx_ne_u32_e32 0, v45
	s_cbranch_execz .LBB6_7204
; %bb.7199:                             ;   in Loop: Header=BB6_6449 Depth=4
	v_bfe_u32 v57, v45, 23, 8
	v_and_b32_e32 v83, 0x7fffff, v45
	v_cmp_gt_u32_e64 s16, 0x71, v57
	v_sub_nc_u32_e32 v58, 0x70, v57
	v_cmp_eq_u32_e32 vcc_lo, 0, v57
	v_or_b32_e32 v59, 0x800000, v83
	v_cndmask_b32_e64 v58, 0, v58, s16
	v_cndmask_b32_e32 v83, v59, v83, vcc_lo
	v_cndmask_b32_e64 v58, v58, 0x6f, vcc_lo
	v_lshl_add_u32 v59, 0x200000, v58, -1
	v_lshlrev_b32_e64 v60, v58, 0x100000
	v_and_b32_e32 v59, v59, v83
	v_cmp_eq_u32_e64 s16, v59, v60
	v_lshrrev_b32_e32 v59, v58, v83
	v_add_nc_u32_e32 v83, 0xffffff91, v57
	v_lshrrev_b32_e32 v57, 23, v59
	v_cndmask_b32_e64 v83, v83, 0xffffff92, vcc_lo
	v_xor_b32_e32 v57, 1, v57
	v_add_nc_u32_e32 v83, v58, v83
	v_bfe_u32 v58, v59, 21, 1
	v_add_nc_u32_e32 v58, -1, v58
	v_cndmask_b32_e64 v58, 0, v58, s16
	s_mov_b32 s16, exec_lo
	v_add_nc_u32_e32 v58, v58, v59
	v_and_b32_e32 v58, 0x1fffff, v58
	v_add_nc_u32_e32 v58, v58, v59
                                        ; implicit-def: $vgpr59
	v_cmpx_ne_u32_e64 v83, v57
	s_xor_b32 s16, exec_lo, s16
; %bb.7200:                             ;   in Loop: Header=BB6_6449 Depth=4
	v_cmp_lt_u32_e32 vcc_lo, 0xffffff, v58
	v_sub_nc_u32_e32 v83, v83, v57
	v_cndmask_b32_e64 v57, 0, 1, vcc_lo
	v_add_co_ci_u32_e64 v59, null, 0, v83, vcc_lo
	v_lshrrev_b32_e32 v58, v57, v58
; %bb.7201:                             ;   in Loop: Header=BB6_6449 Depth=4
	s_andn2_saveexec_b32 s16, s16
; %bb.7202:                             ;   in Loop: Header=BB6_6449 Depth=4
	v_bfe_u32 v59, v58, 23, 1
; %bb.7203:                             ;   in Loop: Header=BB6_6449 Depth=4
	s_or_b32 exec_lo, exec_lo, s16
	v_and_b32_sdwa v83, v45, v117 dst_sel:DWORD dst_unused:UNUSED_PAD src0_sel:BYTE_3 src1_sel:DWORD
	v_lshrrev_b32_e32 v45, 21, v58
	v_cmp_gt_i32_e32 vcc_lo, 32, v59
	v_min_i32_e32 v57, 31, v59
	v_cndmask_b32_e32 v45, 3, v45, vcc_lo
	v_lshlrev_b32_e32 v57, 2, v57
	v_or_b32_e32 v58, v59, v45
	v_and_b32_e32 v45, 3, v45
	v_cmp_ne_u32_e32 vcc_lo, 0, v58
	v_or3_b32 v83, v57, v83, v45
	v_cndmask_b32_e32 v83, 0, v83, vcc_lo
.LBB6_7204:                             ;   in Loop: Header=BB6_6449 Depth=4
	s_or_b32 exec_lo, exec_lo, s72
.LBB6_7205:                             ;   in Loop: Header=BB6_6449 Depth=4
	s_or_b32 exec_lo, exec_lo, s63
	v_cmp_gt_i16_sdwa s16, v82, v116 src0_sel:BYTE_0 src1_sel:DWORD
	s_mov_b32 s63, 0
	s_and_saveexec_b32 s72, s16
	s_xor_b32 s16, exec_lo, s72
	s_cbranch_execz .LBB6_7667
; %bb.7206:                             ;   in Loop: Header=BB6_6449 Depth=4
	v_cmp_eq_u16_sdwa s73, v82, v117 src0_sel:BYTE_0 src1_sel:DWORD
	s_mov_b32 s63, -1
	s_and_saveexec_b32 s72, s73
; %bb.7207:                             ;   in Loop: Header=BB6_6449 Depth=4
	s_xor_b32 s63, exec_lo, -1
; %bb.7208:                             ;   in Loop: Header=BB6_6449 Depth=4
	s_or_b32 exec_lo, exec_lo, s72
	s_and_b32 s63, s63, exec_lo
	s_or_saveexec_b32 s16, s16
	v_mov_b32_e32 v45, 0x7f800001
	s_xor_b32 exec_lo, exec_lo, s16
	s_cbranch_execnz .LBB6_7668
.LBB6_7209:                             ;   in Loop: Header=BB6_6449 Depth=4
	s_or_b32 exec_lo, exec_lo, s16
	s_and_saveexec_b32 s16, s63
	s_cbranch_execz .LBB6_7211
.LBB6_7210:                             ;   in Loop: Header=BB6_6449 Depth=4
	v_and_b32_e32 v45, 3, v82
	v_lshrrev_b16 v58, 2, v82
	v_ffbh_u32_e32 v57, v45
	v_and_b32_e32 v58, 31, v58
	v_min_u32_e32 v57, 32, v57
	v_cmp_eq_u32_e32 vcc_lo, 0, v58
	v_subrev_nc_u32_e32 v59, 29, v57
	v_sub_nc_u32_e32 v57, 30, v57
	v_lshlrev_b32_e32 v59, v59, v82
	v_lshlrev_b32_e32 v82, 24, v82
	v_cndmask_b32_e32 v57, v58, v57, vcc_lo
	v_and_b32_e32 v59, 3, v59
	v_and_b32_e32 v82, 0x80000000, v82
	v_lshl_add_u32 v57, v57, 23, 0x37800000
	v_cndmask_b32_e32 v45, v45, v59, vcc_lo
	v_lshlrev_b32_e32 v45, 21, v45
	v_or3_b32 v45, v82, v57, v45
.LBB6_7211:                             ;   in Loop: Header=BB6_6449 Depth=4
	s_or_b32 exec_lo, exec_lo, s16
	s_waitcnt vmcnt(16) lgkmcnt(16)
	v_cmp_gt_i16_sdwa s63, v56, v116 src0_sel:BYTE_0 src1_sel:DWORD
	s_mov_b32 s16, 0
	s_and_saveexec_b32 s72, s63
	s_xor_b32 s63, exec_lo, s72
	s_cbranch_execz .LBB6_7669
; %bb.7212:                             ;   in Loop: Header=BB6_6449 Depth=4
	v_cmp_eq_u16_sdwa s73, v56, v117 src0_sel:BYTE_0 src1_sel:DWORD
	s_mov_b32 s16, -1
	s_and_saveexec_b32 s72, s73
; %bb.7213:                             ;   in Loop: Header=BB6_6449 Depth=4
	s_xor_b32 s16, exec_lo, -1
; %bb.7214:                             ;   in Loop: Header=BB6_6449 Depth=4
	s_or_b32 exec_lo, exec_lo, s72
	s_and_b32 s16, s16, exec_lo
	s_or_saveexec_b32 s63, s63
	v_mov_b32_e32 v82, 0x7f800001
	s_xor_b32 exec_lo, exec_lo, s63
	s_cbranch_execnz .LBB6_7670
.LBB6_7215:                             ;   in Loop: Header=BB6_6449 Depth=4
	s_or_b32 exec_lo, exec_lo, s63
	s_and_saveexec_b32 s63, s16
	s_cbranch_execz .LBB6_7217
.LBB6_7216:                             ;   in Loop: Header=BB6_6449 Depth=4
	v_and_b32_e32 v82, 3, v56
	v_lshrrev_b16 v58, 2, v56
	v_ffbh_u32_e32 v57, v82
	v_and_b32_e32 v58, 31, v58
	v_min_u32_e32 v57, 32, v57
	v_cmp_eq_u32_e32 vcc_lo, 0, v58
	v_subrev_nc_u32_e32 v59, 29, v57
	v_sub_nc_u32_e32 v57, 30, v57
	v_lshlrev_b32_e32 v59, v59, v56
	v_lshlrev_b32_e32 v56, 24, v56
	v_cndmask_b32_e32 v57, v58, v57, vcc_lo
	v_and_b32_e32 v59, 3, v59
	v_and_b32_e32 v56, 0x80000000, v56
	v_lshl_add_u32 v57, v57, 23, 0x37800000
	v_cndmask_b32_e32 v82, v82, v59, vcc_lo
	v_lshlrev_b32_e32 v82, 21, v82
	v_or3_b32 v82, v56, v57, v82
.LBB6_7217:                             ;   in Loop: Header=BB6_6449 Depth=4
	s_or_b32 exec_lo, exec_lo, s63
	v_add_f32_e32 v45, v45, v82
	v_and_b32_e32 v82, 0x7f800000, v45
	v_cmp_ne_u32_e32 vcc_lo, 0x7f800000, v82
	v_mov_b32_e32 v82, 0x80
	s_and_saveexec_b32 s63, vcc_lo
	s_cbranch_execz .LBB6_7225
; %bb.7218:                             ;   in Loop: Header=BB6_6449 Depth=4
	v_mov_b32_e32 v82, 0
	s_mov_b32 s72, exec_lo
	v_cmpx_ne_u32_e32 0, v45
	s_cbranch_execz .LBB6_7224
; %bb.7219:                             ;   in Loop: Header=BB6_6449 Depth=4
	v_bfe_u32 v56, v45, 23, 8
	v_and_b32_e32 v82, 0x7fffff, v45
	v_cmp_gt_u32_e64 s16, 0x71, v56
	v_sub_nc_u32_e32 v57, 0x70, v56
	v_cmp_eq_u32_e32 vcc_lo, 0, v56
	v_or_b32_e32 v58, 0x800000, v82
	v_cndmask_b32_e64 v57, 0, v57, s16
	v_cndmask_b32_e32 v82, v58, v82, vcc_lo
	v_cndmask_b32_e64 v57, v57, 0x6f, vcc_lo
	v_lshl_add_u32 v58, 0x200000, v57, -1
	v_lshlrev_b32_e64 v59, v57, 0x100000
	v_and_b32_e32 v58, v58, v82
	v_cmp_eq_u32_e64 s16, v58, v59
	v_lshrrev_b32_e32 v58, v57, v82
	v_add_nc_u32_e32 v82, 0xffffff91, v56
	v_lshrrev_b32_e32 v56, 23, v58
	v_cndmask_b32_e64 v82, v82, 0xffffff92, vcc_lo
	v_xor_b32_e32 v56, 1, v56
	v_add_nc_u32_e32 v82, v57, v82
	v_bfe_u32 v57, v58, 21, 1
	v_add_nc_u32_e32 v57, -1, v57
	v_cndmask_b32_e64 v57, 0, v57, s16
	s_mov_b32 s16, exec_lo
	v_add_nc_u32_e32 v57, v57, v58
	v_and_b32_e32 v57, 0x1fffff, v57
	v_add_nc_u32_e32 v57, v57, v58
                                        ; implicit-def: $vgpr58
	v_cmpx_ne_u32_e64 v82, v56
	s_xor_b32 s16, exec_lo, s16
; %bb.7220:                             ;   in Loop: Header=BB6_6449 Depth=4
	v_cmp_lt_u32_e32 vcc_lo, 0xffffff, v57
	v_sub_nc_u32_e32 v82, v82, v56
	v_cndmask_b32_e64 v56, 0, 1, vcc_lo
	v_add_co_ci_u32_e64 v58, null, 0, v82, vcc_lo
	v_lshrrev_b32_e32 v57, v56, v57
; %bb.7221:                             ;   in Loop: Header=BB6_6449 Depth=4
	s_andn2_saveexec_b32 s16, s16
; %bb.7222:                             ;   in Loop: Header=BB6_6449 Depth=4
	v_bfe_u32 v58, v57, 23, 1
; %bb.7223:                             ;   in Loop: Header=BB6_6449 Depth=4
	s_or_b32 exec_lo, exec_lo, s16
	v_and_b32_sdwa v82, v45, v117 dst_sel:DWORD dst_unused:UNUSED_PAD src0_sel:BYTE_3 src1_sel:DWORD
	v_lshrrev_b32_e32 v45, 21, v57
	v_cmp_gt_i32_e32 vcc_lo, 32, v58
	v_min_i32_e32 v56, 31, v58
	v_cndmask_b32_e32 v45, 3, v45, vcc_lo
	v_lshlrev_b32_e32 v56, 2, v56
	v_or_b32_e32 v57, v58, v45
	v_and_b32_e32 v45, 3, v45
	v_cmp_ne_u32_e32 vcc_lo, 0, v57
	v_or3_b32 v82, v56, v82, v45
	v_cndmask_b32_e32 v82, 0, v82, vcc_lo
.LBB6_7224:                             ;   in Loop: Header=BB6_6449 Depth=4
	s_or_b32 exec_lo, exec_lo, s72
.LBB6_7225:                             ;   in Loop: Header=BB6_6449 Depth=4
	s_or_b32 exec_lo, exec_lo, s63
	v_cmp_gt_i16_sdwa s16, v69, v116 src0_sel:BYTE_0 src1_sel:DWORD
	s_mov_b32 s63, 0
	s_and_saveexec_b32 s72, s16
	s_xor_b32 s16, exec_lo, s72
	s_cbranch_execz .LBB6_7671
; %bb.7226:                             ;   in Loop: Header=BB6_6449 Depth=4
	v_cmp_eq_u16_sdwa s73, v69, v117 src0_sel:BYTE_0 src1_sel:DWORD
	s_mov_b32 s63, -1
	s_and_saveexec_b32 s72, s73
; %bb.7227:                             ;   in Loop: Header=BB6_6449 Depth=4
	s_xor_b32 s63, exec_lo, -1
; %bb.7228:                             ;   in Loop: Header=BB6_6449 Depth=4
	s_or_b32 exec_lo, exec_lo, s72
	s_and_b32 s63, s63, exec_lo
	s_or_saveexec_b32 s16, s16
	v_mov_b32_e32 v45, 0x7f800001
	s_xor_b32 exec_lo, exec_lo, s16
	s_cbranch_execnz .LBB6_7672
.LBB6_7229:                             ;   in Loop: Header=BB6_6449 Depth=4
	s_or_b32 exec_lo, exec_lo, s16
	s_and_saveexec_b32 s16, s63
	s_cbranch_execz .LBB6_7231
.LBB6_7230:                             ;   in Loop: Header=BB6_6449 Depth=4
	v_and_b32_e32 v45, 3, v69
	v_lshrrev_b16 v57, 2, v69
	v_ffbh_u32_e32 v56, v45
	v_and_b32_e32 v57, 31, v57
	v_min_u32_e32 v56, 32, v56
	v_cmp_eq_u32_e32 vcc_lo, 0, v57
	v_subrev_nc_u32_e32 v58, 29, v56
	v_sub_nc_u32_e32 v56, 30, v56
	v_lshlrev_b32_e32 v58, v58, v69
	v_lshlrev_b32_e32 v69, 24, v69
	v_cndmask_b32_e32 v56, v57, v56, vcc_lo
	v_and_b32_e32 v58, 3, v58
	v_and_b32_e32 v69, 0x80000000, v69
	v_lshl_add_u32 v56, v56, 23, 0x37800000
	v_cndmask_b32_e32 v45, v45, v58, vcc_lo
	v_lshlrev_b32_e32 v45, 21, v45
	v_or3_b32 v45, v69, v56, v45
.LBB6_7231:                             ;   in Loop: Header=BB6_6449 Depth=4
	s_or_b32 exec_lo, exec_lo, s16
	s_waitcnt vmcnt(15) lgkmcnt(15)
	v_cmp_gt_i16_sdwa s63, v44, v116 src0_sel:BYTE_0 src1_sel:DWORD
	s_mov_b32 s16, 0
	s_and_saveexec_b32 s72, s63
	s_xor_b32 s63, exec_lo, s72
	s_cbranch_execz .LBB6_7673
; %bb.7232:                             ;   in Loop: Header=BB6_6449 Depth=4
	v_cmp_eq_u16_sdwa s73, v44, v117 src0_sel:BYTE_0 src1_sel:DWORD
	s_mov_b32 s16, -1
	s_and_saveexec_b32 s72, s73
; %bb.7233:                             ;   in Loop: Header=BB6_6449 Depth=4
	s_xor_b32 s16, exec_lo, -1
; %bb.7234:                             ;   in Loop: Header=BB6_6449 Depth=4
	s_or_b32 exec_lo, exec_lo, s72
	s_and_b32 s16, s16, exec_lo
	s_or_saveexec_b32 s63, s63
	v_mov_b32_e32 v69, 0x7f800001
	s_xor_b32 exec_lo, exec_lo, s63
	s_cbranch_execnz .LBB6_7674
.LBB6_7235:                             ;   in Loop: Header=BB6_6449 Depth=4
	s_or_b32 exec_lo, exec_lo, s63
	s_and_saveexec_b32 s63, s16
	s_cbranch_execz .LBB6_7237
.LBB6_7236:                             ;   in Loop: Header=BB6_6449 Depth=4
	v_and_b32_e32 v69, 3, v44
	v_lshrrev_b16 v57, 2, v44
	v_ffbh_u32_e32 v56, v69
	v_and_b32_e32 v57, 31, v57
	v_min_u32_e32 v56, 32, v56
	v_cmp_eq_u32_e32 vcc_lo, 0, v57
	v_subrev_nc_u32_e32 v58, 29, v56
	v_sub_nc_u32_e32 v56, 30, v56
	v_lshlrev_b32_e32 v58, v58, v44
	v_lshlrev_b32_e32 v44, 24, v44
	v_cndmask_b32_e32 v56, v57, v56, vcc_lo
	v_and_b32_e32 v58, 3, v58
	v_and_b32_e32 v44, 0x80000000, v44
	v_lshl_add_u32 v56, v56, 23, 0x37800000
	v_cndmask_b32_e32 v69, v69, v58, vcc_lo
	v_lshlrev_b32_e32 v69, 21, v69
	v_or3_b32 v69, v44, v56, v69
.LBB6_7237:                             ;   in Loop: Header=BB6_6449 Depth=4
	s_or_b32 exec_lo, exec_lo, s63
	v_add_f32_e32 v44, v45, v69
	v_and_b32_e32 v69, 0x7f800000, v44
	v_cmp_ne_u32_e32 vcc_lo, 0x7f800000, v69
	v_mov_b32_e32 v69, 0x80
	s_and_saveexec_b32 s63, vcc_lo
	s_cbranch_execz .LBB6_7245
; %bb.7238:                             ;   in Loop: Header=BB6_6449 Depth=4
	v_mov_b32_e32 v69, 0
	s_mov_b32 s72, exec_lo
	v_cmpx_ne_u32_e32 0, v44
	s_cbranch_execz .LBB6_7244
; %bb.7239:                             ;   in Loop: Header=BB6_6449 Depth=4
	v_bfe_u32 v45, v44, 23, 8
	v_and_b32_e32 v69, 0x7fffff, v44
	v_cmp_gt_u32_e64 s16, 0x71, v45
	v_sub_nc_u32_e32 v56, 0x70, v45
	v_cmp_eq_u32_e32 vcc_lo, 0, v45
	v_or_b32_e32 v57, 0x800000, v69
	v_cndmask_b32_e64 v56, 0, v56, s16
	v_cndmask_b32_e32 v69, v57, v69, vcc_lo
	v_cndmask_b32_e64 v56, v56, 0x6f, vcc_lo
	v_lshl_add_u32 v57, 0x200000, v56, -1
	v_lshlrev_b32_e64 v58, v56, 0x100000
	v_and_b32_e32 v57, v57, v69
	v_cmp_eq_u32_e64 s16, v57, v58
	v_lshrrev_b32_e32 v57, v56, v69
	v_add_nc_u32_e32 v69, 0xffffff91, v45
	v_lshrrev_b32_e32 v45, 23, v57
	v_cndmask_b32_e64 v69, v69, 0xffffff92, vcc_lo
	v_xor_b32_e32 v45, 1, v45
	v_add_nc_u32_e32 v69, v56, v69
	v_bfe_u32 v56, v57, 21, 1
	v_add_nc_u32_e32 v56, -1, v56
	v_cndmask_b32_e64 v56, 0, v56, s16
	s_mov_b32 s16, exec_lo
	v_add_nc_u32_e32 v56, v56, v57
	v_and_b32_e32 v56, 0x1fffff, v56
	v_add_nc_u32_e32 v56, v56, v57
                                        ; implicit-def: $vgpr57
	v_cmpx_ne_u32_e64 v69, v45
	s_xor_b32 s16, exec_lo, s16
; %bb.7240:                             ;   in Loop: Header=BB6_6449 Depth=4
	v_cmp_lt_u32_e32 vcc_lo, 0xffffff, v56
	v_sub_nc_u32_e32 v69, v69, v45
	v_cndmask_b32_e64 v45, 0, 1, vcc_lo
	v_add_co_ci_u32_e64 v57, null, 0, v69, vcc_lo
	v_lshrrev_b32_e32 v56, v45, v56
; %bb.7241:                             ;   in Loop: Header=BB6_6449 Depth=4
	s_andn2_saveexec_b32 s16, s16
; %bb.7242:                             ;   in Loop: Header=BB6_6449 Depth=4
	v_bfe_u32 v57, v56, 23, 1
; %bb.7243:                             ;   in Loop: Header=BB6_6449 Depth=4
	s_or_b32 exec_lo, exec_lo, s16
	v_and_b32_sdwa v69, v44, v117 dst_sel:DWORD dst_unused:UNUSED_PAD src0_sel:BYTE_3 src1_sel:DWORD
	v_lshrrev_b32_e32 v44, 21, v56
	v_cmp_gt_i32_e32 vcc_lo, 32, v57
	v_min_i32_e32 v45, 31, v57
	v_cndmask_b32_e32 v44, 3, v44, vcc_lo
	v_lshlrev_b32_e32 v45, 2, v45
	v_or_b32_e32 v56, v57, v44
	v_and_b32_e32 v44, 3, v44
	v_cmp_ne_u32_e32 vcc_lo, 0, v56
	v_or3_b32 v69, v45, v69, v44
	v_cndmask_b32_e32 v69, 0, v69, vcc_lo
.LBB6_7244:                             ;   in Loop: Header=BB6_6449 Depth=4
	s_or_b32 exec_lo, exec_lo, s72
.LBB6_7245:                             ;   in Loop: Header=BB6_6449 Depth=4
	s_or_b32 exec_lo, exec_lo, s63
	v_cmp_gt_i16_sdwa s16, v67, v116 src0_sel:BYTE_0 src1_sel:DWORD
	s_mov_b32 s63, 0
	s_and_saveexec_b32 s72, s16
	s_xor_b32 s16, exec_lo, s72
	s_cbranch_execz .LBB6_7675
; %bb.7246:                             ;   in Loop: Header=BB6_6449 Depth=4
	v_cmp_eq_u16_sdwa s73, v67, v117 src0_sel:BYTE_0 src1_sel:DWORD
	s_mov_b32 s63, -1
	s_and_saveexec_b32 s72, s73
; %bb.7247:                             ;   in Loop: Header=BB6_6449 Depth=4
	s_xor_b32 s63, exec_lo, -1
; %bb.7248:                             ;   in Loop: Header=BB6_6449 Depth=4
	s_or_b32 exec_lo, exec_lo, s72
	s_and_b32 s63, s63, exec_lo
	s_or_saveexec_b32 s16, s16
	v_mov_b32_e32 v44, 0x7f800001
	s_xor_b32 exec_lo, exec_lo, s16
	s_cbranch_execnz .LBB6_7676
.LBB6_7249:                             ;   in Loop: Header=BB6_6449 Depth=4
	s_or_b32 exec_lo, exec_lo, s16
	s_and_saveexec_b32 s16, s63
	s_cbranch_execz .LBB6_7251
.LBB6_7250:                             ;   in Loop: Header=BB6_6449 Depth=4
	v_and_b32_e32 v44, 3, v67
	v_lshrrev_b16 v56, 2, v67
	v_ffbh_u32_e32 v45, v44
	v_and_b32_e32 v56, 31, v56
	v_min_u32_e32 v45, 32, v45
	v_cmp_eq_u32_e32 vcc_lo, 0, v56
	v_subrev_nc_u32_e32 v57, 29, v45
	v_sub_nc_u32_e32 v45, 30, v45
	v_lshlrev_b32_e32 v57, v57, v67
	v_lshlrev_b32_e32 v67, 24, v67
	v_cndmask_b32_e32 v45, v56, v45, vcc_lo
	v_and_b32_e32 v57, 3, v57
	v_and_b32_e32 v67, 0x80000000, v67
	v_lshl_add_u32 v45, v45, 23, 0x37800000
	v_cndmask_b32_e32 v44, v44, v57, vcc_lo
	v_lshlrev_b32_e32 v44, 21, v44
	v_or3_b32 v44, v67, v45, v44
.LBB6_7251:                             ;   in Loop: Header=BB6_6449 Depth=4
	s_or_b32 exec_lo, exec_lo, s16
	s_waitcnt vmcnt(14) lgkmcnt(14)
	v_cmp_gt_i16_sdwa s63, v43, v116 src0_sel:BYTE_0 src1_sel:DWORD
	s_mov_b32 s16, 0
	s_and_saveexec_b32 s72, s63
	s_xor_b32 s63, exec_lo, s72
	s_cbranch_execz .LBB6_7677
; %bb.7252:                             ;   in Loop: Header=BB6_6449 Depth=4
	v_cmp_eq_u16_sdwa s73, v43, v117 src0_sel:BYTE_0 src1_sel:DWORD
	s_mov_b32 s16, -1
	s_and_saveexec_b32 s72, s73
; %bb.7253:                             ;   in Loop: Header=BB6_6449 Depth=4
	s_xor_b32 s16, exec_lo, -1
; %bb.7254:                             ;   in Loop: Header=BB6_6449 Depth=4
	s_or_b32 exec_lo, exec_lo, s72
	s_and_b32 s16, s16, exec_lo
	s_or_saveexec_b32 s63, s63
	v_mov_b32_e32 v67, 0x7f800001
	s_xor_b32 exec_lo, exec_lo, s63
	s_cbranch_execnz .LBB6_7678
.LBB6_7255:                             ;   in Loop: Header=BB6_6449 Depth=4
	s_or_b32 exec_lo, exec_lo, s63
	s_and_saveexec_b32 s63, s16
	s_cbranch_execz .LBB6_7257
.LBB6_7256:                             ;   in Loop: Header=BB6_6449 Depth=4
	v_and_b32_e32 v67, 3, v43
	v_lshrrev_b16 v56, 2, v43
	v_ffbh_u32_e32 v45, v67
	v_and_b32_e32 v56, 31, v56
	v_min_u32_e32 v45, 32, v45
	v_cmp_eq_u32_e32 vcc_lo, 0, v56
	v_subrev_nc_u32_e32 v57, 29, v45
	v_sub_nc_u32_e32 v45, 30, v45
	v_lshlrev_b32_e32 v57, v57, v43
	v_lshlrev_b32_e32 v43, 24, v43
	v_cndmask_b32_e32 v45, v56, v45, vcc_lo
	v_and_b32_e32 v57, 3, v57
	v_and_b32_e32 v43, 0x80000000, v43
	v_lshl_add_u32 v45, v45, 23, 0x37800000
	v_cndmask_b32_e32 v67, v67, v57, vcc_lo
	v_lshlrev_b32_e32 v67, 21, v67
	v_or3_b32 v67, v43, v45, v67
.LBB6_7257:                             ;   in Loop: Header=BB6_6449 Depth=4
	s_or_b32 exec_lo, exec_lo, s63
	v_add_f32_e32 v43, v44, v67
	v_and_b32_e32 v67, 0x7f800000, v43
	v_cmp_ne_u32_e32 vcc_lo, 0x7f800000, v67
	v_mov_b32_e32 v67, 0x80
	s_and_saveexec_b32 s63, vcc_lo
	s_cbranch_execz .LBB6_7265
; %bb.7258:                             ;   in Loop: Header=BB6_6449 Depth=4
	v_mov_b32_e32 v67, 0
	s_mov_b32 s72, exec_lo
	v_cmpx_ne_u32_e32 0, v43
	s_cbranch_execz .LBB6_7264
; %bb.7259:                             ;   in Loop: Header=BB6_6449 Depth=4
	v_bfe_u32 v44, v43, 23, 8
	v_and_b32_e32 v67, 0x7fffff, v43
	v_cmp_gt_u32_e64 s16, 0x71, v44
	v_sub_nc_u32_e32 v45, 0x70, v44
	v_cmp_eq_u32_e32 vcc_lo, 0, v44
	v_or_b32_e32 v56, 0x800000, v67
	v_cndmask_b32_e64 v45, 0, v45, s16
	v_cndmask_b32_e32 v67, v56, v67, vcc_lo
	v_cndmask_b32_e64 v45, v45, 0x6f, vcc_lo
	v_lshl_add_u32 v56, 0x200000, v45, -1
	v_lshlrev_b32_e64 v57, v45, 0x100000
	v_and_b32_e32 v56, v56, v67
	v_cmp_eq_u32_e64 s16, v56, v57
	v_lshrrev_b32_e32 v56, v45, v67
	v_add_nc_u32_e32 v67, 0xffffff91, v44
	v_lshrrev_b32_e32 v44, 23, v56
	v_cndmask_b32_e64 v67, v67, 0xffffff92, vcc_lo
	v_xor_b32_e32 v44, 1, v44
	v_add_nc_u32_e32 v67, v45, v67
	v_bfe_u32 v45, v56, 21, 1
	v_add_nc_u32_e32 v45, -1, v45
	v_cndmask_b32_e64 v45, 0, v45, s16
	s_mov_b32 s16, exec_lo
	v_add_nc_u32_e32 v45, v45, v56
	v_and_b32_e32 v45, 0x1fffff, v45
	v_add_nc_u32_e32 v45, v45, v56
                                        ; implicit-def: $vgpr56
	v_cmpx_ne_u32_e64 v67, v44
	s_xor_b32 s16, exec_lo, s16
; %bb.7260:                             ;   in Loop: Header=BB6_6449 Depth=4
	v_cmp_lt_u32_e32 vcc_lo, 0xffffff, v45
	v_sub_nc_u32_e32 v67, v67, v44
	v_cndmask_b32_e64 v44, 0, 1, vcc_lo
	v_add_co_ci_u32_e64 v56, null, 0, v67, vcc_lo
	v_lshrrev_b32_e32 v45, v44, v45
; %bb.7261:                             ;   in Loop: Header=BB6_6449 Depth=4
	s_andn2_saveexec_b32 s16, s16
; %bb.7262:                             ;   in Loop: Header=BB6_6449 Depth=4
	v_bfe_u32 v56, v45, 23, 1
; %bb.7263:                             ;   in Loop: Header=BB6_6449 Depth=4
	s_or_b32 exec_lo, exec_lo, s16
	v_and_b32_sdwa v67, v43, v117 dst_sel:DWORD dst_unused:UNUSED_PAD src0_sel:BYTE_3 src1_sel:DWORD
	v_lshrrev_b32_e32 v43, 21, v45
	v_cmp_gt_i32_e32 vcc_lo, 32, v56
	v_min_i32_e32 v44, 31, v56
	v_cndmask_b32_e32 v43, 3, v43, vcc_lo
	v_lshlrev_b32_e32 v44, 2, v44
	v_or_b32_e32 v45, v56, v43
	v_and_b32_e32 v43, 3, v43
	v_cmp_ne_u32_e32 vcc_lo, 0, v45
	v_or3_b32 v67, v44, v67, v43
	v_cndmask_b32_e32 v67, 0, v67, vcc_lo
.LBB6_7264:                             ;   in Loop: Header=BB6_6449 Depth=4
	s_or_b32 exec_lo, exec_lo, s72
.LBB6_7265:                             ;   in Loop: Header=BB6_6449 Depth=4
	s_or_b32 exec_lo, exec_lo, s63
	v_cmp_gt_i16_sdwa s16, v55, v116 src0_sel:BYTE_0 src1_sel:DWORD
	s_mov_b32 s63, 0
	s_and_saveexec_b32 s72, s16
	s_xor_b32 s16, exec_lo, s72
	s_cbranch_execz .LBB6_7679
; %bb.7266:                             ;   in Loop: Header=BB6_6449 Depth=4
	v_cmp_eq_u16_sdwa s73, v55, v117 src0_sel:BYTE_0 src1_sel:DWORD
	s_mov_b32 s63, -1
	s_and_saveexec_b32 s72, s73
; %bb.7267:                             ;   in Loop: Header=BB6_6449 Depth=4
	s_xor_b32 s63, exec_lo, -1
; %bb.7268:                             ;   in Loop: Header=BB6_6449 Depth=4
	s_or_b32 exec_lo, exec_lo, s72
	s_and_b32 s63, s63, exec_lo
	s_or_saveexec_b32 s16, s16
	v_mov_b32_e32 v43, 0x7f800001
	s_xor_b32 exec_lo, exec_lo, s16
	s_cbranch_execnz .LBB6_7680
.LBB6_7269:                             ;   in Loop: Header=BB6_6449 Depth=4
	s_or_b32 exec_lo, exec_lo, s16
	s_and_saveexec_b32 s16, s63
	s_cbranch_execz .LBB6_7271
.LBB6_7270:                             ;   in Loop: Header=BB6_6449 Depth=4
	v_and_b32_e32 v43, 3, v55
	v_lshrrev_b16 v45, 2, v55
	v_ffbh_u32_e32 v44, v43
	v_and_b32_e32 v45, 31, v45
	v_min_u32_e32 v44, 32, v44
	v_cmp_eq_u32_e32 vcc_lo, 0, v45
	v_subrev_nc_u32_e32 v56, 29, v44
	v_sub_nc_u32_e32 v44, 30, v44
	v_lshlrev_b32_e32 v56, v56, v55
	v_lshlrev_b32_e32 v55, 24, v55
	v_cndmask_b32_e32 v44, v45, v44, vcc_lo
	v_and_b32_e32 v56, 3, v56
	v_and_b32_e32 v55, 0x80000000, v55
	v_lshl_add_u32 v44, v44, 23, 0x37800000
	v_cndmask_b32_e32 v43, v43, v56, vcc_lo
	v_lshlrev_b32_e32 v43, 21, v43
	v_or3_b32 v43, v55, v44, v43
.LBB6_7271:                             ;   in Loop: Header=BB6_6449 Depth=4
	s_or_b32 exec_lo, exec_lo, s16
	s_waitcnt vmcnt(13) lgkmcnt(13)
	v_cmp_gt_i16_sdwa s63, v42, v116 src0_sel:BYTE_0 src1_sel:DWORD
	s_mov_b32 s16, 0
	s_and_saveexec_b32 s72, s63
	s_xor_b32 s63, exec_lo, s72
	s_cbranch_execz .LBB6_7681
; %bb.7272:                             ;   in Loop: Header=BB6_6449 Depth=4
	v_cmp_eq_u16_sdwa s73, v42, v117 src0_sel:BYTE_0 src1_sel:DWORD
	s_mov_b32 s16, -1
	s_and_saveexec_b32 s72, s73
; %bb.7273:                             ;   in Loop: Header=BB6_6449 Depth=4
	s_xor_b32 s16, exec_lo, -1
; %bb.7274:                             ;   in Loop: Header=BB6_6449 Depth=4
	s_or_b32 exec_lo, exec_lo, s72
	s_and_b32 s16, s16, exec_lo
	s_or_saveexec_b32 s63, s63
	v_mov_b32_e32 v55, 0x7f800001
	s_xor_b32 exec_lo, exec_lo, s63
	s_cbranch_execnz .LBB6_7682
.LBB6_7275:                             ;   in Loop: Header=BB6_6449 Depth=4
	s_or_b32 exec_lo, exec_lo, s63
	s_and_saveexec_b32 s63, s16
	s_cbranch_execz .LBB6_7277
.LBB6_7276:                             ;   in Loop: Header=BB6_6449 Depth=4
	v_and_b32_e32 v55, 3, v42
	v_lshrrev_b16 v45, 2, v42
	v_ffbh_u32_e32 v44, v55
	v_and_b32_e32 v45, 31, v45
	v_min_u32_e32 v44, 32, v44
	v_cmp_eq_u32_e32 vcc_lo, 0, v45
	v_subrev_nc_u32_e32 v56, 29, v44
	v_sub_nc_u32_e32 v44, 30, v44
	v_lshlrev_b32_e32 v56, v56, v42
	v_lshlrev_b32_e32 v42, 24, v42
	v_cndmask_b32_e32 v44, v45, v44, vcc_lo
	v_and_b32_e32 v56, 3, v56
	v_and_b32_e32 v42, 0x80000000, v42
	v_lshl_add_u32 v44, v44, 23, 0x37800000
	v_cndmask_b32_e32 v55, v55, v56, vcc_lo
	v_lshlrev_b32_e32 v55, 21, v55
	v_or3_b32 v55, v42, v44, v55
.LBB6_7277:                             ;   in Loop: Header=BB6_6449 Depth=4
	s_or_b32 exec_lo, exec_lo, s63
	v_add_f32_e32 v42, v43, v55
	v_and_b32_e32 v55, 0x7f800000, v42
	v_cmp_ne_u32_e32 vcc_lo, 0x7f800000, v55
	v_mov_b32_e32 v55, 0x80
	s_and_saveexec_b32 s63, vcc_lo
	s_cbranch_execz .LBB6_7285
; %bb.7278:                             ;   in Loop: Header=BB6_6449 Depth=4
	v_mov_b32_e32 v55, 0
	s_mov_b32 s72, exec_lo
	v_cmpx_ne_u32_e32 0, v42
	s_cbranch_execz .LBB6_7284
; %bb.7279:                             ;   in Loop: Header=BB6_6449 Depth=4
	v_bfe_u32 v43, v42, 23, 8
	v_and_b32_e32 v55, 0x7fffff, v42
	v_cmp_gt_u32_e64 s16, 0x71, v43
	v_sub_nc_u32_e32 v44, 0x70, v43
	v_cmp_eq_u32_e32 vcc_lo, 0, v43
	v_or_b32_e32 v45, 0x800000, v55
	v_cndmask_b32_e64 v44, 0, v44, s16
	v_cndmask_b32_e32 v55, v45, v55, vcc_lo
	v_cndmask_b32_e64 v44, v44, 0x6f, vcc_lo
	v_lshl_add_u32 v45, 0x200000, v44, -1
	v_lshlrev_b32_e64 v56, v44, 0x100000
	v_and_b32_e32 v45, v45, v55
	v_cmp_eq_u32_e64 s16, v45, v56
	v_lshrrev_b32_e32 v45, v44, v55
	v_add_nc_u32_e32 v55, 0xffffff91, v43
	v_lshrrev_b32_e32 v43, 23, v45
	v_cndmask_b32_e64 v55, v55, 0xffffff92, vcc_lo
	v_xor_b32_e32 v43, 1, v43
	v_add_nc_u32_e32 v55, v44, v55
	v_bfe_u32 v44, v45, 21, 1
	v_add_nc_u32_e32 v44, -1, v44
	v_cndmask_b32_e64 v44, 0, v44, s16
	s_mov_b32 s16, exec_lo
	v_add_nc_u32_e32 v44, v44, v45
	v_and_b32_e32 v44, 0x1fffff, v44
	v_add_nc_u32_e32 v44, v44, v45
                                        ; implicit-def: $vgpr45
	v_cmpx_ne_u32_e64 v55, v43
	s_xor_b32 s16, exec_lo, s16
; %bb.7280:                             ;   in Loop: Header=BB6_6449 Depth=4
	v_cmp_lt_u32_e32 vcc_lo, 0xffffff, v44
	v_sub_nc_u32_e32 v55, v55, v43
	v_cndmask_b32_e64 v43, 0, 1, vcc_lo
	v_add_co_ci_u32_e64 v45, null, 0, v55, vcc_lo
	v_lshrrev_b32_e32 v44, v43, v44
; %bb.7281:                             ;   in Loop: Header=BB6_6449 Depth=4
	s_andn2_saveexec_b32 s16, s16
; %bb.7282:                             ;   in Loop: Header=BB6_6449 Depth=4
	v_bfe_u32 v45, v44, 23, 1
; %bb.7283:                             ;   in Loop: Header=BB6_6449 Depth=4
	s_or_b32 exec_lo, exec_lo, s16
	v_and_b32_sdwa v55, v42, v117 dst_sel:DWORD dst_unused:UNUSED_PAD src0_sel:BYTE_3 src1_sel:DWORD
	v_lshrrev_b32_e32 v42, 21, v44
	v_cmp_gt_i32_e32 vcc_lo, 32, v45
	v_min_i32_e32 v43, 31, v45
	v_cndmask_b32_e32 v42, 3, v42, vcc_lo
	v_lshlrev_b32_e32 v43, 2, v43
	v_or_b32_e32 v44, v45, v42
	v_and_b32_e32 v42, 3, v42
	v_cmp_ne_u32_e32 vcc_lo, 0, v44
	v_or3_b32 v55, v43, v55, v42
	v_cndmask_b32_e32 v55, 0, v55, vcc_lo
.LBB6_7284:                             ;   in Loop: Header=BB6_6449 Depth=4
	s_or_b32 exec_lo, exec_lo, s72
.LBB6_7285:                             ;   in Loop: Header=BB6_6449 Depth=4
	s_or_b32 exec_lo, exec_lo, s63
	v_cmp_gt_i16_sdwa s16, v53, v116 src0_sel:BYTE_0 src1_sel:DWORD
	s_mov_b32 s63, 0
	s_and_saveexec_b32 s72, s16
	s_xor_b32 s16, exec_lo, s72
	s_cbranch_execz .LBB6_7683
; %bb.7286:                             ;   in Loop: Header=BB6_6449 Depth=4
	v_cmp_eq_u16_sdwa s73, v53, v117 src0_sel:BYTE_0 src1_sel:DWORD
	s_mov_b32 s63, -1
	s_and_saveexec_b32 s72, s73
; %bb.7287:                             ;   in Loop: Header=BB6_6449 Depth=4
	s_xor_b32 s63, exec_lo, -1
; %bb.7288:                             ;   in Loop: Header=BB6_6449 Depth=4
	s_or_b32 exec_lo, exec_lo, s72
	s_and_b32 s63, s63, exec_lo
	s_or_saveexec_b32 s16, s16
	v_mov_b32_e32 v42, 0x7f800001
	s_xor_b32 exec_lo, exec_lo, s16
	s_cbranch_execnz .LBB6_7684
.LBB6_7289:                             ;   in Loop: Header=BB6_6449 Depth=4
	s_or_b32 exec_lo, exec_lo, s16
	s_and_saveexec_b32 s16, s63
	s_cbranch_execz .LBB6_7291
.LBB6_7290:                             ;   in Loop: Header=BB6_6449 Depth=4
	v_and_b32_e32 v42, 3, v53
	v_lshrrev_b16 v44, 2, v53
	v_ffbh_u32_e32 v43, v42
	v_and_b32_e32 v44, 31, v44
	v_min_u32_e32 v43, 32, v43
	v_cmp_eq_u32_e32 vcc_lo, 0, v44
	v_subrev_nc_u32_e32 v45, 29, v43
	v_sub_nc_u32_e32 v43, 30, v43
	v_lshlrev_b32_e32 v45, v45, v53
	v_lshlrev_b32_e32 v53, 24, v53
	v_cndmask_b32_e32 v43, v44, v43, vcc_lo
	v_and_b32_e32 v45, 3, v45
	v_and_b32_e32 v53, 0x80000000, v53
	v_lshl_add_u32 v43, v43, 23, 0x37800000
	v_cndmask_b32_e32 v42, v42, v45, vcc_lo
	v_lshlrev_b32_e32 v42, 21, v42
	v_or3_b32 v42, v53, v43, v42
.LBB6_7291:                             ;   in Loop: Header=BB6_6449 Depth=4
	s_or_b32 exec_lo, exec_lo, s16
	s_waitcnt vmcnt(12) lgkmcnt(12)
	v_cmp_gt_i16_sdwa s63, v41, v116 src0_sel:BYTE_0 src1_sel:DWORD
	s_mov_b32 s16, 0
	s_and_saveexec_b32 s72, s63
	s_xor_b32 s63, exec_lo, s72
	s_cbranch_execz .LBB6_7685
; %bb.7292:                             ;   in Loop: Header=BB6_6449 Depth=4
	v_cmp_eq_u16_sdwa s73, v41, v117 src0_sel:BYTE_0 src1_sel:DWORD
	s_mov_b32 s16, -1
	s_and_saveexec_b32 s72, s73
; %bb.7293:                             ;   in Loop: Header=BB6_6449 Depth=4
	s_xor_b32 s16, exec_lo, -1
; %bb.7294:                             ;   in Loop: Header=BB6_6449 Depth=4
	s_or_b32 exec_lo, exec_lo, s72
	s_and_b32 s16, s16, exec_lo
	s_or_saveexec_b32 s63, s63
	v_mov_b32_e32 v53, 0x7f800001
	s_xor_b32 exec_lo, exec_lo, s63
	s_cbranch_execnz .LBB6_7686
.LBB6_7295:                             ;   in Loop: Header=BB6_6449 Depth=4
	s_or_b32 exec_lo, exec_lo, s63
	s_and_saveexec_b32 s63, s16
	s_cbranch_execz .LBB6_7297
.LBB6_7296:                             ;   in Loop: Header=BB6_6449 Depth=4
	v_and_b32_e32 v53, 3, v41
	v_lshrrev_b16 v44, 2, v41
	v_ffbh_u32_e32 v43, v53
	v_and_b32_e32 v44, 31, v44
	v_min_u32_e32 v43, 32, v43
	v_cmp_eq_u32_e32 vcc_lo, 0, v44
	v_subrev_nc_u32_e32 v45, 29, v43
	v_sub_nc_u32_e32 v43, 30, v43
	v_lshlrev_b32_e32 v45, v45, v41
	v_lshlrev_b32_e32 v41, 24, v41
	v_cndmask_b32_e32 v43, v44, v43, vcc_lo
	v_and_b32_e32 v45, 3, v45
	v_and_b32_e32 v41, 0x80000000, v41
	v_lshl_add_u32 v43, v43, 23, 0x37800000
	v_cndmask_b32_e32 v53, v53, v45, vcc_lo
	v_lshlrev_b32_e32 v53, 21, v53
	v_or3_b32 v53, v41, v43, v53
.LBB6_7297:                             ;   in Loop: Header=BB6_6449 Depth=4
	s_or_b32 exec_lo, exec_lo, s63
	v_add_f32_e32 v41, v42, v53
	v_and_b32_e32 v53, 0x7f800000, v41
	v_cmp_ne_u32_e32 vcc_lo, 0x7f800000, v53
	v_mov_b32_e32 v53, 0x80
	s_and_saveexec_b32 s63, vcc_lo
	s_cbranch_execz .LBB6_7305
; %bb.7298:                             ;   in Loop: Header=BB6_6449 Depth=4
	v_mov_b32_e32 v53, 0
	s_mov_b32 s72, exec_lo
	v_cmpx_ne_u32_e32 0, v41
	s_cbranch_execz .LBB6_7304
; %bb.7299:                             ;   in Loop: Header=BB6_6449 Depth=4
	v_bfe_u32 v42, v41, 23, 8
	v_and_b32_e32 v53, 0x7fffff, v41
	v_cmp_gt_u32_e64 s16, 0x71, v42
	v_sub_nc_u32_e32 v43, 0x70, v42
	v_cmp_eq_u32_e32 vcc_lo, 0, v42
	v_or_b32_e32 v44, 0x800000, v53
	v_cndmask_b32_e64 v43, 0, v43, s16
	v_cndmask_b32_e32 v53, v44, v53, vcc_lo
	v_cndmask_b32_e64 v43, v43, 0x6f, vcc_lo
	v_lshl_add_u32 v44, 0x200000, v43, -1
	v_lshlrev_b32_e64 v45, v43, 0x100000
	v_and_b32_e32 v44, v44, v53
	v_cmp_eq_u32_e64 s16, v44, v45
	v_lshrrev_b32_e32 v44, v43, v53
	v_add_nc_u32_e32 v53, 0xffffff91, v42
	v_lshrrev_b32_e32 v42, 23, v44
	v_cndmask_b32_e64 v53, v53, 0xffffff92, vcc_lo
	v_xor_b32_e32 v42, 1, v42
	v_add_nc_u32_e32 v53, v43, v53
	v_bfe_u32 v43, v44, 21, 1
	v_add_nc_u32_e32 v43, -1, v43
	v_cndmask_b32_e64 v43, 0, v43, s16
	s_mov_b32 s16, exec_lo
	v_add_nc_u32_e32 v43, v43, v44
	v_and_b32_e32 v43, 0x1fffff, v43
	v_add_nc_u32_e32 v43, v43, v44
                                        ; implicit-def: $vgpr44
	v_cmpx_ne_u32_e64 v53, v42
	s_xor_b32 s16, exec_lo, s16
; %bb.7300:                             ;   in Loop: Header=BB6_6449 Depth=4
	v_cmp_lt_u32_e32 vcc_lo, 0xffffff, v43
	v_sub_nc_u32_e32 v53, v53, v42
	v_cndmask_b32_e64 v42, 0, 1, vcc_lo
	v_add_co_ci_u32_e64 v44, null, 0, v53, vcc_lo
	v_lshrrev_b32_e32 v43, v42, v43
; %bb.7301:                             ;   in Loop: Header=BB6_6449 Depth=4
	s_andn2_saveexec_b32 s16, s16
; %bb.7302:                             ;   in Loop: Header=BB6_6449 Depth=4
	v_bfe_u32 v44, v43, 23, 1
; %bb.7303:                             ;   in Loop: Header=BB6_6449 Depth=4
	s_or_b32 exec_lo, exec_lo, s16
	v_and_b32_sdwa v53, v41, v117 dst_sel:DWORD dst_unused:UNUSED_PAD src0_sel:BYTE_3 src1_sel:DWORD
	v_lshrrev_b32_e32 v41, 21, v43
	v_cmp_gt_i32_e32 vcc_lo, 32, v44
	v_min_i32_e32 v42, 31, v44
	v_cndmask_b32_e32 v41, 3, v41, vcc_lo
	v_lshlrev_b32_e32 v42, 2, v42
	v_or_b32_e32 v43, v44, v41
	v_and_b32_e32 v41, 3, v41
	v_cmp_ne_u32_e32 vcc_lo, 0, v43
	v_or3_b32 v53, v42, v53, v41
	v_cndmask_b32_e32 v53, 0, v53, vcc_lo
.LBB6_7304:                             ;   in Loop: Header=BB6_6449 Depth=4
	s_or_b32 exec_lo, exec_lo, s72
.LBB6_7305:                             ;   in Loop: Header=BB6_6449 Depth=4
	s_or_b32 exec_lo, exec_lo, s63
	v_cmp_gt_i16_sdwa s16, v51, v116 src0_sel:BYTE_0 src1_sel:DWORD
	s_mov_b32 s63, 0
	s_and_saveexec_b32 s72, s16
	s_xor_b32 s16, exec_lo, s72
	s_cbranch_execz .LBB6_7687
; %bb.7306:                             ;   in Loop: Header=BB6_6449 Depth=4
	v_cmp_eq_u16_sdwa s73, v51, v117 src0_sel:BYTE_0 src1_sel:DWORD
	s_mov_b32 s63, -1
	s_and_saveexec_b32 s72, s73
; %bb.7307:                             ;   in Loop: Header=BB6_6449 Depth=4
	s_xor_b32 s63, exec_lo, -1
; %bb.7308:                             ;   in Loop: Header=BB6_6449 Depth=4
	s_or_b32 exec_lo, exec_lo, s72
	s_and_b32 s63, s63, exec_lo
	s_or_saveexec_b32 s16, s16
	v_mov_b32_e32 v41, 0x7f800001
	s_xor_b32 exec_lo, exec_lo, s16
	s_cbranch_execnz .LBB6_7688
.LBB6_7309:                             ;   in Loop: Header=BB6_6449 Depth=4
	s_or_b32 exec_lo, exec_lo, s16
	s_and_saveexec_b32 s16, s63
	s_cbranch_execz .LBB6_7311
.LBB6_7310:                             ;   in Loop: Header=BB6_6449 Depth=4
	v_and_b32_e32 v41, 3, v51
	v_lshrrev_b16 v43, 2, v51
	v_ffbh_u32_e32 v42, v41
	v_and_b32_e32 v43, 31, v43
	v_min_u32_e32 v42, 32, v42
	v_cmp_eq_u32_e32 vcc_lo, 0, v43
	v_subrev_nc_u32_e32 v44, 29, v42
	v_sub_nc_u32_e32 v42, 30, v42
	v_lshlrev_b32_e32 v44, v44, v51
	v_lshlrev_b32_e32 v51, 24, v51
	v_cndmask_b32_e32 v42, v43, v42, vcc_lo
	v_and_b32_e32 v44, 3, v44
	v_and_b32_e32 v51, 0x80000000, v51
	v_lshl_add_u32 v42, v42, 23, 0x37800000
	v_cndmask_b32_e32 v41, v41, v44, vcc_lo
	v_lshlrev_b32_e32 v41, 21, v41
	v_or3_b32 v41, v51, v42, v41
.LBB6_7311:                             ;   in Loop: Header=BB6_6449 Depth=4
	s_or_b32 exec_lo, exec_lo, s16
	s_waitcnt vmcnt(11) lgkmcnt(11)
	v_cmp_gt_i16_sdwa s63, v115, v116 src0_sel:BYTE_0 src1_sel:DWORD
	s_mov_b32 s16, 0
	s_and_saveexec_b32 s72, s63
	s_xor_b32 s63, exec_lo, s72
	s_cbranch_execz .LBB6_7689
; %bb.7312:                             ;   in Loop: Header=BB6_6449 Depth=4
	v_cmp_eq_u16_sdwa s73, v115, v117 src0_sel:BYTE_0 src1_sel:DWORD
	s_mov_b32 s16, -1
	s_and_saveexec_b32 s72, s73
; %bb.7313:                             ;   in Loop: Header=BB6_6449 Depth=4
	s_xor_b32 s16, exec_lo, -1
; %bb.7314:                             ;   in Loop: Header=BB6_6449 Depth=4
	s_or_b32 exec_lo, exec_lo, s72
	s_and_b32 s16, s16, exec_lo
	s_or_saveexec_b32 s63, s63
	v_mov_b32_e32 v51, 0x7f800001
	s_xor_b32 exec_lo, exec_lo, s63
	s_cbranch_execnz .LBB6_7690
.LBB6_7315:                             ;   in Loop: Header=BB6_6449 Depth=4
	s_or_b32 exec_lo, exec_lo, s63
	s_and_saveexec_b32 s63, s16
	s_cbranch_execz .LBB6_7317
.LBB6_7316:                             ;   in Loop: Header=BB6_6449 Depth=4
	v_and_b32_e32 v51, 3, v115
	v_lshrrev_b16 v43, 2, v115
	v_ffbh_u32_e32 v42, v51
	v_and_b32_e32 v43, 31, v43
	v_min_u32_e32 v42, 32, v42
	v_cmp_eq_u32_e32 vcc_lo, 0, v43
	v_subrev_nc_u32_e32 v44, 29, v42
	v_sub_nc_u32_e32 v42, 30, v42
	v_lshlrev_b32_e32 v44, v44, v115
	v_lshlrev_b32_e32 v115, 24, v115
	v_cndmask_b32_e32 v42, v43, v42, vcc_lo
	v_and_b32_e32 v44, 3, v44
	v_and_b32_e32 v115, 0x80000000, v115
	v_lshl_add_u32 v42, v42, 23, 0x37800000
	v_cndmask_b32_e32 v51, v51, v44, vcc_lo
	v_lshlrev_b32_e32 v51, 21, v51
	v_or3_b32 v51, v115, v42, v51
.LBB6_7317:                             ;   in Loop: Header=BB6_6449 Depth=4
	s_or_b32 exec_lo, exec_lo, s63
	v_add_f32_e32 v115, v41, v51
	v_and_b32_e32 v51, 0x7f800000, v115
	v_cmp_ne_u32_e32 vcc_lo, 0x7f800000, v51
	v_mov_b32_e32 v51, 0x80
	s_and_saveexec_b32 s63, vcc_lo
	s_cbranch_execz .LBB6_7325
; %bb.7318:                             ;   in Loop: Header=BB6_6449 Depth=4
	v_mov_b32_e32 v51, 0
	s_mov_b32 s72, exec_lo
	v_cmpx_ne_u32_e32 0, v115
	s_cbranch_execz .LBB6_7324
; %bb.7319:                             ;   in Loop: Header=BB6_6449 Depth=4
	v_bfe_u32 v41, v115, 23, 8
	v_and_b32_e32 v51, 0x7fffff, v115
	v_cmp_gt_u32_e64 s16, 0x71, v41
	v_sub_nc_u32_e32 v42, 0x70, v41
	v_cmp_eq_u32_e32 vcc_lo, 0, v41
	v_or_b32_e32 v43, 0x800000, v51
	v_cndmask_b32_e64 v42, 0, v42, s16
	v_cndmask_b32_e32 v51, v43, v51, vcc_lo
	v_cndmask_b32_e64 v42, v42, 0x6f, vcc_lo
	v_lshl_add_u32 v43, 0x200000, v42, -1
	v_lshlrev_b32_e64 v44, v42, 0x100000
	v_and_b32_e32 v43, v43, v51
	v_cmp_eq_u32_e64 s16, v43, v44
	v_lshrrev_b32_e32 v43, v42, v51
	v_add_nc_u32_e32 v51, 0xffffff91, v41
	v_lshrrev_b32_e32 v41, 23, v43
	v_cndmask_b32_e64 v51, v51, 0xffffff92, vcc_lo
	v_xor_b32_e32 v41, 1, v41
	v_add_nc_u32_e32 v51, v42, v51
	v_bfe_u32 v42, v43, 21, 1
	v_add_nc_u32_e32 v42, -1, v42
	v_cndmask_b32_e64 v42, 0, v42, s16
	s_mov_b32 s16, exec_lo
	v_add_nc_u32_e32 v42, v42, v43
	v_and_b32_e32 v42, 0x1fffff, v42
	v_add_nc_u32_e32 v42, v42, v43
                                        ; implicit-def: $vgpr43
	v_cmpx_ne_u32_e64 v51, v41
	s_xor_b32 s16, exec_lo, s16
; %bb.7320:                             ;   in Loop: Header=BB6_6449 Depth=4
	v_cmp_lt_u32_e32 vcc_lo, 0xffffff, v42
	v_sub_nc_u32_e32 v51, v51, v41
	v_cndmask_b32_e64 v41, 0, 1, vcc_lo
	v_add_co_ci_u32_e64 v43, null, 0, v51, vcc_lo
	v_lshrrev_b32_e32 v42, v41, v42
; %bb.7321:                             ;   in Loop: Header=BB6_6449 Depth=4
	s_andn2_saveexec_b32 s16, s16
; %bb.7322:                             ;   in Loop: Header=BB6_6449 Depth=4
	v_bfe_u32 v43, v42, 23, 1
; %bb.7323:                             ;   in Loop: Header=BB6_6449 Depth=4
	s_or_b32 exec_lo, exec_lo, s16
	v_and_b32_sdwa v51, v115, v117 dst_sel:DWORD dst_unused:UNUSED_PAD src0_sel:BYTE_3 src1_sel:DWORD
	v_lshrrev_b32_e32 v115, 21, v42
	v_cmp_gt_i32_e32 vcc_lo, 32, v43
	v_min_i32_e32 v41, 31, v43
	v_cndmask_b32_e32 v115, 3, v115, vcc_lo
	v_lshlrev_b32_e32 v41, 2, v41
	v_or_b32_e32 v42, v43, v115
	v_and_b32_e32 v115, 3, v115
	v_cmp_ne_u32_e32 vcc_lo, 0, v42
	v_or3_b32 v51, v41, v51, v115
	v_cndmask_b32_e32 v51, 0, v51, vcc_lo
.LBB6_7324:                             ;   in Loop: Header=BB6_6449 Depth=4
	s_or_b32 exec_lo, exec_lo, s72
.LBB6_7325:                             ;   in Loop: Header=BB6_6449 Depth=4
	s_or_b32 exec_lo, exec_lo, s63
	v_cmp_gt_i16_sdwa s16, v37, v116 src0_sel:BYTE_0 src1_sel:DWORD
	s_mov_b32 s63, 0
	s_and_saveexec_b32 s72, s16
	s_xor_b32 s16, exec_lo, s72
	s_cbranch_execz .LBB6_7691
; %bb.7326:                             ;   in Loop: Header=BB6_6449 Depth=4
	v_cmp_eq_u16_sdwa s73, v37, v117 src0_sel:BYTE_0 src1_sel:DWORD
	s_mov_b32 s63, -1
	s_and_saveexec_b32 s72, s73
; %bb.7327:                             ;   in Loop: Header=BB6_6449 Depth=4
	s_xor_b32 s63, exec_lo, -1
; %bb.7328:                             ;   in Loop: Header=BB6_6449 Depth=4
	s_or_b32 exec_lo, exec_lo, s72
	s_and_b32 s63, s63, exec_lo
	s_or_saveexec_b32 s16, s16
	v_mov_b32_e32 v115, 0x7f800001
	s_xor_b32 exec_lo, exec_lo, s16
	s_cbranch_execnz .LBB6_7692
.LBB6_7329:                             ;   in Loop: Header=BB6_6449 Depth=4
	s_or_b32 exec_lo, exec_lo, s16
	s_and_saveexec_b32 s16, s63
	s_cbranch_execz .LBB6_7331
.LBB6_7330:                             ;   in Loop: Header=BB6_6449 Depth=4
	v_and_b32_e32 v115, 3, v37
	v_lshrrev_b16 v42, 2, v37
	v_ffbh_u32_e32 v41, v115
	v_and_b32_e32 v42, 31, v42
	v_min_u32_e32 v41, 32, v41
	v_cmp_eq_u32_e32 vcc_lo, 0, v42
	v_subrev_nc_u32_e32 v43, 29, v41
	v_sub_nc_u32_e32 v41, 30, v41
	v_lshlrev_b32_e32 v43, v43, v37
	v_lshlrev_b32_e32 v37, 24, v37
	v_cndmask_b32_e32 v41, v42, v41, vcc_lo
	v_and_b32_e32 v43, 3, v43
	v_and_b32_e32 v37, 0x80000000, v37
	v_lshl_add_u32 v41, v41, 23, 0x37800000
	v_cndmask_b32_e32 v115, v115, v43, vcc_lo
	v_lshlrev_b32_e32 v115, 21, v115
	v_or3_b32 v115, v37, v41, v115
.LBB6_7331:                             ;   in Loop: Header=BB6_6449 Depth=4
	s_or_b32 exec_lo, exec_lo, s16
	s_waitcnt vmcnt(10) lgkmcnt(10)
	v_cmp_gt_i16_sdwa s63, v112, v116 src0_sel:BYTE_0 src1_sel:DWORD
	s_mov_b32 s16, 0
	s_and_saveexec_b32 s72, s63
	s_xor_b32 s63, exec_lo, s72
	s_cbranch_execz .LBB6_7693
; %bb.7332:                             ;   in Loop: Header=BB6_6449 Depth=4
	v_cmp_eq_u16_sdwa s73, v112, v117 src0_sel:BYTE_0 src1_sel:DWORD
	s_mov_b32 s16, -1
	s_and_saveexec_b32 s72, s73
; %bb.7333:                             ;   in Loop: Header=BB6_6449 Depth=4
	s_xor_b32 s16, exec_lo, -1
; %bb.7334:                             ;   in Loop: Header=BB6_6449 Depth=4
	s_or_b32 exec_lo, exec_lo, s72
	s_and_b32 s16, s16, exec_lo
	s_or_saveexec_b32 s63, s63
	v_mov_b32_e32 v37, 0x7f800001
	s_xor_b32 exec_lo, exec_lo, s63
	s_cbranch_execnz .LBB6_7694
.LBB6_7335:                             ;   in Loop: Header=BB6_6449 Depth=4
	s_or_b32 exec_lo, exec_lo, s63
	s_and_saveexec_b32 s63, s16
	s_cbranch_execz .LBB6_7337
.LBB6_7336:                             ;   in Loop: Header=BB6_6449 Depth=4
	v_and_b32_e32 v37, 3, v112
	v_lshrrev_b16 v42, 2, v112
	v_ffbh_u32_e32 v41, v37
	v_and_b32_e32 v42, 31, v42
	v_min_u32_e32 v41, 32, v41
	v_cmp_eq_u32_e32 vcc_lo, 0, v42
	v_subrev_nc_u32_e32 v43, 29, v41
	v_sub_nc_u32_e32 v41, 30, v41
	v_lshlrev_b32_e32 v43, v43, v112
	v_lshlrev_b32_e32 v112, 24, v112
	v_cndmask_b32_e32 v41, v42, v41, vcc_lo
	v_and_b32_e32 v43, 3, v43
	v_and_b32_e32 v112, 0x80000000, v112
	v_lshl_add_u32 v41, v41, 23, 0x37800000
	v_cndmask_b32_e32 v37, v37, v43, vcc_lo
	v_lshlrev_b32_e32 v37, 21, v37
	v_or3_b32 v37, v112, v41, v37
.LBB6_7337:                             ;   in Loop: Header=BB6_6449 Depth=4
	s_or_b32 exec_lo, exec_lo, s63
	v_add_f32_e32 v112, v115, v37
	v_and_b32_e32 v37, 0x7f800000, v112
	v_cmp_ne_u32_e32 vcc_lo, 0x7f800000, v37
	v_mov_b32_e32 v37, 0x80
	s_and_saveexec_b32 s63, vcc_lo
	s_cbranch_execz .LBB6_7345
; %bb.7338:                             ;   in Loop: Header=BB6_6449 Depth=4
	v_mov_b32_e32 v37, 0
	s_mov_b32 s72, exec_lo
	v_cmpx_ne_u32_e32 0, v112
	s_cbranch_execz .LBB6_7344
; %bb.7339:                             ;   in Loop: Header=BB6_6449 Depth=4
	v_bfe_u32 v115, v112, 23, 8
	v_and_b32_e32 v37, 0x7fffff, v112
	v_cmp_gt_u32_e64 s16, 0x71, v115
	v_sub_nc_u32_e32 v41, 0x70, v115
	v_cmp_eq_u32_e32 vcc_lo, 0, v115
	v_or_b32_e32 v42, 0x800000, v37
	v_cndmask_b32_e64 v41, 0, v41, s16
	v_cndmask_b32_e32 v37, v42, v37, vcc_lo
	v_cndmask_b32_e64 v41, v41, 0x6f, vcc_lo
	v_lshl_add_u32 v42, 0x200000, v41, -1
	v_lshlrev_b32_e64 v43, v41, 0x100000
	v_and_b32_e32 v42, v42, v37
	v_cmp_eq_u32_e64 s16, v42, v43
	v_lshrrev_b32_e32 v42, v41, v37
	v_add_nc_u32_e32 v37, 0xffffff91, v115
	v_lshrrev_b32_e32 v115, 23, v42
	v_cndmask_b32_e64 v37, v37, 0xffffff92, vcc_lo
	v_xor_b32_e32 v115, 1, v115
	v_add_nc_u32_e32 v37, v41, v37
	v_bfe_u32 v41, v42, 21, 1
	v_add_nc_u32_e32 v41, -1, v41
	v_cndmask_b32_e64 v41, 0, v41, s16
	s_mov_b32 s16, exec_lo
	v_add_nc_u32_e32 v41, v41, v42
	v_and_b32_e32 v41, 0x1fffff, v41
	v_add_nc_u32_e32 v41, v41, v42
                                        ; implicit-def: $vgpr42
	v_cmpx_ne_u32_e64 v37, v115
	s_xor_b32 s16, exec_lo, s16
; %bb.7340:                             ;   in Loop: Header=BB6_6449 Depth=4
	v_cmp_lt_u32_e32 vcc_lo, 0xffffff, v41
	v_sub_nc_u32_e32 v37, v37, v115
	v_cndmask_b32_e64 v115, 0, 1, vcc_lo
	v_add_co_ci_u32_e64 v42, null, 0, v37, vcc_lo
	v_lshrrev_b32_e32 v41, v115, v41
; %bb.7341:                             ;   in Loop: Header=BB6_6449 Depth=4
	s_andn2_saveexec_b32 s16, s16
; %bb.7342:                             ;   in Loop: Header=BB6_6449 Depth=4
	v_bfe_u32 v42, v41, 23, 1
; %bb.7343:                             ;   in Loop: Header=BB6_6449 Depth=4
	s_or_b32 exec_lo, exec_lo, s16
	v_and_b32_sdwa v37, v112, v117 dst_sel:DWORD dst_unused:UNUSED_PAD src0_sel:BYTE_3 src1_sel:DWORD
	v_lshrrev_b32_e32 v112, 21, v41
	v_cmp_gt_i32_e32 vcc_lo, 32, v42
	v_min_i32_e32 v115, 31, v42
	v_cndmask_b32_e32 v112, 3, v112, vcc_lo
	v_lshlrev_b32_e32 v115, 2, v115
	v_or_b32_e32 v41, v42, v112
	v_and_b32_e32 v112, 3, v112
	v_cmp_ne_u32_e32 vcc_lo, 0, v41
	v_or3_b32 v37, v115, v37, v112
	v_cndmask_b32_e32 v37, 0, v37, vcc_lo
.LBB6_7344:                             ;   in Loop: Header=BB6_6449 Depth=4
	s_or_b32 exec_lo, exec_lo, s72
.LBB6_7345:                             ;   in Loop: Header=BB6_6449 Depth=4
	s_or_b32 exec_lo, exec_lo, s63
	v_cmp_gt_i16_sdwa s16, v36, v116 src0_sel:BYTE_0 src1_sel:DWORD
	s_mov_b32 s63, 0
	s_and_saveexec_b32 s72, s16
	s_xor_b32 s16, exec_lo, s72
	s_cbranch_execz .LBB6_7695
; %bb.7346:                             ;   in Loop: Header=BB6_6449 Depth=4
	v_cmp_eq_u16_sdwa s73, v36, v117 src0_sel:BYTE_0 src1_sel:DWORD
	s_mov_b32 s63, -1
	s_and_saveexec_b32 s72, s73
; %bb.7347:                             ;   in Loop: Header=BB6_6449 Depth=4
	s_xor_b32 s63, exec_lo, -1
; %bb.7348:                             ;   in Loop: Header=BB6_6449 Depth=4
	s_or_b32 exec_lo, exec_lo, s72
	s_and_b32 s63, s63, exec_lo
	s_or_saveexec_b32 s16, s16
	v_mov_b32_e32 v112, 0x7f800001
	s_xor_b32 exec_lo, exec_lo, s16
	s_cbranch_execnz .LBB6_7696
.LBB6_7349:                             ;   in Loop: Header=BB6_6449 Depth=4
	s_or_b32 exec_lo, exec_lo, s16
	s_and_saveexec_b32 s16, s63
	s_cbranch_execz .LBB6_7351
.LBB6_7350:                             ;   in Loop: Header=BB6_6449 Depth=4
	v_and_b32_e32 v112, 3, v36
	v_lshrrev_b16 v41, 2, v36
	v_ffbh_u32_e32 v115, v112
	v_and_b32_e32 v41, 31, v41
	v_min_u32_e32 v115, 32, v115
	v_cmp_eq_u32_e32 vcc_lo, 0, v41
	v_subrev_nc_u32_e32 v42, 29, v115
	v_sub_nc_u32_e32 v115, 30, v115
	v_lshlrev_b32_e32 v42, v42, v36
	v_lshlrev_b32_e32 v36, 24, v36
	v_cndmask_b32_e32 v115, v41, v115, vcc_lo
	v_and_b32_e32 v42, 3, v42
	v_and_b32_e32 v36, 0x80000000, v36
	v_lshl_add_u32 v115, v115, 23, 0x37800000
	v_cndmask_b32_e32 v112, v112, v42, vcc_lo
	v_lshlrev_b32_e32 v112, 21, v112
	v_or3_b32 v112, v36, v115, v112
.LBB6_7351:                             ;   in Loop: Header=BB6_6449 Depth=4
	s_or_b32 exec_lo, exec_lo, s16
	s_waitcnt vmcnt(9) lgkmcnt(9)
	v_cmp_gt_i16_sdwa s63, v96, v116 src0_sel:BYTE_0 src1_sel:DWORD
	s_mov_b32 s16, 0
	s_and_saveexec_b32 s72, s63
	s_xor_b32 s63, exec_lo, s72
	s_cbranch_execz .LBB6_7697
; %bb.7352:                             ;   in Loop: Header=BB6_6449 Depth=4
	v_cmp_eq_u16_sdwa s73, v96, v117 src0_sel:BYTE_0 src1_sel:DWORD
	s_mov_b32 s16, -1
	s_and_saveexec_b32 s72, s73
; %bb.7353:                             ;   in Loop: Header=BB6_6449 Depth=4
	s_xor_b32 s16, exec_lo, -1
; %bb.7354:                             ;   in Loop: Header=BB6_6449 Depth=4
	s_or_b32 exec_lo, exec_lo, s72
	s_and_b32 s16, s16, exec_lo
	s_or_saveexec_b32 s63, s63
	v_mov_b32_e32 v36, 0x7f800001
	s_xor_b32 exec_lo, exec_lo, s63
	s_cbranch_execnz .LBB6_7698
.LBB6_7355:                             ;   in Loop: Header=BB6_6449 Depth=4
	s_or_b32 exec_lo, exec_lo, s63
	s_and_saveexec_b32 s63, s16
	s_cbranch_execz .LBB6_7357
.LBB6_7356:                             ;   in Loop: Header=BB6_6449 Depth=4
	v_and_b32_e32 v36, 3, v96
	v_lshrrev_b16 v41, 2, v96
	v_ffbh_u32_e32 v115, v36
	v_and_b32_e32 v41, 31, v41
	v_min_u32_e32 v115, 32, v115
	v_cmp_eq_u32_e32 vcc_lo, 0, v41
	v_subrev_nc_u32_e32 v42, 29, v115
	v_sub_nc_u32_e32 v115, 30, v115
	v_lshlrev_b32_e32 v42, v42, v96
	v_lshlrev_b32_e32 v96, 24, v96
	v_cndmask_b32_e32 v115, v41, v115, vcc_lo
	v_and_b32_e32 v42, 3, v42
	v_and_b32_e32 v96, 0x80000000, v96
	v_lshl_add_u32 v115, v115, 23, 0x37800000
	v_cndmask_b32_e32 v36, v36, v42, vcc_lo
	v_lshlrev_b32_e32 v36, 21, v36
	v_or3_b32 v36, v96, v115, v36
.LBB6_7357:                             ;   in Loop: Header=BB6_6449 Depth=4
	s_or_b32 exec_lo, exec_lo, s63
	v_add_f32_e32 v96, v112, v36
	v_and_b32_e32 v36, 0x7f800000, v96
	v_cmp_ne_u32_e32 vcc_lo, 0x7f800000, v36
	v_mov_b32_e32 v36, 0x80
	s_and_saveexec_b32 s63, vcc_lo
	s_cbranch_execz .LBB6_7365
; %bb.7358:                             ;   in Loop: Header=BB6_6449 Depth=4
	v_mov_b32_e32 v36, 0
	s_mov_b32 s72, exec_lo
	v_cmpx_ne_u32_e32 0, v96
	s_cbranch_execz .LBB6_7364
; %bb.7359:                             ;   in Loop: Header=BB6_6449 Depth=4
	v_bfe_u32 v112, v96, 23, 8
	v_and_b32_e32 v36, 0x7fffff, v96
	v_cmp_gt_u32_e64 s16, 0x71, v112
	v_sub_nc_u32_e32 v115, 0x70, v112
	v_cmp_eq_u32_e32 vcc_lo, 0, v112
	v_or_b32_e32 v41, 0x800000, v36
	v_cndmask_b32_e64 v115, 0, v115, s16
	v_cndmask_b32_e32 v36, v41, v36, vcc_lo
	v_cndmask_b32_e64 v115, v115, 0x6f, vcc_lo
	v_lshl_add_u32 v41, 0x200000, v115, -1
	v_lshlrev_b32_e64 v42, v115, 0x100000
	v_and_b32_e32 v41, v41, v36
	v_cmp_eq_u32_e64 s16, v41, v42
	v_lshrrev_b32_e32 v41, v115, v36
	v_add_nc_u32_e32 v36, 0xffffff91, v112
	v_lshrrev_b32_e32 v112, 23, v41
	v_cndmask_b32_e64 v36, v36, 0xffffff92, vcc_lo
	v_xor_b32_e32 v112, 1, v112
	v_add_nc_u32_e32 v36, v115, v36
	v_bfe_u32 v115, v41, 21, 1
	v_add_nc_u32_e32 v115, -1, v115
	v_cndmask_b32_e64 v115, 0, v115, s16
	s_mov_b32 s16, exec_lo
	v_add_nc_u32_e32 v115, v115, v41
	v_and_b32_e32 v115, 0x1fffff, v115
	v_add_nc_u32_e32 v115, v115, v41
                                        ; implicit-def: $vgpr41
	v_cmpx_ne_u32_e64 v36, v112
	s_xor_b32 s16, exec_lo, s16
; %bb.7360:                             ;   in Loop: Header=BB6_6449 Depth=4
	v_cmp_lt_u32_e32 vcc_lo, 0xffffff, v115
	v_sub_nc_u32_e32 v36, v36, v112
	v_cndmask_b32_e64 v112, 0, 1, vcc_lo
	v_add_co_ci_u32_e64 v41, null, 0, v36, vcc_lo
	v_lshrrev_b32_e32 v115, v112, v115
; %bb.7361:                             ;   in Loop: Header=BB6_6449 Depth=4
	s_andn2_saveexec_b32 s16, s16
; %bb.7362:                             ;   in Loop: Header=BB6_6449 Depth=4
	v_bfe_u32 v41, v115, 23, 1
; %bb.7363:                             ;   in Loop: Header=BB6_6449 Depth=4
	s_or_b32 exec_lo, exec_lo, s16
	v_and_b32_sdwa v36, v96, v117 dst_sel:DWORD dst_unused:UNUSED_PAD src0_sel:BYTE_3 src1_sel:DWORD
	v_lshrrev_b32_e32 v96, 21, v115
	v_cmp_gt_i32_e32 vcc_lo, 32, v41
	v_min_i32_e32 v112, 31, v41
	v_cndmask_b32_e32 v96, 3, v96, vcc_lo
	v_lshlrev_b32_e32 v112, 2, v112
	v_or_b32_e32 v115, v41, v96
	v_and_b32_e32 v96, 3, v96
	v_cmp_ne_u32_e32 vcc_lo, 0, v115
	v_or3_b32 v36, v112, v36, v96
	v_cndmask_b32_e32 v36, 0, v36, vcc_lo
.LBB6_7364:                             ;   in Loop: Header=BB6_6449 Depth=4
	s_or_b32 exec_lo, exec_lo, s72
.LBB6_7365:                             ;   in Loop: Header=BB6_6449 Depth=4
	s_or_b32 exec_lo, exec_lo, s63
	v_cmp_gt_i16_sdwa s16, v29, v116 src0_sel:BYTE_0 src1_sel:DWORD
	s_mov_b32 s63, 0
	s_and_saveexec_b32 s72, s16
	s_xor_b32 s16, exec_lo, s72
	s_cbranch_execz .LBB6_7699
; %bb.7366:                             ;   in Loop: Header=BB6_6449 Depth=4
	v_cmp_eq_u16_sdwa s73, v29, v117 src0_sel:BYTE_0 src1_sel:DWORD
	s_mov_b32 s63, -1
	s_and_saveexec_b32 s72, s73
; %bb.7367:                             ;   in Loop: Header=BB6_6449 Depth=4
	s_xor_b32 s63, exec_lo, -1
; %bb.7368:                             ;   in Loop: Header=BB6_6449 Depth=4
	s_or_b32 exec_lo, exec_lo, s72
	s_and_b32 s63, s63, exec_lo
	s_or_saveexec_b32 s16, s16
	v_mov_b32_e32 v96, 0x7f800001
	s_xor_b32 exec_lo, exec_lo, s16
	s_cbranch_execnz .LBB6_7700
.LBB6_7369:                             ;   in Loop: Header=BB6_6449 Depth=4
	s_or_b32 exec_lo, exec_lo, s16
	s_and_saveexec_b32 s16, s63
	s_cbranch_execz .LBB6_7371
.LBB6_7370:                             ;   in Loop: Header=BB6_6449 Depth=4
	v_and_b32_e32 v96, 3, v29
	v_lshrrev_b16 v115, 2, v29
	v_ffbh_u32_e32 v112, v96
	v_and_b32_e32 v115, 31, v115
	v_min_u32_e32 v112, 32, v112
	v_cmp_eq_u32_e32 vcc_lo, 0, v115
	v_subrev_nc_u32_e32 v41, 29, v112
	v_sub_nc_u32_e32 v112, 30, v112
	v_lshlrev_b32_e32 v41, v41, v29
	v_lshlrev_b32_e32 v29, 24, v29
	v_cndmask_b32_e32 v112, v115, v112, vcc_lo
	v_and_b32_e32 v41, 3, v41
	v_and_b32_e32 v29, 0x80000000, v29
	v_lshl_add_u32 v112, v112, 23, 0x37800000
	v_cndmask_b32_e32 v96, v96, v41, vcc_lo
	v_lshlrev_b32_e32 v96, 21, v96
	v_or3_b32 v96, v29, v112, v96
.LBB6_7371:                             ;   in Loop: Header=BB6_6449 Depth=4
	s_or_b32 exec_lo, exec_lo, s16
	s_waitcnt vmcnt(8) lgkmcnt(8)
	v_cmp_gt_i16_sdwa s63, v84, v116 src0_sel:BYTE_0 src1_sel:DWORD
	s_mov_b32 s16, 0
	s_and_saveexec_b32 s72, s63
	s_xor_b32 s63, exec_lo, s72
	s_cbranch_execz .LBB6_7701
; %bb.7372:                             ;   in Loop: Header=BB6_6449 Depth=4
	v_cmp_eq_u16_sdwa s73, v84, v117 src0_sel:BYTE_0 src1_sel:DWORD
	s_mov_b32 s16, -1
	s_and_saveexec_b32 s72, s73
; %bb.7373:                             ;   in Loop: Header=BB6_6449 Depth=4
	s_xor_b32 s16, exec_lo, -1
; %bb.7374:                             ;   in Loop: Header=BB6_6449 Depth=4
	s_or_b32 exec_lo, exec_lo, s72
	s_and_b32 s16, s16, exec_lo
	s_or_saveexec_b32 s63, s63
	v_mov_b32_e32 v29, 0x7f800001
	s_xor_b32 exec_lo, exec_lo, s63
	s_cbranch_execnz .LBB6_7702
.LBB6_7375:                             ;   in Loop: Header=BB6_6449 Depth=4
	s_or_b32 exec_lo, exec_lo, s63
	s_and_saveexec_b32 s63, s16
	s_cbranch_execz .LBB6_7377
.LBB6_7376:                             ;   in Loop: Header=BB6_6449 Depth=4
	v_and_b32_e32 v29, 3, v84
	v_lshrrev_b16 v115, 2, v84
	v_ffbh_u32_e32 v112, v29
	v_and_b32_e32 v115, 31, v115
	v_min_u32_e32 v112, 32, v112
	v_cmp_eq_u32_e32 vcc_lo, 0, v115
	v_subrev_nc_u32_e32 v41, 29, v112
	v_sub_nc_u32_e32 v112, 30, v112
	v_lshlrev_b32_e32 v41, v41, v84
	v_lshlrev_b32_e32 v84, 24, v84
	v_cndmask_b32_e32 v112, v115, v112, vcc_lo
	v_and_b32_e32 v41, 3, v41
	v_and_b32_e32 v84, 0x80000000, v84
	v_lshl_add_u32 v112, v112, 23, 0x37800000
	v_cndmask_b32_e32 v29, v29, v41, vcc_lo
	v_lshlrev_b32_e32 v29, 21, v29
	v_or3_b32 v29, v84, v112, v29
.LBB6_7377:                             ;   in Loop: Header=BB6_6449 Depth=4
	s_or_b32 exec_lo, exec_lo, s63
	v_add_f32_e32 v84, v96, v29
	v_and_b32_e32 v29, 0x7f800000, v84
	v_cmp_ne_u32_e32 vcc_lo, 0x7f800000, v29
	v_mov_b32_e32 v29, 0x80
	s_and_saveexec_b32 s63, vcc_lo
	s_cbranch_execz .LBB6_7385
; %bb.7378:                             ;   in Loop: Header=BB6_6449 Depth=4
	v_mov_b32_e32 v29, 0
	s_mov_b32 s72, exec_lo
	v_cmpx_ne_u32_e32 0, v84
	s_cbranch_execz .LBB6_7384
; %bb.7379:                             ;   in Loop: Header=BB6_6449 Depth=4
	v_bfe_u32 v96, v84, 23, 8
	v_and_b32_e32 v29, 0x7fffff, v84
	v_cmp_gt_u32_e64 s16, 0x71, v96
	v_sub_nc_u32_e32 v112, 0x70, v96
	v_cmp_eq_u32_e32 vcc_lo, 0, v96
	v_or_b32_e32 v115, 0x800000, v29
	v_cndmask_b32_e64 v112, 0, v112, s16
	v_cndmask_b32_e32 v29, v115, v29, vcc_lo
	v_cndmask_b32_e64 v112, v112, 0x6f, vcc_lo
	v_lshl_add_u32 v115, 0x200000, v112, -1
	v_lshlrev_b32_e64 v41, v112, 0x100000
	v_and_b32_e32 v115, v115, v29
	v_cmp_eq_u32_e64 s16, v115, v41
	v_lshrrev_b32_e32 v115, v112, v29
	v_add_nc_u32_e32 v29, 0xffffff91, v96
	v_lshrrev_b32_e32 v96, 23, v115
	v_cndmask_b32_e64 v29, v29, 0xffffff92, vcc_lo
	v_xor_b32_e32 v96, 1, v96
	v_add_nc_u32_e32 v29, v112, v29
	v_bfe_u32 v112, v115, 21, 1
	v_add_nc_u32_e32 v112, -1, v112
	v_cndmask_b32_e64 v112, 0, v112, s16
	s_mov_b32 s16, exec_lo
	v_add_nc_u32_e32 v112, v112, v115
	v_and_b32_e32 v112, 0x1fffff, v112
	v_add_nc_u32_e32 v112, v112, v115
                                        ; implicit-def: $vgpr115
	v_cmpx_ne_u32_e64 v29, v96
	s_xor_b32 s16, exec_lo, s16
; %bb.7380:                             ;   in Loop: Header=BB6_6449 Depth=4
	v_cmp_lt_u32_e32 vcc_lo, 0xffffff, v112
	v_sub_nc_u32_e32 v29, v29, v96
	v_cndmask_b32_e64 v96, 0, 1, vcc_lo
	v_add_co_ci_u32_e64 v115, null, 0, v29, vcc_lo
	v_lshrrev_b32_e32 v112, v96, v112
; %bb.7381:                             ;   in Loop: Header=BB6_6449 Depth=4
	s_andn2_saveexec_b32 s16, s16
; %bb.7382:                             ;   in Loop: Header=BB6_6449 Depth=4
	v_bfe_u32 v115, v112, 23, 1
; %bb.7383:                             ;   in Loop: Header=BB6_6449 Depth=4
	s_or_b32 exec_lo, exec_lo, s16
	v_and_b32_sdwa v29, v84, v117 dst_sel:DWORD dst_unused:UNUSED_PAD src0_sel:BYTE_3 src1_sel:DWORD
	v_lshrrev_b32_e32 v84, 21, v112
	v_cmp_gt_i32_e32 vcc_lo, 32, v115
	v_min_i32_e32 v96, 31, v115
	v_cndmask_b32_e32 v84, 3, v84, vcc_lo
	v_lshlrev_b32_e32 v96, 2, v96
	v_or_b32_e32 v112, v115, v84
	v_and_b32_e32 v84, 3, v84
	v_cmp_ne_u32_e32 vcc_lo, 0, v112
	v_or3_b32 v29, v96, v29, v84
	v_cndmask_b32_e32 v29, 0, v29, vcc_lo
.LBB6_7384:                             ;   in Loop: Header=BB6_6449 Depth=4
	s_or_b32 exec_lo, exec_lo, s72
.LBB6_7385:                             ;   in Loop: Header=BB6_6449 Depth=4
	s_or_b32 exec_lo, exec_lo, s63
	v_cmp_gt_i16_sdwa s16, v28, v116 src0_sel:BYTE_0 src1_sel:DWORD
	s_mov_b32 s63, 0
	s_and_saveexec_b32 s72, s16
	s_xor_b32 s16, exec_lo, s72
	s_cbranch_execz .LBB6_7703
; %bb.7386:                             ;   in Loop: Header=BB6_6449 Depth=4
	v_cmp_eq_u16_sdwa s73, v28, v117 src0_sel:BYTE_0 src1_sel:DWORD
	s_mov_b32 s63, -1
	s_and_saveexec_b32 s72, s73
; %bb.7387:                             ;   in Loop: Header=BB6_6449 Depth=4
	s_xor_b32 s63, exec_lo, -1
; %bb.7388:                             ;   in Loop: Header=BB6_6449 Depth=4
	s_or_b32 exec_lo, exec_lo, s72
	s_and_b32 s63, s63, exec_lo
	s_or_saveexec_b32 s16, s16
	v_mov_b32_e32 v84, 0x7f800001
	s_xor_b32 exec_lo, exec_lo, s16
	s_cbranch_execnz .LBB6_7704
.LBB6_7389:                             ;   in Loop: Header=BB6_6449 Depth=4
	s_or_b32 exec_lo, exec_lo, s16
	s_and_saveexec_b32 s16, s63
	s_cbranch_execz .LBB6_7391
.LBB6_7390:                             ;   in Loop: Header=BB6_6449 Depth=4
	v_and_b32_e32 v84, 3, v28
	v_lshrrev_b16 v112, 2, v28
	v_ffbh_u32_e32 v96, v84
	v_and_b32_e32 v112, 31, v112
	v_min_u32_e32 v96, 32, v96
	v_cmp_eq_u32_e32 vcc_lo, 0, v112
	v_subrev_nc_u32_e32 v115, 29, v96
	v_sub_nc_u32_e32 v96, 30, v96
	v_lshlrev_b32_e32 v115, v115, v28
	v_lshlrev_b32_e32 v28, 24, v28
	v_cndmask_b32_e32 v96, v112, v96, vcc_lo
	v_and_b32_e32 v115, 3, v115
	v_and_b32_e32 v28, 0x80000000, v28
	v_lshl_add_u32 v96, v96, 23, 0x37800000
	v_cndmask_b32_e32 v84, v84, v115, vcc_lo
	v_lshlrev_b32_e32 v84, 21, v84
	v_or3_b32 v84, v28, v96, v84
.LBB6_7391:                             ;   in Loop: Header=BB6_6449 Depth=4
	s_or_b32 exec_lo, exec_lo, s16
	s_waitcnt vmcnt(7) lgkmcnt(7)
	v_cmp_gt_i16_sdwa s63, v80, v116 src0_sel:BYTE_0 src1_sel:DWORD
	s_mov_b32 s16, 0
	s_and_saveexec_b32 s72, s63
	s_xor_b32 s63, exec_lo, s72
	s_cbranch_execz .LBB6_7705
; %bb.7392:                             ;   in Loop: Header=BB6_6449 Depth=4
	v_cmp_eq_u16_sdwa s73, v80, v117 src0_sel:BYTE_0 src1_sel:DWORD
	s_mov_b32 s16, -1
	s_and_saveexec_b32 s72, s73
; %bb.7393:                             ;   in Loop: Header=BB6_6449 Depth=4
	s_xor_b32 s16, exec_lo, -1
; %bb.7394:                             ;   in Loop: Header=BB6_6449 Depth=4
	s_or_b32 exec_lo, exec_lo, s72
	s_and_b32 s16, s16, exec_lo
	s_or_saveexec_b32 s63, s63
	v_mov_b32_e32 v28, 0x7f800001
	s_xor_b32 exec_lo, exec_lo, s63
	s_cbranch_execnz .LBB6_7706
.LBB6_7395:                             ;   in Loop: Header=BB6_6449 Depth=4
	s_or_b32 exec_lo, exec_lo, s63
	s_and_saveexec_b32 s63, s16
	s_cbranch_execz .LBB6_7397
.LBB6_7396:                             ;   in Loop: Header=BB6_6449 Depth=4
	v_and_b32_e32 v28, 3, v80
	v_lshrrev_b16 v112, 2, v80
	v_ffbh_u32_e32 v96, v28
	v_and_b32_e32 v112, 31, v112
	v_min_u32_e32 v96, 32, v96
	v_cmp_eq_u32_e32 vcc_lo, 0, v112
	v_subrev_nc_u32_e32 v115, 29, v96
	v_sub_nc_u32_e32 v96, 30, v96
	v_lshlrev_b32_e32 v115, v115, v80
	v_lshlrev_b32_e32 v80, 24, v80
	v_cndmask_b32_e32 v96, v112, v96, vcc_lo
	v_and_b32_e32 v115, 3, v115
	v_and_b32_e32 v80, 0x80000000, v80
	v_lshl_add_u32 v96, v96, 23, 0x37800000
	v_cndmask_b32_e32 v28, v28, v115, vcc_lo
	v_lshlrev_b32_e32 v28, 21, v28
	v_or3_b32 v28, v80, v96, v28
.LBB6_7397:                             ;   in Loop: Header=BB6_6449 Depth=4
	s_or_b32 exec_lo, exec_lo, s63
	v_add_f32_e32 v80, v84, v28
	v_and_b32_e32 v28, 0x7f800000, v80
	v_cmp_ne_u32_e32 vcc_lo, 0x7f800000, v28
	v_mov_b32_e32 v28, 0x80
	s_and_saveexec_b32 s63, vcc_lo
	s_cbranch_execz .LBB6_7405
; %bb.7398:                             ;   in Loop: Header=BB6_6449 Depth=4
	v_mov_b32_e32 v28, 0
	s_mov_b32 s72, exec_lo
	v_cmpx_ne_u32_e32 0, v80
	s_cbranch_execz .LBB6_7404
; %bb.7399:                             ;   in Loop: Header=BB6_6449 Depth=4
	v_bfe_u32 v84, v80, 23, 8
	v_and_b32_e32 v28, 0x7fffff, v80
	v_cmp_gt_u32_e64 s16, 0x71, v84
	v_sub_nc_u32_e32 v96, 0x70, v84
	v_cmp_eq_u32_e32 vcc_lo, 0, v84
	v_or_b32_e32 v112, 0x800000, v28
	v_cndmask_b32_e64 v96, 0, v96, s16
	v_cndmask_b32_e32 v28, v112, v28, vcc_lo
	v_cndmask_b32_e64 v96, v96, 0x6f, vcc_lo
	v_lshl_add_u32 v112, 0x200000, v96, -1
	v_lshlrev_b32_e64 v115, v96, 0x100000
	v_and_b32_e32 v112, v112, v28
	v_cmp_eq_u32_e64 s16, v112, v115
	v_lshrrev_b32_e32 v112, v96, v28
	v_add_nc_u32_e32 v28, 0xffffff91, v84
	v_lshrrev_b32_e32 v84, 23, v112
	v_cndmask_b32_e64 v28, v28, 0xffffff92, vcc_lo
	v_xor_b32_e32 v84, 1, v84
	v_add_nc_u32_e32 v28, v96, v28
	v_bfe_u32 v96, v112, 21, 1
	v_add_nc_u32_e32 v96, -1, v96
	v_cndmask_b32_e64 v96, 0, v96, s16
	s_mov_b32 s16, exec_lo
	v_add_nc_u32_e32 v96, v96, v112
	v_and_b32_e32 v96, 0x1fffff, v96
	v_add_nc_u32_e32 v96, v96, v112
                                        ; implicit-def: $vgpr112
	v_cmpx_ne_u32_e64 v28, v84
	s_xor_b32 s16, exec_lo, s16
; %bb.7400:                             ;   in Loop: Header=BB6_6449 Depth=4
	v_cmp_lt_u32_e32 vcc_lo, 0xffffff, v96
	v_sub_nc_u32_e32 v28, v28, v84
	v_cndmask_b32_e64 v84, 0, 1, vcc_lo
	v_add_co_ci_u32_e64 v112, null, 0, v28, vcc_lo
	v_lshrrev_b32_e32 v96, v84, v96
; %bb.7401:                             ;   in Loop: Header=BB6_6449 Depth=4
	s_andn2_saveexec_b32 s16, s16
; %bb.7402:                             ;   in Loop: Header=BB6_6449 Depth=4
	v_bfe_u32 v112, v96, 23, 1
; %bb.7403:                             ;   in Loop: Header=BB6_6449 Depth=4
	s_or_b32 exec_lo, exec_lo, s16
	v_and_b32_sdwa v28, v80, v117 dst_sel:DWORD dst_unused:UNUSED_PAD src0_sel:BYTE_3 src1_sel:DWORD
	v_lshrrev_b32_e32 v80, 21, v96
	v_cmp_gt_i32_e32 vcc_lo, 32, v112
	v_min_i32_e32 v84, 31, v112
	v_cndmask_b32_e32 v80, 3, v80, vcc_lo
	v_lshlrev_b32_e32 v84, 2, v84
	v_or_b32_e32 v96, v112, v80
	v_and_b32_e32 v80, 3, v80
	v_cmp_ne_u32_e32 vcc_lo, 0, v96
	v_or3_b32 v28, v84, v28, v80
	v_cndmask_b32_e32 v28, 0, v28, vcc_lo
.LBB6_7404:                             ;   in Loop: Header=BB6_6449 Depth=4
	s_or_b32 exec_lo, exec_lo, s72
.LBB6_7405:                             ;   in Loop: Header=BB6_6449 Depth=4
	s_or_b32 exec_lo, exec_lo, s63
	v_cmp_gt_i16_sdwa s16, v25, v116 src0_sel:BYTE_0 src1_sel:DWORD
	s_mov_b32 s63, 0
	s_and_saveexec_b32 s72, s16
	s_xor_b32 s16, exec_lo, s72
	s_cbranch_execz .LBB6_7707
; %bb.7406:                             ;   in Loop: Header=BB6_6449 Depth=4
	v_cmp_eq_u16_sdwa s73, v25, v117 src0_sel:BYTE_0 src1_sel:DWORD
	s_mov_b32 s63, -1
	s_and_saveexec_b32 s72, s73
; %bb.7407:                             ;   in Loop: Header=BB6_6449 Depth=4
	s_xor_b32 s63, exec_lo, -1
; %bb.7408:                             ;   in Loop: Header=BB6_6449 Depth=4
	s_or_b32 exec_lo, exec_lo, s72
	s_and_b32 s63, s63, exec_lo
	s_or_saveexec_b32 s16, s16
	v_mov_b32_e32 v80, 0x7f800001
	s_xor_b32 exec_lo, exec_lo, s16
	s_cbranch_execnz .LBB6_7708
.LBB6_7409:                             ;   in Loop: Header=BB6_6449 Depth=4
	s_or_b32 exec_lo, exec_lo, s16
	s_and_saveexec_b32 s16, s63
	s_cbranch_execz .LBB6_7411
.LBB6_7410:                             ;   in Loop: Header=BB6_6449 Depth=4
	v_and_b32_e32 v80, 3, v25
	v_lshrrev_b16 v96, 2, v25
	v_ffbh_u32_e32 v84, v80
	v_and_b32_e32 v96, 31, v96
	v_min_u32_e32 v84, 32, v84
	v_cmp_eq_u32_e32 vcc_lo, 0, v96
	v_subrev_nc_u32_e32 v112, 29, v84
	v_sub_nc_u32_e32 v84, 30, v84
	v_lshlrev_b32_e32 v112, v112, v25
	v_lshlrev_b32_e32 v25, 24, v25
	v_cndmask_b32_e32 v84, v96, v84, vcc_lo
	v_and_b32_e32 v112, 3, v112
	v_and_b32_e32 v25, 0x80000000, v25
	v_lshl_add_u32 v84, v84, 23, 0x37800000
	v_cndmask_b32_e32 v80, v80, v112, vcc_lo
	v_lshlrev_b32_e32 v80, 21, v80
	v_or3_b32 v80, v25, v84, v80
.LBB6_7411:                             ;   in Loop: Header=BB6_6449 Depth=4
	s_or_b32 exec_lo, exec_lo, s16
	s_waitcnt vmcnt(6) lgkmcnt(6)
	v_cmp_gt_i16_sdwa s63, v54, v116 src0_sel:BYTE_0 src1_sel:DWORD
	s_mov_b32 s16, 0
	s_and_saveexec_b32 s72, s63
	s_xor_b32 s63, exec_lo, s72
	s_cbranch_execz .LBB6_7709
; %bb.7412:                             ;   in Loop: Header=BB6_6449 Depth=4
	v_cmp_eq_u16_sdwa s73, v54, v117 src0_sel:BYTE_0 src1_sel:DWORD
	s_mov_b32 s16, -1
	s_and_saveexec_b32 s72, s73
; %bb.7413:                             ;   in Loop: Header=BB6_6449 Depth=4
	s_xor_b32 s16, exec_lo, -1
; %bb.7414:                             ;   in Loop: Header=BB6_6449 Depth=4
	s_or_b32 exec_lo, exec_lo, s72
	s_and_b32 s16, s16, exec_lo
	s_or_saveexec_b32 s63, s63
	v_mov_b32_e32 v25, 0x7f800001
	s_xor_b32 exec_lo, exec_lo, s63
	s_cbranch_execnz .LBB6_7710
.LBB6_7415:                             ;   in Loop: Header=BB6_6449 Depth=4
	s_or_b32 exec_lo, exec_lo, s63
	s_and_saveexec_b32 s63, s16
	s_cbranch_execz .LBB6_7417
.LBB6_7416:                             ;   in Loop: Header=BB6_6449 Depth=4
	v_and_b32_e32 v25, 3, v54
	v_lshrrev_b16 v96, 2, v54
	v_ffbh_u32_e32 v84, v25
	v_and_b32_e32 v96, 31, v96
	v_min_u32_e32 v84, 32, v84
	v_cmp_eq_u32_e32 vcc_lo, 0, v96
	v_subrev_nc_u32_e32 v112, 29, v84
	v_sub_nc_u32_e32 v84, 30, v84
	v_lshlrev_b32_e32 v112, v112, v54
	v_lshlrev_b32_e32 v54, 24, v54
	v_cndmask_b32_e32 v84, v96, v84, vcc_lo
	v_and_b32_e32 v112, 3, v112
	v_and_b32_e32 v54, 0x80000000, v54
	v_lshl_add_u32 v84, v84, 23, 0x37800000
	v_cndmask_b32_e32 v25, v25, v112, vcc_lo
	v_lshlrev_b32_e32 v25, 21, v25
	v_or3_b32 v25, v54, v84, v25
.LBB6_7417:                             ;   in Loop: Header=BB6_6449 Depth=4
	s_or_b32 exec_lo, exec_lo, s63
	v_add_f32_e32 v54, v80, v25
	v_and_b32_e32 v25, 0x7f800000, v54
	v_cmp_ne_u32_e32 vcc_lo, 0x7f800000, v25
	v_mov_b32_e32 v25, 0x80
	s_and_saveexec_b32 s63, vcc_lo
	s_cbranch_execz .LBB6_7425
; %bb.7418:                             ;   in Loop: Header=BB6_6449 Depth=4
	v_mov_b32_e32 v25, 0
	s_mov_b32 s72, exec_lo
	v_cmpx_ne_u32_e32 0, v54
	s_cbranch_execz .LBB6_7424
; %bb.7419:                             ;   in Loop: Header=BB6_6449 Depth=4
	v_bfe_u32 v80, v54, 23, 8
	v_and_b32_e32 v25, 0x7fffff, v54
	v_cmp_gt_u32_e64 s16, 0x71, v80
	v_sub_nc_u32_e32 v84, 0x70, v80
	v_cmp_eq_u32_e32 vcc_lo, 0, v80
	v_or_b32_e32 v96, 0x800000, v25
	v_cndmask_b32_e64 v84, 0, v84, s16
	v_cndmask_b32_e32 v25, v96, v25, vcc_lo
	v_cndmask_b32_e64 v84, v84, 0x6f, vcc_lo
	v_lshl_add_u32 v96, 0x200000, v84, -1
	v_lshlrev_b32_e64 v112, v84, 0x100000
	v_and_b32_e32 v96, v96, v25
	v_cmp_eq_u32_e64 s16, v96, v112
	v_lshrrev_b32_e32 v96, v84, v25
	v_add_nc_u32_e32 v25, 0xffffff91, v80
	v_lshrrev_b32_e32 v80, 23, v96
	v_cndmask_b32_e64 v25, v25, 0xffffff92, vcc_lo
	v_xor_b32_e32 v80, 1, v80
	v_add_nc_u32_e32 v25, v84, v25
	v_bfe_u32 v84, v96, 21, 1
	v_add_nc_u32_e32 v84, -1, v84
	v_cndmask_b32_e64 v84, 0, v84, s16
	s_mov_b32 s16, exec_lo
	v_add_nc_u32_e32 v84, v84, v96
	v_and_b32_e32 v84, 0x1fffff, v84
	v_add_nc_u32_e32 v84, v84, v96
                                        ; implicit-def: $vgpr96
	v_cmpx_ne_u32_e64 v25, v80
	s_xor_b32 s16, exec_lo, s16
; %bb.7420:                             ;   in Loop: Header=BB6_6449 Depth=4
	v_cmp_lt_u32_e32 vcc_lo, 0xffffff, v84
	v_sub_nc_u32_e32 v25, v25, v80
	v_cndmask_b32_e64 v80, 0, 1, vcc_lo
	v_add_co_ci_u32_e64 v96, null, 0, v25, vcc_lo
	v_lshrrev_b32_e32 v84, v80, v84
; %bb.7421:                             ;   in Loop: Header=BB6_6449 Depth=4
	s_andn2_saveexec_b32 s16, s16
; %bb.7422:                             ;   in Loop: Header=BB6_6449 Depth=4
	v_bfe_u32 v96, v84, 23, 1
; %bb.7423:                             ;   in Loop: Header=BB6_6449 Depth=4
	s_or_b32 exec_lo, exec_lo, s16
	v_and_b32_sdwa v25, v54, v117 dst_sel:DWORD dst_unused:UNUSED_PAD src0_sel:BYTE_3 src1_sel:DWORD
	v_lshrrev_b32_e32 v54, 21, v84
	v_cmp_gt_i32_e32 vcc_lo, 32, v96
	v_min_i32_e32 v80, 31, v96
	v_cndmask_b32_e32 v54, 3, v54, vcc_lo
	v_lshlrev_b32_e32 v80, 2, v80
	v_or_b32_e32 v84, v96, v54
	v_and_b32_e32 v54, 3, v54
	v_cmp_ne_u32_e32 vcc_lo, 0, v84
	v_or3_b32 v25, v80, v25, v54
	v_cndmask_b32_e32 v25, 0, v25, vcc_lo
.LBB6_7424:                             ;   in Loop: Header=BB6_6449 Depth=4
	s_or_b32 exec_lo, exec_lo, s72
.LBB6_7425:                             ;   in Loop: Header=BB6_6449 Depth=4
	s_or_b32 exec_lo, exec_lo, s63
	v_cmp_gt_i16_sdwa s16, v24, v116 src0_sel:BYTE_0 src1_sel:DWORD
	s_mov_b32 s63, 0
	s_and_saveexec_b32 s72, s16
	s_xor_b32 s16, exec_lo, s72
	s_cbranch_execz .LBB6_7711
; %bb.7426:                             ;   in Loop: Header=BB6_6449 Depth=4
	v_cmp_eq_u16_sdwa s73, v24, v117 src0_sel:BYTE_0 src1_sel:DWORD
	s_mov_b32 s63, -1
	s_and_saveexec_b32 s72, s73
; %bb.7427:                             ;   in Loop: Header=BB6_6449 Depth=4
	s_xor_b32 s63, exec_lo, -1
; %bb.7428:                             ;   in Loop: Header=BB6_6449 Depth=4
	s_or_b32 exec_lo, exec_lo, s72
	s_and_b32 s63, s63, exec_lo
	s_or_saveexec_b32 s16, s16
	v_mov_b32_e32 v54, 0x7f800001
	s_xor_b32 exec_lo, exec_lo, s16
	s_cbranch_execnz .LBB6_7712
.LBB6_7429:                             ;   in Loop: Header=BB6_6449 Depth=4
	s_or_b32 exec_lo, exec_lo, s16
	s_and_saveexec_b32 s16, s63
	s_cbranch_execz .LBB6_7431
.LBB6_7430:                             ;   in Loop: Header=BB6_6449 Depth=4
	v_and_b32_e32 v54, 3, v24
	v_lshrrev_b16 v84, 2, v24
	v_ffbh_u32_e32 v80, v54
	v_and_b32_e32 v84, 31, v84
	v_min_u32_e32 v80, 32, v80
	v_cmp_eq_u32_e32 vcc_lo, 0, v84
	v_subrev_nc_u32_e32 v96, 29, v80
	v_sub_nc_u32_e32 v80, 30, v80
	v_lshlrev_b32_e32 v96, v96, v24
	v_lshlrev_b32_e32 v24, 24, v24
	v_cndmask_b32_e32 v80, v84, v80, vcc_lo
	v_and_b32_e32 v96, 3, v96
	v_and_b32_e32 v24, 0x80000000, v24
	v_lshl_add_u32 v80, v80, 23, 0x37800000
	v_cndmask_b32_e32 v54, v54, v96, vcc_lo
	v_lshlrev_b32_e32 v54, 21, v54
	v_or3_b32 v54, v24, v80, v54
.LBB6_7431:                             ;   in Loop: Header=BB6_6449 Depth=4
	s_or_b32 exec_lo, exec_lo, s16
	s_waitcnt vmcnt(5) lgkmcnt(5)
	v_cmp_gt_i16_sdwa s63, v50, v116 src0_sel:BYTE_0 src1_sel:DWORD
	s_mov_b32 s16, 0
	s_and_saveexec_b32 s72, s63
	s_xor_b32 s63, exec_lo, s72
	s_cbranch_execz .LBB6_7713
; %bb.7432:                             ;   in Loop: Header=BB6_6449 Depth=4
	v_cmp_eq_u16_sdwa s73, v50, v117 src0_sel:BYTE_0 src1_sel:DWORD
	s_mov_b32 s16, -1
	s_and_saveexec_b32 s72, s73
; %bb.7433:                             ;   in Loop: Header=BB6_6449 Depth=4
	s_xor_b32 s16, exec_lo, -1
; %bb.7434:                             ;   in Loop: Header=BB6_6449 Depth=4
	s_or_b32 exec_lo, exec_lo, s72
	s_and_b32 s16, s16, exec_lo
	s_or_saveexec_b32 s63, s63
	v_mov_b32_e32 v24, 0x7f800001
	s_xor_b32 exec_lo, exec_lo, s63
	s_cbranch_execnz .LBB6_7714
.LBB6_7435:                             ;   in Loop: Header=BB6_6449 Depth=4
	s_or_b32 exec_lo, exec_lo, s63
	s_and_saveexec_b32 s63, s16
	s_cbranch_execz .LBB6_7437
.LBB6_7436:                             ;   in Loop: Header=BB6_6449 Depth=4
	v_and_b32_e32 v24, 3, v50
	v_lshrrev_b16 v84, 2, v50
	v_ffbh_u32_e32 v80, v24
	v_and_b32_e32 v84, 31, v84
	v_min_u32_e32 v80, 32, v80
	v_cmp_eq_u32_e32 vcc_lo, 0, v84
	v_subrev_nc_u32_e32 v96, 29, v80
	v_sub_nc_u32_e32 v80, 30, v80
	v_lshlrev_b32_e32 v96, v96, v50
	v_lshlrev_b32_e32 v50, 24, v50
	v_cndmask_b32_e32 v80, v84, v80, vcc_lo
	v_and_b32_e32 v96, 3, v96
	v_and_b32_e32 v50, 0x80000000, v50
	v_lshl_add_u32 v80, v80, 23, 0x37800000
	v_cndmask_b32_e32 v24, v24, v96, vcc_lo
	v_lshlrev_b32_e32 v24, 21, v24
	v_or3_b32 v24, v50, v80, v24
.LBB6_7437:                             ;   in Loop: Header=BB6_6449 Depth=4
	s_or_b32 exec_lo, exec_lo, s63
	v_add_f32_e32 v50, v54, v24
	v_and_b32_e32 v24, 0x7f800000, v50
	v_cmp_ne_u32_e32 vcc_lo, 0x7f800000, v24
	v_mov_b32_e32 v24, 0x80
	s_and_saveexec_b32 s63, vcc_lo
	s_cbranch_execz .LBB6_7445
; %bb.7438:                             ;   in Loop: Header=BB6_6449 Depth=4
	v_mov_b32_e32 v24, 0
	s_mov_b32 s72, exec_lo
	v_cmpx_ne_u32_e32 0, v50
	s_cbranch_execz .LBB6_7444
; %bb.7439:                             ;   in Loop: Header=BB6_6449 Depth=4
	v_bfe_u32 v54, v50, 23, 8
	v_and_b32_e32 v24, 0x7fffff, v50
	v_cmp_gt_u32_e64 s16, 0x71, v54
	v_sub_nc_u32_e32 v80, 0x70, v54
	v_cmp_eq_u32_e32 vcc_lo, 0, v54
	v_or_b32_e32 v84, 0x800000, v24
	v_cndmask_b32_e64 v80, 0, v80, s16
	v_cndmask_b32_e32 v24, v84, v24, vcc_lo
	v_cndmask_b32_e64 v80, v80, 0x6f, vcc_lo
	v_lshl_add_u32 v84, 0x200000, v80, -1
	v_lshlrev_b32_e64 v96, v80, 0x100000
	v_and_b32_e32 v84, v84, v24
	v_cmp_eq_u32_e64 s16, v84, v96
	v_lshrrev_b32_e32 v84, v80, v24
	v_add_nc_u32_e32 v24, 0xffffff91, v54
	v_lshrrev_b32_e32 v54, 23, v84
	v_cndmask_b32_e64 v24, v24, 0xffffff92, vcc_lo
	v_xor_b32_e32 v54, 1, v54
	v_add_nc_u32_e32 v24, v80, v24
	v_bfe_u32 v80, v84, 21, 1
	v_add_nc_u32_e32 v80, -1, v80
	v_cndmask_b32_e64 v80, 0, v80, s16
	s_mov_b32 s16, exec_lo
	v_add_nc_u32_e32 v80, v80, v84
	v_and_b32_e32 v80, 0x1fffff, v80
	v_add_nc_u32_e32 v84, v80, v84
                                        ; implicit-def: $vgpr80
	v_cmpx_ne_u32_e64 v24, v54
	s_xor_b32 s16, exec_lo, s16
; %bb.7440:                             ;   in Loop: Header=BB6_6449 Depth=4
	v_cmp_lt_u32_e32 vcc_lo, 0xffffff, v84
	v_sub_nc_u32_e32 v24, v24, v54
	v_cndmask_b32_e64 v54, 0, 1, vcc_lo
	v_add_co_ci_u32_e64 v80, null, 0, v24, vcc_lo
	v_lshrrev_b32_e32 v84, v54, v84
; %bb.7441:                             ;   in Loop: Header=BB6_6449 Depth=4
	s_andn2_saveexec_b32 s16, s16
; %bb.7442:                             ;   in Loop: Header=BB6_6449 Depth=4
	v_bfe_u32 v80, v84, 23, 1
; %bb.7443:                             ;   in Loop: Header=BB6_6449 Depth=4
	s_or_b32 exec_lo, exec_lo, s16
	v_lshrrev_b32_e32 v24, 21, v84
	v_cmp_gt_i32_e32 vcc_lo, 32, v80
	v_min_i32_e32 v54, 31, v80
	v_and_b32_sdwa v50, v50, v117 dst_sel:DWORD dst_unused:UNUSED_PAD src0_sel:BYTE_3 src1_sel:DWORD
	v_cndmask_b32_e32 v24, 3, v24, vcc_lo
	v_lshlrev_b32_e32 v54, 2, v54
	v_and_b32_e32 v84, 3, v24
	v_or_b32_e32 v24, v80, v24
	v_or3_b32 v50, v54, v50, v84
	v_cmp_ne_u32_e32 vcc_lo, 0, v24
	v_cndmask_b32_e32 v24, 0, v50, vcc_lo
.LBB6_7444:                             ;   in Loop: Header=BB6_6449 Depth=4
	s_or_b32 exec_lo, exec_lo, s72
.LBB6_7445:                             ;   in Loop: Header=BB6_6449 Depth=4
	s_or_b32 exec_lo, exec_lo, s63
	v_cmp_gt_i16_sdwa s63, v21, v116 src0_sel:BYTE_0 src1_sel:DWORD
	s_mov_b32 s16, 0
	s_and_saveexec_b32 s72, s63
	s_xor_b32 s63, exec_lo, s72
	s_cbranch_execz .LBB6_7715
; %bb.7446:                             ;   in Loop: Header=BB6_6449 Depth=4
	v_cmp_eq_u16_sdwa s73, v21, v117 src0_sel:BYTE_0 src1_sel:DWORD
	s_mov_b32 s16, -1
	s_and_saveexec_b32 s72, s73
; %bb.7447:                             ;   in Loop: Header=BB6_6449 Depth=4
	s_xor_b32 s16, exec_lo, -1
; %bb.7448:                             ;   in Loop: Header=BB6_6449 Depth=4
	s_or_b32 exec_lo, exec_lo, s72
	s_and_b32 s16, s16, exec_lo
	s_or_saveexec_b32 s63, s63
	v_mov_b32_e32 v50, 0x7f800001
	s_xor_b32 exec_lo, exec_lo, s63
	s_cbranch_execnz .LBB6_7716
.LBB6_7449:                             ;   in Loop: Header=BB6_6449 Depth=4
	s_or_b32 exec_lo, exec_lo, s63
	s_and_saveexec_b32 s63, s16
	s_cbranch_execz .LBB6_7451
.LBB6_7450:                             ;   in Loop: Header=BB6_6449 Depth=4
	v_and_b32_e32 v50, 3, v21
	v_lshrrev_b16 v80, 2, v21
	v_ffbh_u32_e32 v54, v50
	v_and_b32_e32 v80, 31, v80
	v_min_u32_e32 v54, 32, v54
	v_cmp_eq_u32_e32 vcc_lo, 0, v80
	v_subrev_nc_u32_e32 v84, 29, v54
	v_sub_nc_u32_e32 v54, 30, v54
	v_lshlrev_b32_e32 v84, v84, v21
	v_lshlrev_b32_e32 v21, 24, v21
	v_cndmask_b32_e32 v54, v80, v54, vcc_lo
	v_and_b32_e32 v84, 3, v84
	v_and_b32_e32 v21, 0x80000000, v21
	v_lshl_add_u32 v54, v54, 23, 0x37800000
	v_cndmask_b32_e32 v50, v50, v84, vcc_lo
	v_lshlrev_b32_e32 v50, 21, v50
	v_or3_b32 v50, v21, v54, v50
.LBB6_7451:                             ;   in Loop: Header=BB6_6449 Depth=4
	s_or_b32 exec_lo, exec_lo, s63
	s_waitcnt vmcnt(4) lgkmcnt(4)
	v_cmp_gt_i16_sdwa s63, v30, v116 src0_sel:BYTE_0 src1_sel:DWORD
	s_mov_b32 s16, 0
	s_and_saveexec_b32 s72, s63
	s_xor_b32 s63, exec_lo, s72
	s_cbranch_execz .LBB6_7717
; %bb.7452:                             ;   in Loop: Header=BB6_6449 Depth=4
	v_cmp_eq_u16_sdwa s73, v30, v117 src0_sel:BYTE_0 src1_sel:DWORD
	s_mov_b32 s16, -1
	s_and_saveexec_b32 s72, s73
; %bb.7453:                             ;   in Loop: Header=BB6_6449 Depth=4
	s_xor_b32 s16, exec_lo, -1
; %bb.7454:                             ;   in Loop: Header=BB6_6449 Depth=4
	s_or_b32 exec_lo, exec_lo, s72
	s_and_b32 s16, s16, exec_lo
	s_or_saveexec_b32 s63, s63
	v_mov_b32_e32 v21, 0x7f800001
	s_xor_b32 exec_lo, exec_lo, s63
	s_cbranch_execnz .LBB6_7718
.LBB6_7455:                             ;   in Loop: Header=BB6_6449 Depth=4
	s_or_b32 exec_lo, exec_lo, s63
	s_and_saveexec_b32 s63, s16
	s_cbranch_execz .LBB6_7457
.LBB6_7456:                             ;   in Loop: Header=BB6_6449 Depth=4
	v_and_b32_e32 v21, 3, v30
	v_lshrrev_b16 v80, 2, v30
	v_ffbh_u32_e32 v54, v21
	v_and_b32_e32 v80, 31, v80
	v_min_u32_e32 v54, 32, v54
	v_cmp_eq_u32_e32 vcc_lo, 0, v80
	v_subrev_nc_u32_e32 v84, 29, v54
	v_sub_nc_u32_e32 v54, 30, v54
	v_lshlrev_b32_e32 v84, v84, v30
	v_lshlrev_b32_e32 v30, 24, v30
	v_cndmask_b32_e32 v54, v80, v54, vcc_lo
	v_and_b32_e32 v84, 3, v84
	v_and_b32_e32 v30, 0x80000000, v30
	v_lshl_add_u32 v54, v54, 23, 0x37800000
	v_cndmask_b32_e32 v21, v21, v84, vcc_lo
	v_lshlrev_b32_e32 v21, 21, v21
	v_or3_b32 v21, v30, v54, v21
.LBB6_7457:                             ;   in Loop: Header=BB6_6449 Depth=4
	s_or_b32 exec_lo, exec_lo, s63
	v_add_f32_e32 v30, v50, v21
	v_and_b32_e32 v21, 0x7f800000, v30
	v_cmp_ne_u32_e32 vcc_lo, 0x7f800000, v21
	v_mov_b32_e32 v21, 0x80
	s_and_saveexec_b32 s63, vcc_lo
	s_cbranch_execz .LBB6_7465
; %bb.7458:                             ;   in Loop: Header=BB6_6449 Depth=4
	v_mov_b32_e32 v21, 0
	s_mov_b32 s72, exec_lo
	v_cmpx_ne_u32_e32 0, v30
	s_cbranch_execz .LBB6_7464
; %bb.7459:                             ;   in Loop: Header=BB6_6449 Depth=4
	v_bfe_u32 v50, v30, 23, 8
	v_and_b32_e32 v21, 0x7fffff, v30
	v_cmp_gt_u32_e64 s16, 0x71, v50
	v_sub_nc_u32_e32 v54, 0x70, v50
	v_cmp_eq_u32_e32 vcc_lo, 0, v50
	v_or_b32_e32 v80, 0x800000, v21
	v_cndmask_b32_e64 v54, 0, v54, s16
	v_cndmask_b32_e32 v21, v80, v21, vcc_lo
	v_cndmask_b32_e64 v54, v54, 0x6f, vcc_lo
	v_lshl_add_u32 v80, 0x200000, v54, -1
	v_lshlrev_b32_e64 v84, v54, 0x100000
	v_and_b32_e32 v80, v80, v21
	v_cmp_eq_u32_e64 s16, v80, v84
	v_lshrrev_b32_e32 v80, v54, v21
	v_add_nc_u32_e32 v21, 0xffffff91, v50
	v_lshrrev_b32_e32 v50, 23, v80
	v_cndmask_b32_e64 v21, v21, 0xffffff92, vcc_lo
	v_xor_b32_e32 v50, 1, v50
	v_add_nc_u32_e32 v21, v54, v21
	v_bfe_u32 v54, v80, 21, 1
	v_add_nc_u32_e32 v54, -1, v54
	v_cndmask_b32_e64 v54, 0, v54, s16
	s_mov_b32 s16, exec_lo
	v_add_nc_u32_e32 v54, v54, v80
	v_and_b32_e32 v54, 0x1fffff, v54
	v_add_nc_u32_e32 v80, v54, v80
                                        ; implicit-def: $vgpr54
	v_cmpx_ne_u32_e64 v21, v50
	s_xor_b32 s16, exec_lo, s16
; %bb.7460:                             ;   in Loop: Header=BB6_6449 Depth=4
	v_cmp_lt_u32_e32 vcc_lo, 0xffffff, v80
	v_sub_nc_u32_e32 v21, v21, v50
	v_cndmask_b32_e64 v50, 0, 1, vcc_lo
	v_add_co_ci_u32_e64 v54, null, 0, v21, vcc_lo
	v_lshrrev_b32_e32 v80, v50, v80
; %bb.7461:                             ;   in Loop: Header=BB6_6449 Depth=4
	s_andn2_saveexec_b32 s16, s16
; %bb.7462:                             ;   in Loop: Header=BB6_6449 Depth=4
	v_bfe_u32 v54, v80, 23, 1
; %bb.7463:                             ;   in Loop: Header=BB6_6449 Depth=4
	s_or_b32 exec_lo, exec_lo, s16
	v_lshrrev_b32_e32 v21, 21, v80
	v_cmp_gt_i32_e32 vcc_lo, 32, v54
	v_min_i32_e32 v50, 31, v54
	v_and_b32_sdwa v30, v30, v117 dst_sel:DWORD dst_unused:UNUSED_PAD src0_sel:BYTE_3 src1_sel:DWORD
	v_cndmask_b32_e32 v21, 3, v21, vcc_lo
	v_lshlrev_b32_e32 v50, 2, v50
	v_and_b32_e32 v80, 3, v21
	v_or_b32_e32 v21, v54, v21
	v_or3_b32 v30, v50, v30, v80
	v_cmp_ne_u32_e32 vcc_lo, 0, v21
	v_cndmask_b32_e32 v21, 0, v30, vcc_lo
.LBB6_7464:                             ;   in Loop: Header=BB6_6449 Depth=4
	s_or_b32 exec_lo, exec_lo, s72
.LBB6_7465:                             ;   in Loop: Header=BB6_6449 Depth=4
	s_or_b32 exec_lo, exec_lo, s63
	v_cmp_gt_i16_sdwa s63, v20, v116 src0_sel:BYTE_0 src1_sel:DWORD
	s_mov_b32 s16, 0
	s_and_saveexec_b32 s72, s63
	s_xor_b32 s63, exec_lo, s72
	s_cbranch_execz .LBB6_7719
; %bb.7466:                             ;   in Loop: Header=BB6_6449 Depth=4
	v_cmp_eq_u16_sdwa s73, v20, v117 src0_sel:BYTE_0 src1_sel:DWORD
	s_mov_b32 s16, -1
	s_and_saveexec_b32 s72, s73
; %bb.7467:                             ;   in Loop: Header=BB6_6449 Depth=4
	s_xor_b32 s16, exec_lo, -1
; %bb.7468:                             ;   in Loop: Header=BB6_6449 Depth=4
	s_or_b32 exec_lo, exec_lo, s72
	s_and_b32 s16, s16, exec_lo
	s_or_saveexec_b32 s63, s63
	v_mov_b32_e32 v30, 0x7f800001
	s_xor_b32 exec_lo, exec_lo, s63
	s_cbranch_execnz .LBB6_7720
.LBB6_7469:                             ;   in Loop: Header=BB6_6449 Depth=4
	s_or_b32 exec_lo, exec_lo, s63
	s_and_saveexec_b32 s63, s16
	s_cbranch_execz .LBB6_7471
.LBB6_7470:                             ;   in Loop: Header=BB6_6449 Depth=4
	v_and_b32_e32 v30, 3, v20
	v_lshrrev_b16 v54, 2, v20
	v_ffbh_u32_e32 v50, v30
	v_and_b32_e32 v54, 31, v54
	v_min_u32_e32 v50, 32, v50
	v_cmp_eq_u32_e32 vcc_lo, 0, v54
	v_subrev_nc_u32_e32 v80, 29, v50
	v_sub_nc_u32_e32 v50, 30, v50
	v_lshlrev_b32_e32 v80, v80, v20
	v_lshlrev_b32_e32 v20, 24, v20
	v_cndmask_b32_e32 v50, v54, v50, vcc_lo
	v_and_b32_e32 v80, 3, v80
	v_and_b32_e32 v20, 0x80000000, v20
	v_lshl_add_u32 v50, v50, 23, 0x37800000
	v_cndmask_b32_e32 v30, v30, v80, vcc_lo
	v_lshlrev_b32_e32 v30, 21, v30
	v_or3_b32 v30, v20, v50, v30
.LBB6_7471:                             ;   in Loop: Header=BB6_6449 Depth=4
	s_or_b32 exec_lo, exec_lo, s63
	s_waitcnt vmcnt(3) lgkmcnt(3)
	v_cmp_gt_i16_sdwa s63, v26, v116 src0_sel:BYTE_0 src1_sel:DWORD
	s_mov_b32 s16, 0
	s_and_saveexec_b32 s72, s63
	s_xor_b32 s63, exec_lo, s72
	s_cbranch_execz .LBB6_7721
; %bb.7472:                             ;   in Loop: Header=BB6_6449 Depth=4
	v_cmp_eq_u16_sdwa s73, v26, v117 src0_sel:BYTE_0 src1_sel:DWORD
	s_mov_b32 s16, -1
	s_and_saveexec_b32 s72, s73
; %bb.7473:                             ;   in Loop: Header=BB6_6449 Depth=4
	s_xor_b32 s16, exec_lo, -1
; %bb.7474:                             ;   in Loop: Header=BB6_6449 Depth=4
	s_or_b32 exec_lo, exec_lo, s72
	s_and_b32 s16, s16, exec_lo
	s_or_saveexec_b32 s63, s63
	v_mov_b32_e32 v20, 0x7f800001
	s_xor_b32 exec_lo, exec_lo, s63
	s_cbranch_execnz .LBB6_7722
.LBB6_7475:                             ;   in Loop: Header=BB6_6449 Depth=4
	s_or_b32 exec_lo, exec_lo, s63
	s_and_saveexec_b32 s63, s16
	s_cbranch_execz .LBB6_7477
.LBB6_7476:                             ;   in Loop: Header=BB6_6449 Depth=4
	v_and_b32_e32 v20, 3, v26
	v_lshrrev_b16 v54, 2, v26
	v_ffbh_u32_e32 v50, v20
	v_and_b32_e32 v54, 31, v54
	v_min_u32_e32 v50, 32, v50
	v_cmp_eq_u32_e32 vcc_lo, 0, v54
	v_subrev_nc_u32_e32 v80, 29, v50
	v_sub_nc_u32_e32 v50, 30, v50
	v_lshlrev_b32_e32 v80, v80, v26
	v_lshlrev_b32_e32 v26, 24, v26
	v_cndmask_b32_e32 v50, v54, v50, vcc_lo
	v_and_b32_e32 v80, 3, v80
	v_and_b32_e32 v26, 0x80000000, v26
	v_lshl_add_u32 v50, v50, 23, 0x37800000
	v_cndmask_b32_e32 v20, v20, v80, vcc_lo
	v_lshlrev_b32_e32 v20, 21, v20
	v_or3_b32 v20, v26, v50, v20
.LBB6_7477:                             ;   in Loop: Header=BB6_6449 Depth=4
	s_or_b32 exec_lo, exec_lo, s63
	v_add_f32_e32 v26, v30, v20
	v_and_b32_e32 v20, 0x7f800000, v26
	v_cmp_ne_u32_e32 vcc_lo, 0x7f800000, v20
	v_mov_b32_e32 v20, 0x80
	s_and_saveexec_b32 s63, vcc_lo
	s_cbranch_execz .LBB6_7485
; %bb.7478:                             ;   in Loop: Header=BB6_6449 Depth=4
	v_mov_b32_e32 v20, 0
	s_mov_b32 s72, exec_lo
	v_cmpx_ne_u32_e32 0, v26
	s_cbranch_execz .LBB6_7484
; %bb.7479:                             ;   in Loop: Header=BB6_6449 Depth=4
	v_bfe_u32 v30, v26, 23, 8
	v_and_b32_e32 v20, 0x7fffff, v26
	v_cmp_gt_u32_e64 s16, 0x71, v30
	v_sub_nc_u32_e32 v50, 0x70, v30
	v_cmp_eq_u32_e32 vcc_lo, 0, v30
	v_or_b32_e32 v54, 0x800000, v20
	v_cndmask_b32_e64 v50, 0, v50, s16
	v_cndmask_b32_e32 v20, v54, v20, vcc_lo
	v_cndmask_b32_e64 v50, v50, 0x6f, vcc_lo
	v_lshl_add_u32 v54, 0x200000, v50, -1
	v_lshlrev_b32_e64 v80, v50, 0x100000
	v_and_b32_e32 v54, v54, v20
	v_cmp_eq_u32_e64 s16, v54, v80
	v_lshrrev_b32_e32 v54, v50, v20
	v_add_nc_u32_e32 v20, 0xffffff91, v30
	v_lshrrev_b32_e32 v30, 23, v54
	v_cndmask_b32_e64 v20, v20, 0xffffff92, vcc_lo
	v_xor_b32_e32 v30, 1, v30
	v_add_nc_u32_e32 v20, v50, v20
	v_bfe_u32 v50, v54, 21, 1
	v_add_nc_u32_e32 v50, -1, v50
	v_cndmask_b32_e64 v50, 0, v50, s16
	s_mov_b32 s16, exec_lo
	v_add_nc_u32_e32 v50, v50, v54
	v_and_b32_e32 v50, 0x1fffff, v50
	v_add_nc_u32_e32 v54, v50, v54
                                        ; implicit-def: $vgpr50
	v_cmpx_ne_u32_e64 v20, v30
	s_xor_b32 s16, exec_lo, s16
; %bb.7480:                             ;   in Loop: Header=BB6_6449 Depth=4
	v_cmp_lt_u32_e32 vcc_lo, 0xffffff, v54
	v_sub_nc_u32_e32 v20, v20, v30
	v_cndmask_b32_e64 v30, 0, 1, vcc_lo
	v_add_co_ci_u32_e64 v50, null, 0, v20, vcc_lo
	v_lshrrev_b32_e32 v54, v30, v54
; %bb.7481:                             ;   in Loop: Header=BB6_6449 Depth=4
	s_andn2_saveexec_b32 s16, s16
; %bb.7482:                             ;   in Loop: Header=BB6_6449 Depth=4
	v_bfe_u32 v50, v54, 23, 1
; %bb.7483:                             ;   in Loop: Header=BB6_6449 Depth=4
	s_or_b32 exec_lo, exec_lo, s16
	v_lshrrev_b32_e32 v20, 21, v54
	v_cmp_gt_i32_e32 vcc_lo, 32, v50
	v_min_i32_e32 v30, 31, v50
	v_and_b32_sdwa v26, v26, v117 dst_sel:DWORD dst_unused:UNUSED_PAD src0_sel:BYTE_3 src1_sel:DWORD
	v_cndmask_b32_e32 v20, 3, v20, vcc_lo
	v_lshlrev_b32_e32 v30, 2, v30
	v_and_b32_e32 v54, 3, v20
	v_or_b32_e32 v20, v50, v20
	v_or3_b32 v26, v30, v26, v54
	v_cmp_ne_u32_e32 vcc_lo, 0, v20
	v_cndmask_b32_e32 v20, 0, v26, vcc_lo
.LBB6_7484:                             ;   in Loop: Header=BB6_6449 Depth=4
	s_or_b32 exec_lo, exec_lo, s72
.LBB6_7485:                             ;   in Loop: Header=BB6_6449 Depth=4
	s_or_b32 exec_lo, exec_lo, s63
	v_cmp_gt_i16_sdwa s63, v15, v116 src0_sel:BYTE_0 src1_sel:DWORD
	s_mov_b32 s16, 0
	s_and_saveexec_b32 s72, s63
	s_xor_b32 s63, exec_lo, s72
	s_cbranch_execz .LBB6_7723
; %bb.7486:                             ;   in Loop: Header=BB6_6449 Depth=4
	v_cmp_eq_u16_sdwa s73, v15, v117 src0_sel:BYTE_0 src1_sel:DWORD
	s_mov_b32 s16, -1
	s_and_saveexec_b32 s72, s73
; %bb.7487:                             ;   in Loop: Header=BB6_6449 Depth=4
	s_xor_b32 s16, exec_lo, -1
; %bb.7488:                             ;   in Loop: Header=BB6_6449 Depth=4
	s_or_b32 exec_lo, exec_lo, s72
	s_and_b32 s16, s16, exec_lo
	s_or_saveexec_b32 s63, s63
	v_mov_b32_e32 v26, 0x7f800001
	s_xor_b32 exec_lo, exec_lo, s63
	s_cbranch_execnz .LBB6_7724
.LBB6_7489:                             ;   in Loop: Header=BB6_6449 Depth=4
	s_or_b32 exec_lo, exec_lo, s63
	s_and_saveexec_b32 s63, s16
	s_cbranch_execz .LBB6_7491
.LBB6_7490:                             ;   in Loop: Header=BB6_6449 Depth=4
	v_and_b32_e32 v26, 3, v15
	v_lshrrev_b16 v50, 2, v15
	v_ffbh_u32_e32 v30, v26
	v_and_b32_e32 v50, 31, v50
	v_min_u32_e32 v30, 32, v30
	v_cmp_eq_u32_e32 vcc_lo, 0, v50
	v_subrev_nc_u32_e32 v54, 29, v30
	v_sub_nc_u32_e32 v30, 30, v30
	v_lshlrev_b32_e32 v54, v54, v15
	v_lshlrev_b32_e32 v15, 24, v15
	v_cndmask_b32_e32 v30, v50, v30, vcc_lo
	v_and_b32_e32 v54, 3, v54
	v_and_b32_e32 v15, 0x80000000, v15
	v_lshl_add_u32 v30, v30, 23, 0x37800000
	v_cndmask_b32_e32 v26, v26, v54, vcc_lo
	v_lshlrev_b32_e32 v26, 21, v26
	v_or3_b32 v26, v15, v30, v26
.LBB6_7491:                             ;   in Loop: Header=BB6_6449 Depth=4
	s_or_b32 exec_lo, exec_lo, s63
	s_waitcnt vmcnt(2) lgkmcnt(2)
	v_cmp_gt_i16_sdwa s63, v23, v116 src0_sel:BYTE_0 src1_sel:DWORD
	s_mov_b32 s16, 0
	s_and_saveexec_b32 s72, s63
	s_xor_b32 s63, exec_lo, s72
	s_cbranch_execz .LBB6_7725
; %bb.7492:                             ;   in Loop: Header=BB6_6449 Depth=4
	v_cmp_eq_u16_sdwa s73, v23, v117 src0_sel:BYTE_0 src1_sel:DWORD
	s_mov_b32 s16, -1
	s_and_saveexec_b32 s72, s73
; %bb.7493:                             ;   in Loop: Header=BB6_6449 Depth=4
	s_xor_b32 s16, exec_lo, -1
; %bb.7494:                             ;   in Loop: Header=BB6_6449 Depth=4
	s_or_b32 exec_lo, exec_lo, s72
	s_and_b32 s16, s16, exec_lo
	s_or_saveexec_b32 s63, s63
	v_mov_b32_e32 v15, 0x7f800001
	s_xor_b32 exec_lo, exec_lo, s63
	s_cbranch_execnz .LBB6_7726
.LBB6_7495:                             ;   in Loop: Header=BB6_6449 Depth=4
	s_or_b32 exec_lo, exec_lo, s63
	s_and_saveexec_b32 s63, s16
	s_cbranch_execz .LBB6_7497
.LBB6_7496:                             ;   in Loop: Header=BB6_6449 Depth=4
	v_and_b32_e32 v15, 3, v23
	v_lshrrev_b16 v50, 2, v23
	v_ffbh_u32_e32 v30, v15
	v_and_b32_e32 v50, 31, v50
	v_min_u32_e32 v30, 32, v30
	v_cmp_eq_u32_e32 vcc_lo, 0, v50
	v_subrev_nc_u32_e32 v54, 29, v30
	v_sub_nc_u32_e32 v30, 30, v30
	v_lshlrev_b32_e32 v54, v54, v23
	v_lshlrev_b32_e32 v23, 24, v23
	v_cndmask_b32_e32 v30, v50, v30, vcc_lo
	v_and_b32_e32 v54, 3, v54
	v_and_b32_e32 v23, 0x80000000, v23
	v_lshl_add_u32 v30, v30, 23, 0x37800000
	v_cndmask_b32_e32 v15, v15, v54, vcc_lo
	v_lshlrev_b32_e32 v15, 21, v15
	v_or3_b32 v15, v23, v30, v15
.LBB6_7497:                             ;   in Loop: Header=BB6_6449 Depth=4
	s_or_b32 exec_lo, exec_lo, s63
	v_add_f32_e32 v23, v26, v15
	v_and_b32_e32 v15, 0x7f800000, v23
	v_cmp_ne_u32_e32 vcc_lo, 0x7f800000, v15
	v_mov_b32_e32 v15, 0x80
	s_and_saveexec_b32 s63, vcc_lo
	s_cbranch_execz .LBB6_7505
; %bb.7498:                             ;   in Loop: Header=BB6_6449 Depth=4
	v_mov_b32_e32 v15, 0
	s_mov_b32 s72, exec_lo
	v_cmpx_ne_u32_e32 0, v23
	s_cbranch_execz .LBB6_7504
; %bb.7499:                             ;   in Loop: Header=BB6_6449 Depth=4
	v_bfe_u32 v15, v23, 23, 8
	v_and_b32_e32 v26, 0x7fffff, v23
	v_sub_nc_u32_e32 v30, 0x70, v15
	v_cmp_gt_u32_e32 vcc_lo, 0x71, v15
	v_or_b32_e32 v50, 0x800000, v26
	v_cndmask_b32_e32 v30, 0, v30, vcc_lo
	v_cmp_eq_u32_e32 vcc_lo, 0, v15
	v_add_nc_u32_e32 v15, 0xffffff91, v15
	v_cndmask_b32_e64 v30, v30, 0x6f, vcc_lo
	v_cndmask_b32_e32 v26, v50, v26, vcc_lo
	v_cndmask_b32_e64 v15, v15, 0xffffff92, vcc_lo
	v_lshl_add_u32 v50, 0x200000, v30, -1
	v_lshrrev_b32_e32 v54, v30, v26
	v_lshlrev_b32_e64 v84, v30, 0x100000
	v_add_nc_u32_e32 v30, v30, v15
	v_and_b32_e32 v26, v50, v26
	v_bfe_u32 v80, v54, 21, 1
	v_cmp_eq_u32_e64 s16, v26, v84
	v_add_nc_u32_e32 v50, -1, v80
	v_cndmask_b32_e64 v26, 0, v50, s16
	v_lshrrev_b32_e32 v50, 23, v54
	s_mov_b32 s16, exec_lo
	v_add_nc_u32_e32 v26, v26, v54
	v_xor_b32_e32 v50, 1, v50
	v_and_b32_e32 v15, 0x1fffff, v26
	v_add_nc_u32_e32 v26, v15, v54
                                        ; implicit-def: $vgpr15
	v_cmpx_ne_u32_e64 v30, v50
	s_xor_b32 s16, exec_lo, s16
; %bb.7500:                             ;   in Loop: Header=BB6_6449 Depth=4
	v_cmp_lt_u32_e32 vcc_lo, 0xffffff, v26
	v_sub_nc_u32_e32 v15, v30, v50
	v_cndmask_b32_e64 v30, 0, 1, vcc_lo
	v_add_co_ci_u32_e64 v15, null, 0, v15, vcc_lo
	v_lshrrev_b32_e32 v26, v30, v26
; %bb.7501:                             ;   in Loop: Header=BB6_6449 Depth=4
	s_andn2_saveexec_b32 s16, s16
; %bb.7502:                             ;   in Loop: Header=BB6_6449 Depth=4
	v_bfe_u32 v15, v26, 23, 1
; %bb.7503:                             ;   in Loop: Header=BB6_6449 Depth=4
	s_or_b32 exec_lo, exec_lo, s16
	v_lshrrev_b32_e32 v26, 21, v26
	v_cmp_gt_i32_e32 vcc_lo, 32, v15
	v_min_i32_e32 v30, 31, v15
	v_and_b32_sdwa v23, v23, v117 dst_sel:DWORD dst_unused:UNUSED_PAD src0_sel:BYTE_3 src1_sel:DWORD
	v_cndmask_b32_e32 v26, 3, v26, vcc_lo
	v_lshlrev_b32_e32 v30, 2, v30
	v_and_b32_e32 v50, 3, v26
	v_or_b32_e32 v15, v15, v26
	v_or3_b32 v23, v30, v23, v50
	v_cmp_ne_u32_e32 vcc_lo, 0, v15
	v_cndmask_b32_e32 v15, 0, v23, vcc_lo
.LBB6_7504:                             ;   in Loop: Header=BB6_6449 Depth=4
	s_or_b32 exec_lo, exec_lo, s72
.LBB6_7505:                             ;   in Loop: Header=BB6_6449 Depth=4
	s_or_b32 exec_lo, exec_lo, s63
	v_cmp_gt_i16_sdwa s63, v14, v116 src0_sel:BYTE_0 src1_sel:DWORD
	s_mov_b32 s16, 0
	s_and_saveexec_b32 s72, s63
	s_xor_b32 s63, exec_lo, s72
	s_cbranch_execz .LBB6_7727
; %bb.7506:                             ;   in Loop: Header=BB6_6449 Depth=4
	v_cmp_eq_u16_sdwa s73, v14, v117 src0_sel:BYTE_0 src1_sel:DWORD
	s_mov_b32 s16, -1
	s_and_saveexec_b32 s72, s73
; %bb.7507:                             ;   in Loop: Header=BB6_6449 Depth=4
	s_xor_b32 s16, exec_lo, -1
; %bb.7508:                             ;   in Loop: Header=BB6_6449 Depth=4
	s_or_b32 exec_lo, exec_lo, s72
	s_and_b32 s16, s16, exec_lo
	s_or_saveexec_b32 s63, s63
	v_mov_b32_e32 v23, 0x7f800001
	s_xor_b32 exec_lo, exec_lo, s63
	s_cbranch_execnz .LBB6_7728
.LBB6_7509:                             ;   in Loop: Header=BB6_6449 Depth=4
	s_or_b32 exec_lo, exec_lo, s63
	s_and_saveexec_b32 s63, s16
	s_cbranch_execz .LBB6_7511
.LBB6_7510:                             ;   in Loop: Header=BB6_6449 Depth=4
	v_and_b32_e32 v23, 3, v14
	v_lshrrev_b16 v30, 2, v14
	v_ffbh_u32_e32 v26, v23
	v_and_b32_e32 v30, 31, v30
	v_min_u32_e32 v26, 32, v26
	v_cmp_eq_u32_e32 vcc_lo, 0, v30
	v_subrev_nc_u32_e32 v50, 29, v26
	v_sub_nc_u32_e32 v26, 30, v26
	v_lshlrev_b32_e32 v50, v50, v14
	v_lshlrev_b32_e32 v14, 24, v14
	v_cndmask_b32_e32 v26, v30, v26, vcc_lo
	v_and_b32_e32 v50, 3, v50
	v_and_b32_e32 v14, 0x80000000, v14
	v_lshl_add_u32 v26, v26, 23, 0x37800000
	v_cndmask_b32_e32 v23, v23, v50, vcc_lo
	v_lshlrev_b32_e32 v23, 21, v23
	v_or3_b32 v23, v14, v26, v23
.LBB6_7511:                             ;   in Loop: Header=BB6_6449 Depth=4
	s_or_b32 exec_lo, exec_lo, s63
	s_waitcnt vmcnt(1) lgkmcnt(1)
	v_cmp_gt_i16_sdwa s63, v19, v116 src0_sel:BYTE_0 src1_sel:DWORD
	s_mov_b32 s16, 0
	s_and_saveexec_b32 s72, s63
	s_xor_b32 s63, exec_lo, s72
	s_cbranch_execz .LBB6_7729
; %bb.7512:                             ;   in Loop: Header=BB6_6449 Depth=4
	v_cmp_eq_u16_sdwa s73, v19, v117 src0_sel:BYTE_0 src1_sel:DWORD
	s_mov_b32 s16, -1
	s_and_saveexec_b32 s72, s73
; %bb.7513:                             ;   in Loop: Header=BB6_6449 Depth=4
	s_xor_b32 s16, exec_lo, -1
; %bb.7514:                             ;   in Loop: Header=BB6_6449 Depth=4
	s_or_b32 exec_lo, exec_lo, s72
	s_and_b32 s16, s16, exec_lo
	s_or_saveexec_b32 s63, s63
	v_mov_b32_e32 v14, 0x7f800001
	s_xor_b32 exec_lo, exec_lo, s63
	s_cbranch_execnz .LBB6_7730
.LBB6_7515:                             ;   in Loop: Header=BB6_6449 Depth=4
	s_or_b32 exec_lo, exec_lo, s63
	s_and_saveexec_b32 s63, s16
	s_cbranch_execz .LBB6_7517
.LBB6_7516:                             ;   in Loop: Header=BB6_6449 Depth=4
	v_and_b32_e32 v14, 3, v19
	v_lshrrev_b16 v30, 2, v19
	v_ffbh_u32_e32 v26, v14
	v_and_b32_e32 v30, 31, v30
	v_min_u32_e32 v26, 32, v26
	v_cmp_eq_u32_e32 vcc_lo, 0, v30
	v_subrev_nc_u32_e32 v50, 29, v26
	v_sub_nc_u32_e32 v26, 30, v26
	v_lshlrev_b32_e32 v50, v50, v19
	v_lshlrev_b32_e32 v19, 24, v19
	v_cndmask_b32_e32 v26, v30, v26, vcc_lo
	v_and_b32_e32 v50, 3, v50
	v_and_b32_e32 v19, 0x80000000, v19
	v_lshl_add_u32 v26, v26, 23, 0x37800000
	v_cndmask_b32_e32 v14, v14, v50, vcc_lo
	v_lshlrev_b32_e32 v14, 21, v14
	v_or3_b32 v14, v19, v26, v14
.LBB6_7517:                             ;   in Loop: Header=BB6_6449 Depth=4
	s_or_b32 exec_lo, exec_lo, s63
	v_add_f32_e32 v19, v23, v14
	v_and_b32_e32 v14, 0x7f800000, v19
	v_cmp_ne_u32_e32 vcc_lo, 0x7f800000, v14
	v_mov_b32_e32 v14, 0x80
	s_and_saveexec_b32 s63, vcc_lo
	s_cbranch_execz .LBB6_7525
; %bb.7518:                             ;   in Loop: Header=BB6_6449 Depth=4
	v_mov_b32_e32 v14, 0
	s_mov_b32 s72, exec_lo
	v_cmpx_ne_u32_e32 0, v19
	s_cbranch_execz .LBB6_7524
; %bb.7519:                             ;   in Loop: Header=BB6_6449 Depth=4
	v_bfe_u32 v14, v19, 23, 8
	v_and_b32_e32 v23, 0x7fffff, v19
	v_sub_nc_u32_e32 v26, 0x70, v14
	v_cmp_gt_u32_e32 vcc_lo, 0x71, v14
	v_or_b32_e32 v30, 0x800000, v23
	v_cndmask_b32_e32 v26, 0, v26, vcc_lo
	v_cmp_eq_u32_e32 vcc_lo, 0, v14
	v_add_nc_u32_e32 v14, 0xffffff91, v14
	v_cndmask_b32_e64 v26, v26, 0x6f, vcc_lo
	v_cndmask_b32_e32 v23, v30, v23, vcc_lo
	v_cndmask_b32_e64 v14, v14, 0xffffff92, vcc_lo
	v_lshl_add_u32 v30, 0x200000, v26, -1
	v_lshrrev_b32_e32 v50, v26, v23
	v_lshlrev_b32_e64 v80, v26, 0x100000
	v_add_nc_u32_e32 v26, v26, v14
	v_and_b32_e32 v23, v30, v23
	v_bfe_u32 v54, v50, 21, 1
	v_cmp_eq_u32_e64 s16, v23, v80
	v_add_nc_u32_e32 v30, -1, v54
	v_cndmask_b32_e64 v23, 0, v30, s16
	v_lshrrev_b32_e32 v30, 23, v50
	s_mov_b32 s16, exec_lo
	v_add_nc_u32_e32 v23, v23, v50
	v_xor_b32_e32 v30, 1, v30
	v_and_b32_e32 v14, 0x1fffff, v23
	v_add_nc_u32_e32 v23, v14, v50
                                        ; implicit-def: $vgpr14
	v_cmpx_ne_u32_e64 v26, v30
	s_xor_b32 s16, exec_lo, s16
; %bb.7520:                             ;   in Loop: Header=BB6_6449 Depth=4
	v_cmp_lt_u32_e32 vcc_lo, 0xffffff, v23
	v_sub_nc_u32_e32 v14, v26, v30
	v_cndmask_b32_e64 v26, 0, 1, vcc_lo
	v_add_co_ci_u32_e64 v14, null, 0, v14, vcc_lo
	v_lshrrev_b32_e32 v23, v26, v23
; %bb.7521:                             ;   in Loop: Header=BB6_6449 Depth=4
	s_andn2_saveexec_b32 s16, s16
; %bb.7522:                             ;   in Loop: Header=BB6_6449 Depth=4
	v_bfe_u32 v14, v23, 23, 1
; %bb.7523:                             ;   in Loop: Header=BB6_6449 Depth=4
	s_or_b32 exec_lo, exec_lo, s16
	v_lshrrev_b32_e32 v23, 21, v23
	v_cmp_gt_i32_e32 vcc_lo, 32, v14
	v_min_i32_e32 v26, 31, v14
	v_and_b32_sdwa v19, v19, v117 dst_sel:DWORD dst_unused:UNUSED_PAD src0_sel:BYTE_3 src1_sel:DWORD
	v_cndmask_b32_e32 v23, 3, v23, vcc_lo
	v_lshlrev_b32_e32 v26, 2, v26
	v_and_b32_e32 v30, 3, v23
	v_or_b32_e32 v14, v14, v23
	v_or3_b32 v19, v26, v19, v30
	v_cmp_ne_u32_e32 vcc_lo, 0, v14
	v_cndmask_b32_e32 v14, 0, v19, vcc_lo
.LBB6_7524:                             ;   in Loop: Header=BB6_6449 Depth=4
	s_or_b32 exec_lo, exec_lo, s72
.LBB6_7525:                             ;   in Loop: Header=BB6_6449 Depth=4
	s_or_b32 exec_lo, exec_lo, s63
	v_cmp_gt_i16_sdwa s63, v7, v116 src0_sel:BYTE_0 src1_sel:DWORD
	s_mov_b32 s16, 0
	s_and_saveexec_b32 s72, s63
	s_xor_b32 s63, exec_lo, s72
	s_cbranch_execz .LBB6_7731
; %bb.7526:                             ;   in Loop: Header=BB6_6449 Depth=4
	v_cmp_eq_u16_sdwa s73, v7, v117 src0_sel:BYTE_0 src1_sel:DWORD
	s_mov_b32 s16, -1
	s_and_saveexec_b32 s72, s73
; %bb.7527:                             ;   in Loop: Header=BB6_6449 Depth=4
	s_xor_b32 s16, exec_lo, -1
; %bb.7528:                             ;   in Loop: Header=BB6_6449 Depth=4
	s_or_b32 exec_lo, exec_lo, s72
	s_and_b32 s16, s16, exec_lo
	s_or_saveexec_b32 s63, s63
	v_mov_b32_e32 v19, 0x7f800001
	s_xor_b32 exec_lo, exec_lo, s63
	s_cbranch_execnz .LBB6_7732
.LBB6_7529:                             ;   in Loop: Header=BB6_6449 Depth=4
	s_or_b32 exec_lo, exec_lo, s63
	s_and_saveexec_b32 s63, s16
	s_cbranch_execz .LBB6_7531
.LBB6_7530:                             ;   in Loop: Header=BB6_6449 Depth=4
	v_and_b32_e32 v19, 3, v7
	v_lshrrev_b16 v26, 2, v7
	v_ffbh_u32_e32 v23, v19
	v_and_b32_e32 v26, 31, v26
	v_min_u32_e32 v23, 32, v23
	v_cmp_eq_u32_e32 vcc_lo, 0, v26
	v_subrev_nc_u32_e32 v30, 29, v23
	v_sub_nc_u32_e32 v23, 30, v23
	v_lshlrev_b32_e32 v30, v30, v7
	v_lshlrev_b32_e32 v7, 24, v7
	v_cndmask_b32_e32 v23, v26, v23, vcc_lo
	v_and_b32_e32 v30, 3, v30
	v_and_b32_e32 v7, 0x80000000, v7
	v_lshl_add_u32 v23, v23, 23, 0x37800000
	v_cndmask_b32_e32 v19, v19, v30, vcc_lo
	v_lshlrev_b32_e32 v19, 21, v19
	v_or3_b32 v19, v7, v23, v19
.LBB6_7531:                             ;   in Loop: Header=BB6_6449 Depth=4
	s_or_b32 exec_lo, exec_lo, s63
	s_waitcnt vmcnt(0) lgkmcnt(0)
	v_cmp_gt_i16_sdwa s63, v6, v116 src0_sel:BYTE_0 src1_sel:DWORD
	s_mov_b32 s16, 0
	s_and_saveexec_b32 s72, s63
	s_xor_b32 s63, exec_lo, s72
	s_cbranch_execz .LBB6_7733
; %bb.7532:                             ;   in Loop: Header=BB6_6449 Depth=4
	v_cmp_eq_u16_sdwa s73, v6, v117 src0_sel:BYTE_0 src1_sel:DWORD
	s_mov_b32 s16, -1
	s_and_saveexec_b32 s72, s73
; %bb.7533:                             ;   in Loop: Header=BB6_6449 Depth=4
	s_xor_b32 s16, exec_lo, -1
; %bb.7534:                             ;   in Loop: Header=BB6_6449 Depth=4
	s_or_b32 exec_lo, exec_lo, s72
	s_and_b32 s16, s16, exec_lo
	s_or_saveexec_b32 s63, s63
	v_mov_b32_e32 v7, 0x7f800001
	s_xor_b32 exec_lo, exec_lo, s63
	s_cbranch_execnz .LBB6_7734
.LBB6_7535:                             ;   in Loop: Header=BB6_6449 Depth=4
	s_or_b32 exec_lo, exec_lo, s63
	s_and_saveexec_b32 s63, s16
	s_cbranch_execz .LBB6_7537
.LBB6_7536:                             ;   in Loop: Header=BB6_6449 Depth=4
	v_and_b32_e32 v7, 3, v6
	v_lshrrev_b16 v26, 2, v6
	v_ffbh_u32_e32 v23, v7
	v_and_b32_e32 v26, 31, v26
	v_min_u32_e32 v23, 32, v23
	v_cmp_eq_u32_e32 vcc_lo, 0, v26
	v_subrev_nc_u32_e32 v30, 29, v23
	v_sub_nc_u32_e32 v23, 30, v23
	v_lshlrev_b32_e32 v30, v30, v6
	v_lshlrev_b32_e32 v6, 24, v6
	v_cndmask_b32_e32 v23, v26, v23, vcc_lo
	v_and_b32_e32 v30, 3, v30
	v_and_b32_e32 v6, 0x80000000, v6
	v_lshl_add_u32 v23, v23, 23, 0x37800000
	v_cndmask_b32_e32 v7, v7, v30, vcc_lo
	v_lshlrev_b32_e32 v7, 21, v7
	v_or3_b32 v7, v6, v23, v7
.LBB6_7537:                             ;   in Loop: Header=BB6_6449 Depth=4
	s_or_b32 exec_lo, exec_lo, s63
	v_add_f32_e32 v7, v19, v7
	v_and_b32_e32 v6, 0x7f800000, v7
	v_cmp_ne_u32_e32 vcc_lo, 0x7f800000, v6
	v_mov_b32_e32 v6, 0x80
	s_and_saveexec_b32 s63, vcc_lo
	s_cbranch_execz .LBB6_6448
; %bb.7538:                             ;   in Loop: Header=BB6_6449 Depth=4
	v_mov_b32_e32 v6, 0
	s_mov_b32 s72, exec_lo
	v_cmpx_ne_u32_e32 0, v7
	s_cbranch_execz .LBB6_6447
; %bb.7539:                             ;   in Loop: Header=BB6_6449 Depth=4
	v_bfe_u32 v6, v7, 23, 8
	v_and_b32_e32 v19, 0x7fffff, v7
	v_sub_nc_u32_e32 v23, 0x70, v6
	v_cmp_gt_u32_e32 vcc_lo, 0x71, v6
	v_or_b32_e32 v26, 0x800000, v19
	v_cndmask_b32_e32 v23, 0, v23, vcc_lo
	v_cmp_eq_u32_e32 vcc_lo, 0, v6
	v_add_nc_u32_e32 v6, 0xffffff91, v6
	v_cndmask_b32_e64 v23, v23, 0x6f, vcc_lo
	v_cndmask_b32_e32 v19, v26, v19, vcc_lo
	v_cndmask_b32_e64 v6, v6, 0xffffff92, vcc_lo
	v_lshl_add_u32 v26, 0x200000, v23, -1
	v_lshrrev_b32_e32 v30, v23, v19
	v_lshlrev_b32_e64 v54, v23, 0x100000
	v_add_nc_u32_e32 v23, v23, v6
	v_and_b32_e32 v19, v26, v19
	v_bfe_u32 v50, v30, 21, 1
	v_cmp_eq_u32_e64 s16, v19, v54
	v_add_nc_u32_e32 v26, -1, v50
	v_cndmask_b32_e64 v19, 0, v26, s16
	v_lshrrev_b32_e32 v26, 23, v30
	s_mov_b32 s16, exec_lo
	v_add_nc_u32_e32 v19, v19, v30
	v_xor_b32_e32 v26, 1, v26
	v_and_b32_e32 v6, 0x1fffff, v19
	v_add_nc_u32_e32 v19, v6, v30
                                        ; implicit-def: $vgpr6
	v_cmpx_ne_u32_e64 v23, v26
	s_xor_b32 s16, exec_lo, s16
; %bb.7540:                             ;   in Loop: Header=BB6_6449 Depth=4
	v_cmp_lt_u32_e32 vcc_lo, 0xffffff, v19
	v_sub_nc_u32_e32 v6, v23, v26
	v_cndmask_b32_e64 v23, 0, 1, vcc_lo
	v_add_co_ci_u32_e64 v6, null, 0, v6, vcc_lo
	v_lshrrev_b32_e32 v19, v23, v19
; %bb.7541:                             ;   in Loop: Header=BB6_6449 Depth=4
	s_andn2_saveexec_b32 s16, s16
	s_cbranch_execz .LBB6_6446
; %bb.7542:                             ;   in Loop: Header=BB6_6449 Depth=4
	v_bfe_u32 v6, v19, 23, 1
	s_branch .LBB6_6446
.LBB6_7543:                             ;   in Loop: Header=BB6_6449 Depth=4
	s_or_saveexec_b32 s63, s63
	v_mov_b32_e32 v14, 0x7f800001
	s_xor_b32 exec_lo, exec_lo, s63
	s_cbranch_execz .LBB6_6461
.LBB6_7544:                             ;   in Loop: Header=BB6_6449 Depth=4
	v_cmp_ne_u16_e32 vcc_lo, 0, v7
	v_mov_b32_e32 v14, 0
	s_andn2_b32 s16, s16, exec_lo
	s_and_b32 s72, vcc_lo, exec_lo
	s_or_b32 s16, s16, s72
	s_or_b32 exec_lo, exec_lo, s63
	s_and_saveexec_b32 s63, s16
	s_cbranch_execnz .LBB6_6462
	s_branch .LBB6_6463
.LBB6_7545:                             ;   in Loop: Header=BB6_6449 Depth=4
	s_or_saveexec_b32 s63, s63
	v_mov_b32_e32 v14, 0x7f800001
	s_xor_b32 exec_lo, exec_lo, s63
	s_cbranch_execz .LBB6_6475
.LBB6_7546:                             ;   in Loop: Header=BB6_6449 Depth=4
	v_cmp_ne_u16_e32 vcc_lo, 0, v7
	v_mov_b32_e32 v14, 0
	s_andn2_b32 s16, s16, exec_lo
	s_and_b32 s72, vcc_lo, exec_lo
	s_or_b32 s16, s16, s72
	s_or_b32 exec_lo, exec_lo, s63
	s_and_saveexec_b32 s63, s16
	s_cbranch_execnz .LBB6_6476
	s_branch .LBB6_6477
.LBB6_7547:                             ;   in Loop: Header=BB6_6449 Depth=4
	s_or_saveexec_b32 s63, s63
	v_mov_b32_e32 v14, 0x7f800001
	s_xor_b32 exec_lo, exec_lo, s63
	s_cbranch_execz .LBB6_6489
.LBB6_7548:                             ;   in Loop: Header=BB6_6449 Depth=4
	v_cmp_ne_u16_e32 vcc_lo, 0, v7
	v_mov_b32_e32 v14, 0
	s_andn2_b32 s16, s16, exec_lo
	s_and_b32 s72, vcc_lo, exec_lo
	s_or_b32 s16, s16, s72
	s_or_b32 exec_lo, exec_lo, s63
	s_and_saveexec_b32 s63, s16
	s_cbranch_execnz .LBB6_6490
	s_branch .LBB6_6491
.LBB6_7549:                             ;   in Loop: Header=BB6_6449 Depth=4
	s_or_saveexec_b32 s63, s63
	v_mov_b32_e32 v14, 0x7f800001
	s_xor_b32 exec_lo, exec_lo, s63
	s_cbranch_execz .LBB6_6503
.LBB6_7550:                             ;   in Loop: Header=BB6_6449 Depth=4
	v_cmp_ne_u16_e32 vcc_lo, 0, v7
	v_mov_b32_e32 v14, 0
	s_andn2_b32 s16, s16, exec_lo
	s_and_b32 s72, vcc_lo, exec_lo
	s_or_b32 s16, s16, s72
	s_or_b32 exec_lo, exec_lo, s63
	s_and_saveexec_b32 s63, s16
	s_cbranch_execnz .LBB6_6504
	s_branch .LBB6_6505
.LBB6_7551:                             ;   in Loop: Header=BB6_6449 Depth=4
	s_or_saveexec_b32 s63, s63
	v_mov_b32_e32 v14, 0x7f800001
	s_xor_b32 exec_lo, exec_lo, s63
	s_cbranch_execz .LBB6_6517
.LBB6_7552:                             ;   in Loop: Header=BB6_6449 Depth=4
	v_cmp_ne_u16_e32 vcc_lo, 0, v7
	v_mov_b32_e32 v14, 0
	s_andn2_b32 s16, s16, exec_lo
	s_and_b32 s72, vcc_lo, exec_lo
	s_or_b32 s16, s16, s72
	s_or_b32 exec_lo, exec_lo, s63
	s_and_saveexec_b32 s63, s16
	s_cbranch_execnz .LBB6_6518
	s_branch .LBB6_6519
.LBB6_7553:                             ;   in Loop: Header=BB6_6449 Depth=4
	s_or_saveexec_b32 s63, s63
	v_mov_b32_e32 v14, 0x7f800001
	s_xor_b32 exec_lo, exec_lo, s63
	s_cbranch_execz .LBB6_6531
.LBB6_7554:                             ;   in Loop: Header=BB6_6449 Depth=4
	v_cmp_ne_u16_e32 vcc_lo, 0, v7
	v_mov_b32_e32 v14, 0
	s_andn2_b32 s16, s16, exec_lo
	s_and_b32 s72, vcc_lo, exec_lo
	s_or_b32 s16, s16, s72
	s_or_b32 exec_lo, exec_lo, s63
	s_and_saveexec_b32 s63, s16
	s_cbranch_execnz .LBB6_6532
	s_branch .LBB6_6533
.LBB6_7555:                             ;   in Loop: Header=BB6_6449 Depth=4
	s_or_saveexec_b32 s63, s63
	v_mov_b32_e32 v14, 0x7f800001
	s_xor_b32 exec_lo, exec_lo, s63
	s_cbranch_execz .LBB6_6545
.LBB6_7556:                             ;   in Loop: Header=BB6_6449 Depth=4
	v_cmp_ne_u16_e32 vcc_lo, 0, v7
	v_mov_b32_e32 v14, 0
	s_andn2_b32 s16, s16, exec_lo
	s_and_b32 s72, vcc_lo, exec_lo
	s_or_b32 s16, s16, s72
	s_or_b32 exec_lo, exec_lo, s63
	s_and_saveexec_b32 s63, s16
	s_cbranch_execnz .LBB6_6546
	s_branch .LBB6_6547
.LBB6_7557:                             ;   in Loop: Header=BB6_6449 Depth=4
	s_or_saveexec_b32 s63, s63
	v_mov_b32_e32 v14, 0x7f800001
	s_xor_b32 exec_lo, exec_lo, s63
	s_cbranch_execz .LBB6_6559
.LBB6_7558:                             ;   in Loop: Header=BB6_6449 Depth=4
	v_cmp_ne_u16_e32 vcc_lo, 0, v7
	v_mov_b32_e32 v14, 0
	s_andn2_b32 s16, s16, exec_lo
	s_and_b32 s72, vcc_lo, exec_lo
	s_or_b32 s16, s16, s72
	s_or_b32 exec_lo, exec_lo, s63
	s_and_saveexec_b32 s63, s16
	s_cbranch_execnz .LBB6_6560
	s_branch .LBB6_6561
.LBB6_7559:                             ;   in Loop: Header=BB6_6449 Depth=4
	s_or_saveexec_b32 s63, s63
	v_mov_b32_e32 v14, 0x7f800001
	s_xor_b32 exec_lo, exec_lo, s63
	s_cbranch_execz .LBB6_6573
.LBB6_7560:                             ;   in Loop: Header=BB6_6449 Depth=4
	v_cmp_ne_u16_e32 vcc_lo, 0, v7
	v_mov_b32_e32 v14, 0
	s_andn2_b32 s16, s16, exec_lo
	s_and_b32 s72, vcc_lo, exec_lo
	s_or_b32 s16, s16, s72
	s_or_b32 exec_lo, exec_lo, s63
	s_and_saveexec_b32 s63, s16
	s_cbranch_execnz .LBB6_6574
	s_branch .LBB6_6575
.LBB6_7561:                             ;   in Loop: Header=BB6_6449 Depth=4
	s_or_saveexec_b32 s63, s63
	v_mov_b32_e32 v14, 0x7f800001
	s_xor_b32 exec_lo, exec_lo, s63
	s_cbranch_execz .LBB6_6587
.LBB6_7562:                             ;   in Loop: Header=BB6_6449 Depth=4
	v_cmp_ne_u16_e32 vcc_lo, 0, v7
	v_mov_b32_e32 v14, 0
	s_andn2_b32 s16, s16, exec_lo
	s_and_b32 s72, vcc_lo, exec_lo
	s_or_b32 s16, s16, s72
	s_or_b32 exec_lo, exec_lo, s63
	s_and_saveexec_b32 s63, s16
	s_cbranch_execnz .LBB6_6588
	s_branch .LBB6_6589
.LBB6_7563:                             ;   in Loop: Header=BB6_6449 Depth=4
	s_or_saveexec_b32 s63, s63
	v_mov_b32_e32 v14, 0x7f800001
	s_xor_b32 exec_lo, exec_lo, s63
	s_cbranch_execz .LBB6_6601
.LBB6_7564:                             ;   in Loop: Header=BB6_6449 Depth=4
	v_cmp_ne_u16_e32 vcc_lo, 0, v7
	v_mov_b32_e32 v14, 0
	s_andn2_b32 s16, s16, exec_lo
	s_and_b32 s72, vcc_lo, exec_lo
	s_or_b32 s16, s16, s72
	s_or_b32 exec_lo, exec_lo, s63
	s_and_saveexec_b32 s63, s16
	s_cbranch_execnz .LBB6_6602
	s_branch .LBB6_6603
.LBB6_7565:                             ;   in Loop: Header=BB6_6449 Depth=4
	s_or_saveexec_b32 s63, s63
	v_mov_b32_e32 v14, 0x7f800001
	s_xor_b32 exec_lo, exec_lo, s63
	s_cbranch_execz .LBB6_6615
.LBB6_7566:                             ;   in Loop: Header=BB6_6449 Depth=4
	v_cmp_ne_u16_e32 vcc_lo, 0, v7
	v_mov_b32_e32 v14, 0
	s_andn2_b32 s16, s16, exec_lo
	s_and_b32 s72, vcc_lo, exec_lo
	s_or_b32 s16, s16, s72
	s_or_b32 exec_lo, exec_lo, s63
	s_and_saveexec_b32 s63, s16
	s_cbranch_execnz .LBB6_6616
	s_branch .LBB6_6617
.LBB6_7567:                             ;   in Loop: Header=BB6_6449 Depth=4
	s_or_saveexec_b32 s63, s63
	v_mov_b32_e32 v14, 0x7f800001
	s_xor_b32 exec_lo, exec_lo, s63
	s_cbranch_execz .LBB6_6629
.LBB6_7568:                             ;   in Loop: Header=BB6_6449 Depth=4
	v_cmp_ne_u16_e32 vcc_lo, 0, v7
	v_mov_b32_e32 v14, 0
	s_andn2_b32 s16, s16, exec_lo
	s_and_b32 s72, vcc_lo, exec_lo
	s_or_b32 s16, s16, s72
	s_or_b32 exec_lo, exec_lo, s63
	s_and_saveexec_b32 s63, s16
	s_cbranch_execnz .LBB6_6630
	s_branch .LBB6_6631
.LBB6_7569:                             ;   in Loop: Header=BB6_6449 Depth=4
	s_or_saveexec_b32 s63, s63
	v_mov_b32_e32 v14, 0x7f800001
	s_xor_b32 exec_lo, exec_lo, s63
	s_cbranch_execz .LBB6_6643
.LBB6_7570:                             ;   in Loop: Header=BB6_6449 Depth=4
	v_cmp_ne_u16_e32 vcc_lo, 0, v7
	v_mov_b32_e32 v14, 0
	s_andn2_b32 s16, s16, exec_lo
	s_and_b32 s72, vcc_lo, exec_lo
	s_or_b32 s16, s16, s72
	s_or_b32 exec_lo, exec_lo, s63
	s_and_saveexec_b32 s63, s16
	s_cbranch_execnz .LBB6_6644
	s_branch .LBB6_6645
.LBB6_7571:                             ;   in Loop: Header=BB6_6449 Depth=4
	s_or_saveexec_b32 s63, s63
	v_mov_b32_e32 v14, 0x7f800001
	s_xor_b32 exec_lo, exec_lo, s63
	s_cbranch_execz .LBB6_6657
.LBB6_7572:                             ;   in Loop: Header=BB6_6449 Depth=4
	v_cmp_ne_u16_e32 vcc_lo, 0, v7
	v_mov_b32_e32 v14, 0
	s_andn2_b32 s16, s16, exec_lo
	s_and_b32 s72, vcc_lo, exec_lo
	s_or_b32 s16, s16, s72
	s_or_b32 exec_lo, exec_lo, s63
	s_and_saveexec_b32 s63, s16
	s_cbranch_execnz .LBB6_6658
	s_branch .LBB6_6659
.LBB6_7573:                             ;   in Loop: Header=BB6_6449 Depth=4
	s_or_saveexec_b32 s63, s63
	v_mov_b32_e32 v14, 0x7f800001
	s_xor_b32 exec_lo, exec_lo, s63
	s_cbranch_execz .LBB6_6671
.LBB6_7574:                             ;   in Loop: Header=BB6_6449 Depth=4
	v_cmp_ne_u16_e32 vcc_lo, 0, v7
	v_mov_b32_e32 v14, 0
	s_andn2_b32 s16, s16, exec_lo
	s_and_b32 s72, vcc_lo, exec_lo
	s_or_b32 s16, s16, s72
	s_or_b32 exec_lo, exec_lo, s63
	s_and_saveexec_b32 s63, s16
	s_cbranch_execnz .LBB6_6672
	s_branch .LBB6_6673
.LBB6_7575:                             ;   in Loop: Header=BB6_6449 Depth=4
	s_or_saveexec_b32 s63, s63
	v_mov_b32_e32 v14, 0x7f800001
	s_xor_b32 exec_lo, exec_lo, s63
	s_cbranch_execz .LBB6_6685
.LBB6_7576:                             ;   in Loop: Header=BB6_6449 Depth=4
	v_cmp_ne_u16_e32 vcc_lo, 0, v7
	v_mov_b32_e32 v14, 0
	s_andn2_b32 s16, s16, exec_lo
	s_and_b32 s72, vcc_lo, exec_lo
	s_or_b32 s16, s16, s72
	s_or_b32 exec_lo, exec_lo, s63
	s_and_saveexec_b32 s63, s16
	s_cbranch_execnz .LBB6_6686
	s_branch .LBB6_6687
.LBB6_7577:                             ;   in Loop: Header=BB6_6449 Depth=4
	s_or_saveexec_b32 s63, s63
	v_mov_b32_e32 v14, 0x7f800001
	s_xor_b32 exec_lo, exec_lo, s63
	s_cbranch_execz .LBB6_6699
.LBB6_7578:                             ;   in Loop: Header=BB6_6449 Depth=4
	v_cmp_ne_u16_e32 vcc_lo, 0, v7
	v_mov_b32_e32 v14, 0
	s_andn2_b32 s16, s16, exec_lo
	s_and_b32 s72, vcc_lo, exec_lo
	s_or_b32 s16, s16, s72
	s_or_b32 exec_lo, exec_lo, s63
	s_and_saveexec_b32 s63, s16
	s_cbranch_execnz .LBB6_6700
	s_branch .LBB6_6701
.LBB6_7579:                             ;   in Loop: Header=BB6_6449 Depth=4
	s_or_saveexec_b32 s63, s63
	v_mov_b32_e32 v14, 0x7f800001
	s_xor_b32 exec_lo, exec_lo, s63
	s_cbranch_execz .LBB6_6713
.LBB6_7580:                             ;   in Loop: Header=BB6_6449 Depth=4
	v_cmp_ne_u16_e32 vcc_lo, 0, v7
	v_mov_b32_e32 v14, 0
	s_andn2_b32 s16, s16, exec_lo
	s_and_b32 s72, vcc_lo, exec_lo
	s_or_b32 s16, s16, s72
	s_or_b32 exec_lo, exec_lo, s63
	s_and_saveexec_b32 s63, s16
	s_cbranch_execnz .LBB6_6714
	s_branch .LBB6_6715
.LBB6_7581:                             ;   in Loop: Header=BB6_6449 Depth=4
	s_or_saveexec_b32 s63, s63
	v_mov_b32_e32 v14, 0x7f800001
	s_xor_b32 exec_lo, exec_lo, s63
	s_cbranch_execz .LBB6_6727
.LBB6_7582:                             ;   in Loop: Header=BB6_6449 Depth=4
	v_cmp_ne_u16_e32 vcc_lo, 0, v7
	v_mov_b32_e32 v14, 0
	s_andn2_b32 s16, s16, exec_lo
	s_and_b32 s72, vcc_lo, exec_lo
	s_or_b32 s16, s16, s72
	s_or_b32 exec_lo, exec_lo, s63
	s_and_saveexec_b32 s63, s16
	s_cbranch_execnz .LBB6_6728
	s_branch .LBB6_6729
.LBB6_7583:                             ;   in Loop: Header=BB6_6449 Depth=4
	s_or_saveexec_b32 s63, s63
	v_mov_b32_e32 v14, 0x7f800001
	s_xor_b32 exec_lo, exec_lo, s63
	s_cbranch_execz .LBB6_6741
.LBB6_7584:                             ;   in Loop: Header=BB6_6449 Depth=4
	v_cmp_ne_u16_e32 vcc_lo, 0, v7
	v_mov_b32_e32 v14, 0
	s_andn2_b32 s16, s16, exec_lo
	s_and_b32 s72, vcc_lo, exec_lo
	s_or_b32 s16, s16, s72
	s_or_b32 exec_lo, exec_lo, s63
	s_and_saveexec_b32 s63, s16
	s_cbranch_execnz .LBB6_6742
	s_branch .LBB6_6743
.LBB6_7585:                             ;   in Loop: Header=BB6_6449 Depth=4
	s_or_saveexec_b32 s63, s63
	v_mov_b32_e32 v14, 0x7f800001
	s_xor_b32 exec_lo, exec_lo, s63
	s_cbranch_execz .LBB6_6755
.LBB6_7586:                             ;   in Loop: Header=BB6_6449 Depth=4
	v_cmp_ne_u16_e32 vcc_lo, 0, v7
	v_mov_b32_e32 v14, 0
	s_andn2_b32 s16, s16, exec_lo
	s_and_b32 s72, vcc_lo, exec_lo
	s_or_b32 s16, s16, s72
	s_or_b32 exec_lo, exec_lo, s63
	s_and_saveexec_b32 s63, s16
	s_cbranch_execnz .LBB6_6756
	s_branch .LBB6_6757
.LBB6_7587:                             ;   in Loop: Header=BB6_6449 Depth=4
	s_or_saveexec_b32 s63, s63
	v_mov_b32_e32 v14, 0x7f800001
	s_xor_b32 exec_lo, exec_lo, s63
	s_cbranch_execz .LBB6_6769
.LBB6_7588:                             ;   in Loop: Header=BB6_6449 Depth=4
	v_cmp_ne_u16_e32 vcc_lo, 0, v7
	v_mov_b32_e32 v14, 0
	s_andn2_b32 s16, s16, exec_lo
	s_and_b32 s72, vcc_lo, exec_lo
	s_or_b32 s16, s16, s72
	s_or_b32 exec_lo, exec_lo, s63
	s_and_saveexec_b32 s63, s16
	s_cbranch_execnz .LBB6_6770
	s_branch .LBB6_6771
.LBB6_7589:                             ;   in Loop: Header=BB6_6449 Depth=4
	s_or_saveexec_b32 s63, s63
	v_mov_b32_e32 v14, 0x7f800001
	s_xor_b32 exec_lo, exec_lo, s63
	s_cbranch_execz .LBB6_6783
.LBB6_7590:                             ;   in Loop: Header=BB6_6449 Depth=4
	v_cmp_ne_u16_e32 vcc_lo, 0, v7
	v_mov_b32_e32 v14, 0
	s_andn2_b32 s16, s16, exec_lo
	s_and_b32 s72, vcc_lo, exec_lo
	s_or_b32 s16, s16, s72
	s_or_b32 exec_lo, exec_lo, s63
	s_and_saveexec_b32 s63, s16
	s_cbranch_execnz .LBB6_6784
	s_branch .LBB6_6785
.LBB6_7591:                             ;   in Loop: Header=BB6_6449 Depth=4
	s_or_saveexec_b32 s63, s63
	v_mov_b32_e32 v14, 0x7f800001
	s_xor_b32 exec_lo, exec_lo, s63
	s_cbranch_execz .LBB6_6797
.LBB6_7592:                             ;   in Loop: Header=BB6_6449 Depth=4
	v_cmp_ne_u16_e32 vcc_lo, 0, v7
	v_mov_b32_e32 v14, 0
	s_andn2_b32 s16, s16, exec_lo
	s_and_b32 s72, vcc_lo, exec_lo
	s_or_b32 s16, s16, s72
	s_or_b32 exec_lo, exec_lo, s63
	s_and_saveexec_b32 s63, s16
	s_cbranch_execnz .LBB6_6798
	s_branch .LBB6_6799
.LBB6_7593:                             ;   in Loop: Header=BB6_6449 Depth=4
	s_or_saveexec_b32 s63, s63
	v_mov_b32_e32 v14, 0x7f800001
	s_xor_b32 exec_lo, exec_lo, s63
	s_cbranch_execz .LBB6_6811
.LBB6_7594:                             ;   in Loop: Header=BB6_6449 Depth=4
	v_cmp_ne_u16_e32 vcc_lo, 0, v7
	v_mov_b32_e32 v14, 0
	s_andn2_b32 s16, s16, exec_lo
	s_and_b32 s72, vcc_lo, exec_lo
	s_or_b32 s16, s16, s72
	s_or_b32 exec_lo, exec_lo, s63
	s_and_saveexec_b32 s63, s16
	s_cbranch_execnz .LBB6_6812
	s_branch .LBB6_6813
.LBB6_7595:                             ;   in Loop: Header=BB6_6449 Depth=4
	s_or_saveexec_b32 s63, s63
	v_mov_b32_e32 v14, 0x7f800001
	s_xor_b32 exec_lo, exec_lo, s63
	s_cbranch_execz .LBB6_6825
.LBB6_7596:                             ;   in Loop: Header=BB6_6449 Depth=4
	v_cmp_ne_u16_e32 vcc_lo, 0, v7
	v_mov_b32_e32 v14, 0
	s_andn2_b32 s16, s16, exec_lo
	s_and_b32 s72, vcc_lo, exec_lo
	s_or_b32 s16, s16, s72
	s_or_b32 exec_lo, exec_lo, s63
	s_and_saveexec_b32 s63, s16
	s_cbranch_execnz .LBB6_6826
	s_branch .LBB6_6827
.LBB6_7597:                             ;   in Loop: Header=BB6_6449 Depth=4
	s_or_saveexec_b32 s63, s63
	v_mov_b32_e32 v14, 0x7f800001
	s_xor_b32 exec_lo, exec_lo, s63
	s_cbranch_execz .LBB6_6839
.LBB6_7598:                             ;   in Loop: Header=BB6_6449 Depth=4
	v_cmp_ne_u16_e32 vcc_lo, 0, v7
	v_mov_b32_e32 v14, 0
	s_andn2_b32 s16, s16, exec_lo
	s_and_b32 s72, vcc_lo, exec_lo
	s_or_b32 s16, s16, s72
	s_or_b32 exec_lo, exec_lo, s63
	s_and_saveexec_b32 s63, s16
	s_cbranch_execnz .LBB6_6840
	s_branch .LBB6_6841
.LBB6_7599:                             ;   in Loop: Header=BB6_6449 Depth=4
	s_or_saveexec_b32 s63, s63
	v_mov_b32_e32 v14, 0x7f800001
	s_xor_b32 exec_lo, exec_lo, s63
	s_cbranch_execz .LBB6_6853
.LBB6_7600:                             ;   in Loop: Header=BB6_6449 Depth=4
	v_cmp_ne_u16_e32 vcc_lo, 0, v7
	v_mov_b32_e32 v14, 0
	s_andn2_b32 s16, s16, exec_lo
	s_and_b32 s72, vcc_lo, exec_lo
	s_or_b32 s16, s16, s72
	s_or_b32 exec_lo, exec_lo, s63
	s_and_saveexec_b32 s63, s16
	s_cbranch_execnz .LBB6_6854
	s_branch .LBB6_6855
.LBB6_7601:                             ;   in Loop: Header=BB6_6449 Depth=4
	s_or_saveexec_b32 s63, s63
	v_mov_b32_e32 v14, 0x7f800001
	s_xor_b32 exec_lo, exec_lo, s63
	s_cbranch_execz .LBB6_6867
.LBB6_7602:                             ;   in Loop: Header=BB6_6449 Depth=4
	v_cmp_ne_u16_e32 vcc_lo, 0, v7
	v_mov_b32_e32 v14, 0
	s_andn2_b32 s16, s16, exec_lo
	s_and_b32 s72, vcc_lo, exec_lo
	s_or_b32 s16, s16, s72
	s_or_b32 exec_lo, exec_lo, s63
	s_and_saveexec_b32 s63, s16
	s_cbranch_execnz .LBB6_6868
	s_branch .LBB6_6869
.LBB6_7603:                             ;   in Loop: Header=BB6_6449 Depth=4
	s_or_saveexec_b32 s63, s63
	v_mov_b32_e32 v14, 0x7f800001
	s_xor_b32 exec_lo, exec_lo, s63
	s_cbranch_execz .LBB6_6881
.LBB6_7604:                             ;   in Loop: Header=BB6_6449 Depth=4
	v_cmp_ne_u16_e32 vcc_lo, 0, v7
	v_mov_b32_e32 v14, 0
	s_andn2_b32 s16, s16, exec_lo
	s_and_b32 s72, vcc_lo, exec_lo
	s_or_b32 s16, s16, s72
	s_or_b32 exec_lo, exec_lo, s63
	s_and_saveexec_b32 s63, s16
	s_cbranch_execnz .LBB6_6882
	s_branch .LBB6_6883
.LBB6_7605:                             ;   in Loop: Header=BB6_6449 Depth=4
	s_or_saveexec_b32 s63, s63
	v_mov_b32_e32 v19, 0x7f800001
	s_xor_b32 exec_lo, exec_lo, s63
	s_cbranch_execz .LBB6_6895
.LBB6_7606:                             ;   in Loop: Header=BB6_6449 Depth=4
	v_cmp_ne_u16_e32 vcc_lo, 0, v7
	v_mov_b32_e32 v19, 0
	s_andn2_b32 s16, s16, exec_lo
	s_and_b32 s72, vcc_lo, exec_lo
	s_or_b32 s16, s16, s72
	s_or_b32 exec_lo, exec_lo, s63
	s_and_saveexec_b32 s63, s16
	s_cbranch_execnz .LBB6_6896
	s_branch .LBB6_6897
.LBB6_7607:                             ;   in Loop: Header=BB6_6449 Depth=4
	s_or_saveexec_b32 s16, s16
	v_mov_b32_e32 v79, 0x7f800001
	s_xor_b32 exec_lo, exec_lo, s16
	s_cbranch_execz .LBB6_6909
.LBB6_7608:                             ;   in Loop: Header=BB6_6449 Depth=4
	v_cmp_ne_u16_sdwa s72, v18, v2 src0_sel:BYTE_0 src1_sel:DWORD
	v_mov_b32_e32 v79, 0
	s_andn2_b32 s63, s63, exec_lo
	s_and_b32 s72, s72, exec_lo
	s_or_b32 s63, s63, s72
	s_or_b32 exec_lo, exec_lo, s16
	s_and_saveexec_b32 s16, s63
	s_cbranch_execnz .LBB6_6910
	s_branch .LBB6_6911
.LBB6_7609:                             ;   in Loop: Header=BB6_6449 Depth=4
	s_or_saveexec_b32 s16, s16
	v_mov_b32_e32 v18, 0x7f800001
	s_xor_b32 exec_lo, exec_lo, s16
	s_cbranch_execz .LBB6_6915
.LBB6_7610:                             ;   in Loop: Header=BB6_6449 Depth=4
	v_cmp_ne_u16_sdwa s72, v78, v2 src0_sel:BYTE_0 src1_sel:DWORD
	v_mov_b32_e32 v18, 0
	s_andn2_b32 s63, s63, exec_lo
	s_and_b32 s72, s72, exec_lo
	s_or_b32 s63, s63, s72
	s_or_b32 exec_lo, exec_lo, s16
	s_and_saveexec_b32 s16, s63
	s_cbranch_execnz .LBB6_6916
	s_branch .LBB6_6917
.LBB6_7611:                             ;   in Loop: Header=BB6_6449 Depth=4
	s_or_saveexec_b32 s16, s16
	v_mov_b32_e32 v78, 0x7f800001
	s_xor_b32 exec_lo, exec_lo, s16
	s_cbranch_execz .LBB6_6929
.LBB6_7612:                             ;   in Loop: Header=BB6_6449 Depth=4
	v_cmp_ne_u16_sdwa s72, v22, v2 src0_sel:BYTE_0 src1_sel:DWORD
	v_mov_b32_e32 v78, 0
	s_andn2_b32 s63, s63, exec_lo
	s_and_b32 s72, s72, exec_lo
	s_or_b32 s63, s63, s72
	s_or_b32 exec_lo, exec_lo, s16
	s_and_saveexec_b32 s16, s63
	s_cbranch_execnz .LBB6_6930
	s_branch .LBB6_6931
.LBB6_7613:                             ;   in Loop: Header=BB6_6449 Depth=4
	s_or_saveexec_b32 s63, s63
	v_mov_b32_e32 v22, 0x7f800001
	s_xor_b32 exec_lo, exec_lo, s63
	s_cbranch_execz .LBB6_6935
.LBB6_7614:                             ;   in Loop: Header=BB6_6449 Depth=4
	v_cmp_ne_u16_sdwa s72, v77, v2 src0_sel:BYTE_0 src1_sel:DWORD
	v_mov_b32_e32 v22, 0
	s_andn2_b32 s16, s16, exec_lo
	s_and_b32 s72, s72, exec_lo
	s_or_b32 s16, s16, s72
	s_or_b32 exec_lo, exec_lo, s63
	s_and_saveexec_b32 s63, s16
	s_cbranch_execnz .LBB6_6936
	s_branch .LBB6_6937
.LBB6_7615:                             ;   in Loop: Header=BB6_6449 Depth=4
	s_or_saveexec_b32 s16, s16
	v_mov_b32_e32 v77, 0x7f800001
	s_xor_b32 exec_lo, exec_lo, s16
	s_cbranch_execz .LBB6_6949
.LBB6_7616:                             ;   in Loop: Header=BB6_6449 Depth=4
	v_cmp_ne_u16_sdwa s72, v27, v2 src0_sel:BYTE_0 src1_sel:DWORD
	v_mov_b32_e32 v77, 0
	s_andn2_b32 s63, s63, exec_lo
	s_and_b32 s72, s72, exec_lo
	s_or_b32 s63, s63, s72
	s_or_b32 exec_lo, exec_lo, s16
	s_and_saveexec_b32 s16, s63
	s_cbranch_execnz .LBB6_6950
	s_branch .LBB6_6951
.LBB6_7617:                             ;   in Loop: Header=BB6_6449 Depth=4
	s_or_saveexec_b32 s63, s63
	v_mov_b32_e32 v27, 0x7f800001
	s_xor_b32 exec_lo, exec_lo, s63
	s_cbranch_execz .LBB6_6955
.LBB6_7618:                             ;   in Loop: Header=BB6_6449 Depth=4
	v_cmp_ne_u16_sdwa s72, v76, v2 src0_sel:BYTE_0 src1_sel:DWORD
	v_mov_b32_e32 v27, 0
	s_andn2_b32 s16, s16, exec_lo
	s_and_b32 s72, s72, exec_lo
	s_or_b32 s16, s16, s72
	s_or_b32 exec_lo, exec_lo, s63
	s_and_saveexec_b32 s63, s16
	s_cbranch_execnz .LBB6_6956
	s_branch .LBB6_6957
.LBB6_7619:                             ;   in Loop: Header=BB6_6449 Depth=4
	s_or_saveexec_b32 s16, s16
	v_mov_b32_e32 v76, 0x7f800001
	s_xor_b32 exec_lo, exec_lo, s16
	s_cbranch_execz .LBB6_6969
.LBB6_7620:                             ;   in Loop: Header=BB6_6449 Depth=4
	v_cmp_ne_u16_sdwa s72, v31, v2 src0_sel:BYTE_0 src1_sel:DWORD
	v_mov_b32_e32 v76, 0
	s_andn2_b32 s63, s63, exec_lo
	s_and_b32 s72, s72, exec_lo
	s_or_b32 s63, s63, s72
	s_or_b32 exec_lo, exec_lo, s16
	s_and_saveexec_b32 s16, s63
	s_cbranch_execnz .LBB6_6970
	s_branch .LBB6_6971
.LBB6_7621:                             ;   in Loop: Header=BB6_6449 Depth=4
	s_or_saveexec_b32 s63, s63
	v_mov_b32_e32 v31, 0x7f800001
	s_xor_b32 exec_lo, exec_lo, s63
	s_cbranch_execz .LBB6_6975
.LBB6_7622:                             ;   in Loop: Header=BB6_6449 Depth=4
	v_cmp_ne_u16_sdwa s72, v75, v2 src0_sel:BYTE_0 src1_sel:DWORD
	v_mov_b32_e32 v31, 0
	s_andn2_b32 s16, s16, exec_lo
	s_and_b32 s72, s72, exec_lo
	s_or_b32 s16, s16, s72
	s_or_b32 exec_lo, exec_lo, s63
	s_and_saveexec_b32 s63, s16
	s_cbranch_execnz .LBB6_6976
	s_branch .LBB6_6977
.LBB6_7623:                             ;   in Loop: Header=BB6_6449 Depth=4
	s_or_saveexec_b32 s16, s16
	v_mov_b32_e32 v75, 0x7f800001
	s_xor_b32 exec_lo, exec_lo, s16
	s_cbranch_execz .LBB6_6989
.LBB6_7624:                             ;   in Loop: Header=BB6_6449 Depth=4
	v_cmp_ne_u16_sdwa s72, v52, v2 src0_sel:BYTE_0 src1_sel:DWORD
	v_mov_b32_e32 v75, 0
	s_andn2_b32 s63, s63, exec_lo
	s_and_b32 s72, s72, exec_lo
	s_or_b32 s63, s63, s72
	s_or_b32 exec_lo, exec_lo, s16
	s_and_saveexec_b32 s16, s63
	s_cbranch_execnz .LBB6_6990
	s_branch .LBB6_6991
.LBB6_7625:                             ;   in Loop: Header=BB6_6449 Depth=4
	s_or_saveexec_b32 s63, s63
	v_mov_b32_e32 v52, 0x7f800001
	s_xor_b32 exec_lo, exec_lo, s63
	s_cbranch_execz .LBB6_6995
.LBB6_7626:                             ;   in Loop: Header=BB6_6449 Depth=4
	v_cmp_ne_u16_sdwa s72, v74, v2 src0_sel:BYTE_0 src1_sel:DWORD
	v_mov_b32_e32 v52, 0
	s_andn2_b32 s16, s16, exec_lo
	s_and_b32 s72, s72, exec_lo
	s_or_b32 s16, s16, s72
	s_or_b32 exec_lo, exec_lo, s63
	s_and_saveexec_b32 s63, s16
	s_cbranch_execnz .LBB6_6996
	s_branch .LBB6_6997
.LBB6_7627:                             ;   in Loop: Header=BB6_6449 Depth=4
	s_or_saveexec_b32 s16, s16
	v_mov_b32_e32 v74, 0x7f800001
	s_xor_b32 exec_lo, exec_lo, s16
	s_cbranch_execz .LBB6_7009
.LBB6_7628:                             ;   in Loop: Header=BB6_6449 Depth=4
	v_cmp_ne_u16_sdwa s72, v66, v2 src0_sel:BYTE_0 src1_sel:DWORD
	v_mov_b32_e32 v74, 0
	s_andn2_b32 s63, s63, exec_lo
	s_and_b32 s72, s72, exec_lo
	s_or_b32 s63, s63, s72
	s_or_b32 exec_lo, exec_lo, s16
	s_and_saveexec_b32 s16, s63
	s_cbranch_execnz .LBB6_7010
	s_branch .LBB6_7011
.LBB6_7629:                             ;   in Loop: Header=BB6_6449 Depth=4
	s_or_saveexec_b32 s63, s63
	v_mov_b32_e32 v66, 0x7f800001
	s_xor_b32 exec_lo, exec_lo, s63
	s_cbranch_execz .LBB6_7015
.LBB6_7630:                             ;   in Loop: Header=BB6_6449 Depth=4
	v_cmp_ne_u16_sdwa s72, v73, v2 src0_sel:BYTE_0 src1_sel:DWORD
	v_mov_b32_e32 v66, 0
	s_andn2_b32 s16, s16, exec_lo
	s_and_b32 s72, s72, exec_lo
	s_or_b32 s16, s16, s72
	s_or_b32 exec_lo, exec_lo, s63
	s_and_saveexec_b32 s63, s16
	s_cbranch_execnz .LBB6_7016
	s_branch .LBB6_7017
.LBB6_7631:                             ;   in Loop: Header=BB6_6449 Depth=4
	s_or_saveexec_b32 s16, s16
	v_mov_b32_e32 v73, 0x7f800001
	s_xor_b32 exec_lo, exec_lo, s16
	s_cbranch_execz .LBB6_7029
.LBB6_7632:                             ;   in Loop: Header=BB6_6449 Depth=4
	v_cmp_ne_u16_sdwa s72, v81, v2 src0_sel:BYTE_0 src1_sel:DWORD
	v_mov_b32_e32 v73, 0
	s_andn2_b32 s63, s63, exec_lo
	s_and_b32 s72, s72, exec_lo
	s_or_b32 s63, s63, s72
	s_or_b32 exec_lo, exec_lo, s16
	s_and_saveexec_b32 s16, s63
	s_cbranch_execnz .LBB6_7030
	s_branch .LBB6_7031
.LBB6_7633:                             ;   in Loop: Header=BB6_6449 Depth=4
	s_or_saveexec_b32 s63, s63
	v_mov_b32_e32 v81, 0x7f800001
	s_xor_b32 exec_lo, exec_lo, s63
	s_cbranch_execz .LBB6_7035
.LBB6_7634:                             ;   in Loop: Header=BB6_6449 Depth=4
	v_cmp_ne_u16_sdwa s72, v72, v2 src0_sel:BYTE_0 src1_sel:DWORD
	v_mov_b32_e32 v81, 0
	s_andn2_b32 s16, s16, exec_lo
	s_and_b32 s72, s72, exec_lo
	s_or_b32 s16, s16, s72
	s_or_b32 exec_lo, exec_lo, s63
	s_and_saveexec_b32 s63, s16
	s_cbranch_execnz .LBB6_7036
	s_branch .LBB6_7037
.LBB6_7635:                             ;   in Loop: Header=BB6_6449 Depth=4
	s_or_saveexec_b32 s16, s16
	v_mov_b32_e32 v72, 0x7f800001
	s_xor_b32 exec_lo, exec_lo, s16
	s_cbranch_execz .LBB6_7049
.LBB6_7636:                             ;   in Loop: Header=BB6_6449 Depth=4
	v_cmp_ne_u16_sdwa s72, v85, v2 src0_sel:BYTE_0 src1_sel:DWORD
	v_mov_b32_e32 v72, 0
	s_andn2_b32 s63, s63, exec_lo
	s_and_b32 s72, s72, exec_lo
	s_or_b32 s63, s63, s72
	s_or_b32 exec_lo, exec_lo, s16
	s_and_saveexec_b32 s16, s63
	s_cbranch_execnz .LBB6_7050
	s_branch .LBB6_7051
.LBB6_7637:                             ;   in Loop: Header=BB6_6449 Depth=4
	s_or_saveexec_b32 s63, s63
	v_mov_b32_e32 v85, 0x7f800001
	s_xor_b32 exec_lo, exec_lo, s63
	s_cbranch_execz .LBB6_7055
.LBB6_7638:                             ;   in Loop: Header=BB6_6449 Depth=4
	v_cmp_ne_u16_sdwa s72, v63, v2 src0_sel:BYTE_0 src1_sel:DWORD
	v_mov_b32_e32 v85, 0
	s_andn2_b32 s16, s16, exec_lo
	s_and_b32 s72, s72, exec_lo
	s_or_b32 s16, s16, s72
	s_or_b32 exec_lo, exec_lo, s63
	s_and_saveexec_b32 s63, s16
	s_cbranch_execnz .LBB6_7056
	s_branch .LBB6_7057
.LBB6_7639:                             ;   in Loop: Header=BB6_6449 Depth=4
	s_or_saveexec_b32 s16, s16
	v_mov_b32_e32 v63, 0x7f800001
	s_xor_b32 exec_lo, exec_lo, s16
	s_cbranch_execz .LBB6_7069
.LBB6_7640:                             ;   in Loop: Header=BB6_6449 Depth=4
	v_cmp_ne_u16_sdwa s72, v97, v2 src0_sel:BYTE_0 src1_sel:DWORD
	v_mov_b32_e32 v63, 0
	s_andn2_b32 s63, s63, exec_lo
	s_and_b32 s72, s72, exec_lo
	s_or_b32 s63, s63, s72
	s_or_b32 exec_lo, exec_lo, s16
	s_and_saveexec_b32 s16, s63
	s_cbranch_execnz .LBB6_7070
	s_branch .LBB6_7071
.LBB6_7641:                             ;   in Loop: Header=BB6_6449 Depth=4
	s_or_saveexec_b32 s63, s63
	v_mov_b32_e32 v97, 0x7f800001
	s_xor_b32 exec_lo, exec_lo, s63
	s_cbranch_execz .LBB6_7075
.LBB6_7642:                             ;   in Loop: Header=BB6_6449 Depth=4
	v_cmp_ne_u16_sdwa s72, v62, v2 src0_sel:BYTE_0 src1_sel:DWORD
	v_mov_b32_e32 v97, 0
	s_andn2_b32 s16, s16, exec_lo
	s_and_b32 s72, s72, exec_lo
	s_or_b32 s16, s16, s72
	s_or_b32 exec_lo, exec_lo, s63
	s_and_saveexec_b32 s63, s16
	s_cbranch_execnz .LBB6_7076
	s_branch .LBB6_7077
.LBB6_7643:                             ;   in Loop: Header=BB6_6449 Depth=4
	s_or_saveexec_b32 s16, s16
	v_mov_b32_e32 v62, 0x7f800001
	s_xor_b32 exec_lo, exec_lo, s16
	s_cbranch_execz .LBB6_7089
.LBB6_7644:                             ;   in Loop: Header=BB6_6449 Depth=4
	v_cmp_ne_u16_sdwa s72, v113, v2 src0_sel:BYTE_0 src1_sel:DWORD
	v_mov_b32_e32 v62, 0
	s_andn2_b32 s63, s63, exec_lo
	s_and_b32 s72, s72, exec_lo
	s_or_b32 s63, s63, s72
	s_or_b32 exec_lo, exec_lo, s16
	s_and_saveexec_b32 s16, s63
	s_cbranch_execnz .LBB6_7090
	s_branch .LBB6_7091
.LBB6_7645:                             ;   in Loop: Header=BB6_6449 Depth=4
	s_or_saveexec_b32 s63, s63
	v_mov_b32_e32 v113, 0x7f800001
	s_xor_b32 exec_lo, exec_lo, s63
	s_cbranch_execz .LBB6_7095
.LBB6_7646:                             ;   in Loop: Header=BB6_6449 Depth=4
	v_cmp_ne_u16_sdwa s72, v61, v2 src0_sel:BYTE_0 src1_sel:DWORD
	v_mov_b32_e32 v113, 0
	s_andn2_b32 s16, s16, exec_lo
	s_and_b32 s72, s72, exec_lo
	s_or_b32 s16, s16, s72
	s_or_b32 exec_lo, exec_lo, s63
	s_and_saveexec_b32 s63, s16
	s_cbranch_execnz .LBB6_7096
	s_branch .LBB6_7097
.LBB6_7647:                             ;   in Loop: Header=BB6_6449 Depth=4
	s_or_saveexec_b32 s16, s16
	v_mov_b32_e32 v61, 0x7f800001
	s_xor_b32 exec_lo, exec_lo, s16
	s_cbranch_execz .LBB6_7109
.LBB6_7648:                             ;   in Loop: Header=BB6_6449 Depth=4
	v_cmp_ne_u16_sdwa s72, v102, v2 src0_sel:BYTE_0 src1_sel:DWORD
	v_mov_b32_e32 v61, 0
	s_andn2_b32 s63, s63, exec_lo
	s_and_b32 s72, s72, exec_lo
	s_or_b32 s63, s63, s72
	s_or_b32 exec_lo, exec_lo, s16
	s_and_saveexec_b32 s16, s63
	s_cbranch_execnz .LBB6_7110
	s_branch .LBB6_7111
.LBB6_7649:                             ;   in Loop: Header=BB6_6449 Depth=4
	s_or_saveexec_b32 s63, s63
	v_mov_b32_e32 v102, 0x7f800001
	s_xor_b32 exec_lo, exec_lo, s63
	s_cbranch_execz .LBB6_7115
.LBB6_7650:                             ;   in Loop: Header=BB6_6449 Depth=4
	v_cmp_ne_u16_sdwa s72, v60, v2 src0_sel:BYTE_0 src1_sel:DWORD
	v_mov_b32_e32 v102, 0
	s_andn2_b32 s16, s16, exec_lo
	s_and_b32 s72, s72, exec_lo
	s_or_b32 s16, s16, s72
	s_or_b32 exec_lo, exec_lo, s63
	s_and_saveexec_b32 s63, s16
	s_cbranch_execnz .LBB6_7116
	s_branch .LBB6_7117
.LBB6_7651:                             ;   in Loop: Header=BB6_6449 Depth=4
	s_or_saveexec_b32 s16, s16
	v_mov_b32_e32 v60, 0x7f800001
	s_xor_b32 exec_lo, exec_lo, s16
	s_cbranch_execz .LBB6_7129
.LBB6_7652:                             ;   in Loop: Header=BB6_6449 Depth=4
	v_cmp_ne_u16_sdwa s72, v101, v2 src0_sel:BYTE_0 src1_sel:DWORD
	v_mov_b32_e32 v60, 0
	s_andn2_b32 s63, s63, exec_lo
	s_and_b32 s72, s72, exec_lo
	s_or_b32 s63, s63, s72
	s_or_b32 exec_lo, exec_lo, s16
	s_and_saveexec_b32 s16, s63
	s_cbranch_execnz .LBB6_7130
	s_branch .LBB6_7131
.LBB6_7653:                             ;   in Loop: Header=BB6_6449 Depth=4
	s_or_saveexec_b32 s63, s63
	v_mov_b32_e32 v101, 0x7f800001
	s_xor_b32 exec_lo, exec_lo, s63
	s_cbranch_execz .LBB6_7135
.LBB6_7654:                             ;   in Loop: Header=BB6_6449 Depth=4
	v_cmp_ne_u16_sdwa s72, v59, v2 src0_sel:BYTE_0 src1_sel:DWORD
	v_mov_b32_e32 v101, 0
	s_andn2_b32 s16, s16, exec_lo
	s_and_b32 s72, s72, exec_lo
	s_or_b32 s16, s16, s72
	s_or_b32 exec_lo, exec_lo, s63
	s_and_saveexec_b32 s63, s16
	s_cbranch_execnz .LBB6_7136
	s_branch .LBB6_7137
.LBB6_7655:                             ;   in Loop: Header=BB6_6449 Depth=4
	s_or_saveexec_b32 s16, s16
	v_mov_b32_e32 v59, 0x7f800001
	s_xor_b32 exec_lo, exec_lo, s16
	s_cbranch_execz .LBB6_7149
.LBB6_7656:                             ;   in Loop: Header=BB6_6449 Depth=4
	v_cmp_ne_u16_sdwa s72, v87, v2 src0_sel:BYTE_0 src1_sel:DWORD
	v_mov_b32_e32 v59, 0
	s_andn2_b32 s63, s63, exec_lo
	s_and_b32 s72, s72, exec_lo
	s_or_b32 s63, s63, s72
	s_or_b32 exec_lo, exec_lo, s16
	s_and_saveexec_b32 s16, s63
	s_cbranch_execnz .LBB6_7150
	s_branch .LBB6_7151
.LBB6_7657:                             ;   in Loop: Header=BB6_6449 Depth=4
	s_or_saveexec_b32 s63, s63
	v_mov_b32_e32 v87, 0x7f800001
	s_xor_b32 exec_lo, exec_lo, s63
	s_cbranch_execz .LBB6_7155
.LBB6_7658:                             ;   in Loop: Header=BB6_6449 Depth=4
	v_cmp_ne_u16_sdwa s72, v45, v2 src0_sel:BYTE_0 src1_sel:DWORD
	v_mov_b32_e32 v87, 0
	s_andn2_b32 s16, s16, exec_lo
	s_and_b32 s72, s72, exec_lo
	s_or_b32 s16, s16, s72
	s_or_b32 exec_lo, exec_lo, s63
	s_and_saveexec_b32 s63, s16
	s_cbranch_execnz .LBB6_7156
	s_branch .LBB6_7157
.LBB6_7659:                             ;   in Loop: Header=BB6_6449 Depth=4
	s_or_saveexec_b32 s16, s16
	v_mov_b32_e32 v45, 0x7f800001
	s_xor_b32 exec_lo, exec_lo, s16
	s_cbranch_execz .LBB6_7169
.LBB6_7660:                             ;   in Loop: Header=BB6_6449 Depth=4
	v_cmp_ne_u16_sdwa s72, v86, v2 src0_sel:BYTE_0 src1_sel:DWORD
	v_mov_b32_e32 v45, 0
	s_andn2_b32 s63, s63, exec_lo
	s_and_b32 s72, s72, exec_lo
	s_or_b32 s63, s63, s72
	s_or_b32 exec_lo, exec_lo, s16
	s_and_saveexec_b32 s16, s63
	s_cbranch_execnz .LBB6_7170
	s_branch .LBB6_7171
.LBB6_7661:                             ;   in Loop: Header=BB6_6449 Depth=4
	s_or_saveexec_b32 s63, s63
	v_mov_b32_e32 v86, 0x7f800001
	s_xor_b32 exec_lo, exec_lo, s63
	s_cbranch_execz .LBB6_7175
.LBB6_7662:                             ;   in Loop: Header=BB6_6449 Depth=4
	v_cmp_ne_u16_sdwa s72, v58, v2 src0_sel:BYTE_0 src1_sel:DWORD
	v_mov_b32_e32 v86, 0
	s_andn2_b32 s16, s16, exec_lo
	s_and_b32 s72, s72, exec_lo
	s_or_b32 s16, s16, s72
	s_or_b32 exec_lo, exec_lo, s63
	s_and_saveexec_b32 s63, s16
	s_cbranch_execnz .LBB6_7176
	s_branch .LBB6_7177
.LBB6_7663:                             ;   in Loop: Header=BB6_6449 Depth=4
	s_or_saveexec_b32 s16, s16
	v_mov_b32_e32 v45, 0x7f800001
	s_xor_b32 exec_lo, exec_lo, s16
	s_cbranch_execz .LBB6_7189
.LBB6_7664:                             ;   in Loop: Header=BB6_6449 Depth=4
	v_cmp_ne_u16_sdwa s72, v83, v2 src0_sel:BYTE_0 src1_sel:DWORD
	v_mov_b32_e32 v45, 0
	s_andn2_b32 s63, s63, exec_lo
	s_and_b32 s72, s72, exec_lo
	s_or_b32 s63, s63, s72
	s_or_b32 exec_lo, exec_lo, s16
	s_and_saveexec_b32 s16, s63
	s_cbranch_execnz .LBB6_7190
	s_branch .LBB6_7191
.LBB6_7665:                             ;   in Loop: Header=BB6_6449 Depth=4
	s_or_saveexec_b32 s63, s63
	v_mov_b32_e32 v83, 0x7f800001
	s_xor_b32 exec_lo, exec_lo, s63
	s_cbranch_execz .LBB6_7195
.LBB6_7666:                             ;   in Loop: Header=BB6_6449 Depth=4
	v_cmp_ne_u16_sdwa s72, v57, v2 src0_sel:BYTE_0 src1_sel:DWORD
	v_mov_b32_e32 v83, 0
	s_andn2_b32 s16, s16, exec_lo
	s_and_b32 s72, s72, exec_lo
	s_or_b32 s16, s16, s72
	s_or_b32 exec_lo, exec_lo, s63
	s_and_saveexec_b32 s63, s16
	s_cbranch_execnz .LBB6_7196
	s_branch .LBB6_7197
.LBB6_7667:                             ;   in Loop: Header=BB6_6449 Depth=4
	s_or_saveexec_b32 s16, s16
	v_mov_b32_e32 v45, 0x7f800001
	s_xor_b32 exec_lo, exec_lo, s16
	s_cbranch_execz .LBB6_7209
.LBB6_7668:                             ;   in Loop: Header=BB6_6449 Depth=4
	v_cmp_ne_u16_sdwa s72, v82, v2 src0_sel:BYTE_0 src1_sel:DWORD
	v_mov_b32_e32 v45, 0
	s_andn2_b32 s63, s63, exec_lo
	s_and_b32 s72, s72, exec_lo
	s_or_b32 s63, s63, s72
	s_or_b32 exec_lo, exec_lo, s16
	s_and_saveexec_b32 s16, s63
	s_cbranch_execnz .LBB6_7210
	s_branch .LBB6_7211
.LBB6_7669:                             ;   in Loop: Header=BB6_6449 Depth=4
	s_or_saveexec_b32 s63, s63
	v_mov_b32_e32 v82, 0x7f800001
	s_xor_b32 exec_lo, exec_lo, s63
	s_cbranch_execz .LBB6_7215
.LBB6_7670:                             ;   in Loop: Header=BB6_6449 Depth=4
	v_cmp_ne_u16_sdwa s72, v56, v2 src0_sel:BYTE_0 src1_sel:DWORD
	v_mov_b32_e32 v82, 0
	s_andn2_b32 s16, s16, exec_lo
	s_and_b32 s72, s72, exec_lo
	s_or_b32 s16, s16, s72
	s_or_b32 exec_lo, exec_lo, s63
	s_and_saveexec_b32 s63, s16
	s_cbranch_execnz .LBB6_7216
	s_branch .LBB6_7217
.LBB6_7671:                             ;   in Loop: Header=BB6_6449 Depth=4
	s_or_saveexec_b32 s16, s16
	v_mov_b32_e32 v45, 0x7f800001
	s_xor_b32 exec_lo, exec_lo, s16
	s_cbranch_execz .LBB6_7229
.LBB6_7672:                             ;   in Loop: Header=BB6_6449 Depth=4
	v_cmp_ne_u16_sdwa s72, v69, v2 src0_sel:BYTE_0 src1_sel:DWORD
	v_mov_b32_e32 v45, 0
	s_andn2_b32 s63, s63, exec_lo
	s_and_b32 s72, s72, exec_lo
	s_or_b32 s63, s63, s72
	s_or_b32 exec_lo, exec_lo, s16
	s_and_saveexec_b32 s16, s63
	s_cbranch_execnz .LBB6_7230
	s_branch .LBB6_7231
.LBB6_7673:                             ;   in Loop: Header=BB6_6449 Depth=4
	s_or_saveexec_b32 s63, s63
	v_mov_b32_e32 v69, 0x7f800001
	s_xor_b32 exec_lo, exec_lo, s63
	s_cbranch_execz .LBB6_7235
.LBB6_7674:                             ;   in Loop: Header=BB6_6449 Depth=4
	v_cmp_ne_u16_sdwa s72, v44, v2 src0_sel:BYTE_0 src1_sel:DWORD
	v_mov_b32_e32 v69, 0
	s_andn2_b32 s16, s16, exec_lo
	s_and_b32 s72, s72, exec_lo
	s_or_b32 s16, s16, s72
	s_or_b32 exec_lo, exec_lo, s63
	s_and_saveexec_b32 s63, s16
	s_cbranch_execnz .LBB6_7236
	s_branch .LBB6_7237
.LBB6_7675:                             ;   in Loop: Header=BB6_6449 Depth=4
	s_or_saveexec_b32 s16, s16
	v_mov_b32_e32 v44, 0x7f800001
	s_xor_b32 exec_lo, exec_lo, s16
	s_cbranch_execz .LBB6_7249
.LBB6_7676:                             ;   in Loop: Header=BB6_6449 Depth=4
	v_cmp_ne_u16_sdwa s72, v67, v2 src0_sel:BYTE_0 src1_sel:DWORD
	v_mov_b32_e32 v44, 0
	s_andn2_b32 s63, s63, exec_lo
	s_and_b32 s72, s72, exec_lo
	s_or_b32 s63, s63, s72
	s_or_b32 exec_lo, exec_lo, s16
	s_and_saveexec_b32 s16, s63
	s_cbranch_execnz .LBB6_7250
	s_branch .LBB6_7251
.LBB6_7677:                             ;   in Loop: Header=BB6_6449 Depth=4
	s_or_saveexec_b32 s63, s63
	v_mov_b32_e32 v67, 0x7f800001
	s_xor_b32 exec_lo, exec_lo, s63
	s_cbranch_execz .LBB6_7255
.LBB6_7678:                             ;   in Loop: Header=BB6_6449 Depth=4
	v_cmp_ne_u16_sdwa s72, v43, v2 src0_sel:BYTE_0 src1_sel:DWORD
	v_mov_b32_e32 v67, 0
	s_andn2_b32 s16, s16, exec_lo
	s_and_b32 s72, s72, exec_lo
	s_or_b32 s16, s16, s72
	s_or_b32 exec_lo, exec_lo, s63
	s_and_saveexec_b32 s63, s16
	s_cbranch_execnz .LBB6_7256
	s_branch .LBB6_7257
.LBB6_7679:                             ;   in Loop: Header=BB6_6449 Depth=4
	s_or_saveexec_b32 s16, s16
	v_mov_b32_e32 v43, 0x7f800001
	s_xor_b32 exec_lo, exec_lo, s16
	s_cbranch_execz .LBB6_7269
.LBB6_7680:                             ;   in Loop: Header=BB6_6449 Depth=4
	v_cmp_ne_u16_sdwa s72, v55, v2 src0_sel:BYTE_0 src1_sel:DWORD
	v_mov_b32_e32 v43, 0
	s_andn2_b32 s63, s63, exec_lo
	s_and_b32 s72, s72, exec_lo
	s_or_b32 s63, s63, s72
	s_or_b32 exec_lo, exec_lo, s16
	s_and_saveexec_b32 s16, s63
	s_cbranch_execnz .LBB6_7270
	s_branch .LBB6_7271
.LBB6_7681:                             ;   in Loop: Header=BB6_6449 Depth=4
	s_or_saveexec_b32 s63, s63
	v_mov_b32_e32 v55, 0x7f800001
	s_xor_b32 exec_lo, exec_lo, s63
	s_cbranch_execz .LBB6_7275
.LBB6_7682:                             ;   in Loop: Header=BB6_6449 Depth=4
	v_cmp_ne_u16_sdwa s72, v42, v2 src0_sel:BYTE_0 src1_sel:DWORD
	v_mov_b32_e32 v55, 0
	s_andn2_b32 s16, s16, exec_lo
	s_and_b32 s72, s72, exec_lo
	s_or_b32 s16, s16, s72
	s_or_b32 exec_lo, exec_lo, s63
	s_and_saveexec_b32 s63, s16
	s_cbranch_execnz .LBB6_7276
	s_branch .LBB6_7277
.LBB6_7683:                             ;   in Loop: Header=BB6_6449 Depth=4
	s_or_saveexec_b32 s16, s16
	v_mov_b32_e32 v42, 0x7f800001
	s_xor_b32 exec_lo, exec_lo, s16
	s_cbranch_execz .LBB6_7289
.LBB6_7684:                             ;   in Loop: Header=BB6_6449 Depth=4
	v_cmp_ne_u16_sdwa s72, v53, v2 src0_sel:BYTE_0 src1_sel:DWORD
	v_mov_b32_e32 v42, 0
	s_andn2_b32 s63, s63, exec_lo
	s_and_b32 s72, s72, exec_lo
	s_or_b32 s63, s63, s72
	s_or_b32 exec_lo, exec_lo, s16
	s_and_saveexec_b32 s16, s63
	s_cbranch_execnz .LBB6_7290
	s_branch .LBB6_7291
.LBB6_7685:                             ;   in Loop: Header=BB6_6449 Depth=4
	s_or_saveexec_b32 s63, s63
	v_mov_b32_e32 v53, 0x7f800001
	s_xor_b32 exec_lo, exec_lo, s63
	s_cbranch_execz .LBB6_7295
.LBB6_7686:                             ;   in Loop: Header=BB6_6449 Depth=4
	v_cmp_ne_u16_sdwa s72, v41, v2 src0_sel:BYTE_0 src1_sel:DWORD
	v_mov_b32_e32 v53, 0
	s_andn2_b32 s16, s16, exec_lo
	s_and_b32 s72, s72, exec_lo
	s_or_b32 s16, s16, s72
	s_or_b32 exec_lo, exec_lo, s63
	s_and_saveexec_b32 s63, s16
	s_cbranch_execnz .LBB6_7296
	s_branch .LBB6_7297
.LBB6_7687:                             ;   in Loop: Header=BB6_6449 Depth=4
	s_or_saveexec_b32 s16, s16
	v_mov_b32_e32 v41, 0x7f800001
	s_xor_b32 exec_lo, exec_lo, s16
	s_cbranch_execz .LBB6_7309
.LBB6_7688:                             ;   in Loop: Header=BB6_6449 Depth=4
	v_cmp_ne_u16_sdwa s72, v51, v2 src0_sel:BYTE_0 src1_sel:DWORD
	v_mov_b32_e32 v41, 0
	s_andn2_b32 s63, s63, exec_lo
	s_and_b32 s72, s72, exec_lo
	s_or_b32 s63, s63, s72
	s_or_b32 exec_lo, exec_lo, s16
	s_and_saveexec_b32 s16, s63
	s_cbranch_execnz .LBB6_7310
	s_branch .LBB6_7311
.LBB6_7689:                             ;   in Loop: Header=BB6_6449 Depth=4
	s_or_saveexec_b32 s63, s63
	v_mov_b32_e32 v51, 0x7f800001
	s_xor_b32 exec_lo, exec_lo, s63
	s_cbranch_execz .LBB6_7315
.LBB6_7690:                             ;   in Loop: Header=BB6_6449 Depth=4
	v_cmp_ne_u16_sdwa s72, v115, v2 src0_sel:BYTE_0 src1_sel:DWORD
	v_mov_b32_e32 v51, 0
	s_andn2_b32 s16, s16, exec_lo
	s_and_b32 s72, s72, exec_lo
	s_or_b32 s16, s16, s72
	s_or_b32 exec_lo, exec_lo, s63
	s_and_saveexec_b32 s63, s16
	s_cbranch_execnz .LBB6_7316
	s_branch .LBB6_7317
.LBB6_7691:                             ;   in Loop: Header=BB6_6449 Depth=4
	s_or_saveexec_b32 s16, s16
	v_mov_b32_e32 v115, 0x7f800001
	s_xor_b32 exec_lo, exec_lo, s16
	s_cbranch_execz .LBB6_7329
.LBB6_7692:                             ;   in Loop: Header=BB6_6449 Depth=4
	v_cmp_ne_u16_sdwa s72, v37, v2 src0_sel:BYTE_0 src1_sel:DWORD
	v_mov_b32_e32 v115, 0
	s_andn2_b32 s63, s63, exec_lo
	s_and_b32 s72, s72, exec_lo
	s_or_b32 s63, s63, s72
	s_or_b32 exec_lo, exec_lo, s16
	s_and_saveexec_b32 s16, s63
	s_cbranch_execnz .LBB6_7330
	s_branch .LBB6_7331
.LBB6_7693:                             ;   in Loop: Header=BB6_6449 Depth=4
	s_or_saveexec_b32 s63, s63
	v_mov_b32_e32 v37, 0x7f800001
	s_xor_b32 exec_lo, exec_lo, s63
	s_cbranch_execz .LBB6_7335
.LBB6_7694:                             ;   in Loop: Header=BB6_6449 Depth=4
	v_cmp_ne_u16_sdwa s72, v112, v2 src0_sel:BYTE_0 src1_sel:DWORD
	v_mov_b32_e32 v37, 0
	s_andn2_b32 s16, s16, exec_lo
	s_and_b32 s72, s72, exec_lo
	s_or_b32 s16, s16, s72
	s_or_b32 exec_lo, exec_lo, s63
	s_and_saveexec_b32 s63, s16
	s_cbranch_execnz .LBB6_7336
	s_branch .LBB6_7337
.LBB6_7695:                             ;   in Loop: Header=BB6_6449 Depth=4
	s_or_saveexec_b32 s16, s16
	v_mov_b32_e32 v112, 0x7f800001
	s_xor_b32 exec_lo, exec_lo, s16
	s_cbranch_execz .LBB6_7349
.LBB6_7696:                             ;   in Loop: Header=BB6_6449 Depth=4
	v_cmp_ne_u16_sdwa s72, v36, v2 src0_sel:BYTE_0 src1_sel:DWORD
	v_mov_b32_e32 v112, 0
	s_andn2_b32 s63, s63, exec_lo
	s_and_b32 s72, s72, exec_lo
	s_or_b32 s63, s63, s72
	s_or_b32 exec_lo, exec_lo, s16
	s_and_saveexec_b32 s16, s63
	s_cbranch_execnz .LBB6_7350
	s_branch .LBB6_7351
.LBB6_7697:                             ;   in Loop: Header=BB6_6449 Depth=4
	s_or_saveexec_b32 s63, s63
	v_mov_b32_e32 v36, 0x7f800001
	s_xor_b32 exec_lo, exec_lo, s63
	s_cbranch_execz .LBB6_7355
.LBB6_7698:                             ;   in Loop: Header=BB6_6449 Depth=4
	v_cmp_ne_u16_sdwa s72, v96, v2 src0_sel:BYTE_0 src1_sel:DWORD
	v_mov_b32_e32 v36, 0
	s_andn2_b32 s16, s16, exec_lo
	s_and_b32 s72, s72, exec_lo
	s_or_b32 s16, s16, s72
	s_or_b32 exec_lo, exec_lo, s63
	s_and_saveexec_b32 s63, s16
	s_cbranch_execnz .LBB6_7356
	s_branch .LBB6_7357
.LBB6_7699:                             ;   in Loop: Header=BB6_6449 Depth=4
	s_or_saveexec_b32 s16, s16
	v_mov_b32_e32 v96, 0x7f800001
	s_xor_b32 exec_lo, exec_lo, s16
	s_cbranch_execz .LBB6_7369
.LBB6_7700:                             ;   in Loop: Header=BB6_6449 Depth=4
	v_cmp_ne_u16_sdwa s72, v29, v2 src0_sel:BYTE_0 src1_sel:DWORD
	v_mov_b32_e32 v96, 0
	s_andn2_b32 s63, s63, exec_lo
	s_and_b32 s72, s72, exec_lo
	s_or_b32 s63, s63, s72
	s_or_b32 exec_lo, exec_lo, s16
	s_and_saveexec_b32 s16, s63
	s_cbranch_execnz .LBB6_7370
	s_branch .LBB6_7371
.LBB6_7701:                             ;   in Loop: Header=BB6_6449 Depth=4
	s_or_saveexec_b32 s63, s63
	v_mov_b32_e32 v29, 0x7f800001
	s_xor_b32 exec_lo, exec_lo, s63
	s_cbranch_execz .LBB6_7375
.LBB6_7702:                             ;   in Loop: Header=BB6_6449 Depth=4
	v_cmp_ne_u16_sdwa s72, v84, v2 src0_sel:BYTE_0 src1_sel:DWORD
	v_mov_b32_e32 v29, 0
	s_andn2_b32 s16, s16, exec_lo
	s_and_b32 s72, s72, exec_lo
	s_or_b32 s16, s16, s72
	s_or_b32 exec_lo, exec_lo, s63
	s_and_saveexec_b32 s63, s16
	s_cbranch_execnz .LBB6_7376
	s_branch .LBB6_7377
.LBB6_7703:                             ;   in Loop: Header=BB6_6449 Depth=4
	s_or_saveexec_b32 s16, s16
	v_mov_b32_e32 v84, 0x7f800001
	s_xor_b32 exec_lo, exec_lo, s16
	s_cbranch_execz .LBB6_7389
.LBB6_7704:                             ;   in Loop: Header=BB6_6449 Depth=4
	v_cmp_ne_u16_sdwa s72, v28, v2 src0_sel:BYTE_0 src1_sel:DWORD
	v_mov_b32_e32 v84, 0
	s_andn2_b32 s63, s63, exec_lo
	s_and_b32 s72, s72, exec_lo
	s_or_b32 s63, s63, s72
	s_or_b32 exec_lo, exec_lo, s16
	s_and_saveexec_b32 s16, s63
	s_cbranch_execnz .LBB6_7390
	s_branch .LBB6_7391
.LBB6_7705:                             ;   in Loop: Header=BB6_6449 Depth=4
	s_or_saveexec_b32 s63, s63
	v_mov_b32_e32 v28, 0x7f800001
	s_xor_b32 exec_lo, exec_lo, s63
	s_cbranch_execz .LBB6_7395
.LBB6_7706:                             ;   in Loop: Header=BB6_6449 Depth=4
	v_cmp_ne_u16_sdwa s72, v80, v2 src0_sel:BYTE_0 src1_sel:DWORD
	v_mov_b32_e32 v28, 0
	s_andn2_b32 s16, s16, exec_lo
	s_and_b32 s72, s72, exec_lo
	s_or_b32 s16, s16, s72
	s_or_b32 exec_lo, exec_lo, s63
	s_and_saveexec_b32 s63, s16
	s_cbranch_execnz .LBB6_7396
	s_branch .LBB6_7397
.LBB6_7707:                             ;   in Loop: Header=BB6_6449 Depth=4
	s_or_saveexec_b32 s16, s16
	v_mov_b32_e32 v80, 0x7f800001
	s_xor_b32 exec_lo, exec_lo, s16
	s_cbranch_execz .LBB6_7409
.LBB6_7708:                             ;   in Loop: Header=BB6_6449 Depth=4
	v_cmp_ne_u16_sdwa s72, v25, v2 src0_sel:BYTE_0 src1_sel:DWORD
	v_mov_b32_e32 v80, 0
	s_andn2_b32 s63, s63, exec_lo
	s_and_b32 s72, s72, exec_lo
	s_or_b32 s63, s63, s72
	s_or_b32 exec_lo, exec_lo, s16
	s_and_saveexec_b32 s16, s63
	s_cbranch_execnz .LBB6_7410
	s_branch .LBB6_7411
.LBB6_7709:                             ;   in Loop: Header=BB6_6449 Depth=4
	s_or_saveexec_b32 s63, s63
	v_mov_b32_e32 v25, 0x7f800001
	s_xor_b32 exec_lo, exec_lo, s63
	s_cbranch_execz .LBB6_7415
.LBB6_7710:                             ;   in Loop: Header=BB6_6449 Depth=4
	v_cmp_ne_u16_sdwa s72, v54, v2 src0_sel:BYTE_0 src1_sel:DWORD
	v_mov_b32_e32 v25, 0
	s_andn2_b32 s16, s16, exec_lo
	s_and_b32 s72, s72, exec_lo
	s_or_b32 s16, s16, s72
	s_or_b32 exec_lo, exec_lo, s63
	s_and_saveexec_b32 s63, s16
	s_cbranch_execnz .LBB6_7416
	s_branch .LBB6_7417
.LBB6_7711:                             ;   in Loop: Header=BB6_6449 Depth=4
	s_or_saveexec_b32 s16, s16
	v_mov_b32_e32 v54, 0x7f800001
	s_xor_b32 exec_lo, exec_lo, s16
	s_cbranch_execz .LBB6_7429
.LBB6_7712:                             ;   in Loop: Header=BB6_6449 Depth=4
	v_cmp_ne_u16_sdwa s72, v24, v2 src0_sel:BYTE_0 src1_sel:DWORD
	v_mov_b32_e32 v54, 0
	s_andn2_b32 s63, s63, exec_lo
	s_and_b32 s72, s72, exec_lo
	s_or_b32 s63, s63, s72
	s_or_b32 exec_lo, exec_lo, s16
	s_and_saveexec_b32 s16, s63
	s_cbranch_execnz .LBB6_7430
	s_branch .LBB6_7431
.LBB6_7713:                             ;   in Loop: Header=BB6_6449 Depth=4
	s_or_saveexec_b32 s63, s63
	v_mov_b32_e32 v24, 0x7f800001
	s_xor_b32 exec_lo, exec_lo, s63
	s_cbranch_execz .LBB6_7435
.LBB6_7714:                             ;   in Loop: Header=BB6_6449 Depth=4
	v_cmp_ne_u16_sdwa s72, v50, v2 src0_sel:BYTE_0 src1_sel:DWORD
	v_mov_b32_e32 v24, 0
	s_andn2_b32 s16, s16, exec_lo
	s_and_b32 s72, s72, exec_lo
	s_or_b32 s16, s16, s72
	s_or_b32 exec_lo, exec_lo, s63
	s_and_saveexec_b32 s63, s16
	s_cbranch_execnz .LBB6_7436
	s_branch .LBB6_7437
.LBB6_7715:                             ;   in Loop: Header=BB6_6449 Depth=4
	s_or_saveexec_b32 s63, s63
	v_mov_b32_e32 v50, 0x7f800001
	s_xor_b32 exec_lo, exec_lo, s63
	s_cbranch_execz .LBB6_7449
.LBB6_7716:                             ;   in Loop: Header=BB6_6449 Depth=4
	v_cmp_ne_u16_sdwa s72, v21, v2 src0_sel:BYTE_0 src1_sel:DWORD
	v_mov_b32_e32 v50, 0
	s_andn2_b32 s16, s16, exec_lo
	s_and_b32 s72, s72, exec_lo
	s_or_b32 s16, s16, s72
	s_or_b32 exec_lo, exec_lo, s63
	s_and_saveexec_b32 s63, s16
	s_cbranch_execnz .LBB6_7450
	s_branch .LBB6_7451
.LBB6_7717:                             ;   in Loop: Header=BB6_6449 Depth=4
	s_or_saveexec_b32 s63, s63
	v_mov_b32_e32 v21, 0x7f800001
	s_xor_b32 exec_lo, exec_lo, s63
	s_cbranch_execz .LBB6_7455
.LBB6_7718:                             ;   in Loop: Header=BB6_6449 Depth=4
	v_cmp_ne_u16_sdwa s72, v30, v2 src0_sel:BYTE_0 src1_sel:DWORD
	v_mov_b32_e32 v21, 0
	s_andn2_b32 s16, s16, exec_lo
	s_and_b32 s72, s72, exec_lo
	s_or_b32 s16, s16, s72
	s_or_b32 exec_lo, exec_lo, s63
	s_and_saveexec_b32 s63, s16
	s_cbranch_execnz .LBB6_7456
	s_branch .LBB6_7457
.LBB6_7719:                             ;   in Loop: Header=BB6_6449 Depth=4
	s_or_saveexec_b32 s63, s63
	v_mov_b32_e32 v30, 0x7f800001
	s_xor_b32 exec_lo, exec_lo, s63
	s_cbranch_execz .LBB6_7469
.LBB6_7720:                             ;   in Loop: Header=BB6_6449 Depth=4
	v_cmp_ne_u16_sdwa s72, v20, v2 src0_sel:BYTE_0 src1_sel:DWORD
	v_mov_b32_e32 v30, 0
	s_andn2_b32 s16, s16, exec_lo
	s_and_b32 s72, s72, exec_lo
	s_or_b32 s16, s16, s72
	s_or_b32 exec_lo, exec_lo, s63
	s_and_saveexec_b32 s63, s16
	s_cbranch_execnz .LBB6_7470
	s_branch .LBB6_7471
.LBB6_7721:                             ;   in Loop: Header=BB6_6449 Depth=4
	s_or_saveexec_b32 s63, s63
	v_mov_b32_e32 v20, 0x7f800001
	s_xor_b32 exec_lo, exec_lo, s63
	s_cbranch_execz .LBB6_7475
.LBB6_7722:                             ;   in Loop: Header=BB6_6449 Depth=4
	v_cmp_ne_u16_sdwa s72, v26, v2 src0_sel:BYTE_0 src1_sel:DWORD
	v_mov_b32_e32 v20, 0
	s_andn2_b32 s16, s16, exec_lo
	s_and_b32 s72, s72, exec_lo
	s_or_b32 s16, s16, s72
	s_or_b32 exec_lo, exec_lo, s63
	s_and_saveexec_b32 s63, s16
	s_cbranch_execnz .LBB6_7476
	s_branch .LBB6_7477
.LBB6_7723:                             ;   in Loop: Header=BB6_6449 Depth=4
	s_or_saveexec_b32 s63, s63
	v_mov_b32_e32 v26, 0x7f800001
	s_xor_b32 exec_lo, exec_lo, s63
	s_cbranch_execz .LBB6_7489
.LBB6_7724:                             ;   in Loop: Header=BB6_6449 Depth=4
	v_cmp_ne_u16_sdwa s72, v15, v2 src0_sel:BYTE_0 src1_sel:DWORD
	v_mov_b32_e32 v26, 0
	s_andn2_b32 s16, s16, exec_lo
	s_and_b32 s72, s72, exec_lo
	s_or_b32 s16, s16, s72
	s_or_b32 exec_lo, exec_lo, s63
	s_and_saveexec_b32 s63, s16
	s_cbranch_execnz .LBB6_7490
	s_branch .LBB6_7491
.LBB6_7725:                             ;   in Loop: Header=BB6_6449 Depth=4
	s_or_saveexec_b32 s63, s63
	v_mov_b32_e32 v15, 0x7f800001
	s_xor_b32 exec_lo, exec_lo, s63
	s_cbranch_execz .LBB6_7495
.LBB6_7726:                             ;   in Loop: Header=BB6_6449 Depth=4
	v_cmp_ne_u16_sdwa s72, v23, v2 src0_sel:BYTE_0 src1_sel:DWORD
	v_mov_b32_e32 v15, 0
	s_andn2_b32 s16, s16, exec_lo
	s_and_b32 s72, s72, exec_lo
	s_or_b32 s16, s16, s72
	s_or_b32 exec_lo, exec_lo, s63
	s_and_saveexec_b32 s63, s16
	s_cbranch_execnz .LBB6_7496
	s_branch .LBB6_7497
.LBB6_7727:                             ;   in Loop: Header=BB6_6449 Depth=4
	s_or_saveexec_b32 s63, s63
	v_mov_b32_e32 v23, 0x7f800001
	s_xor_b32 exec_lo, exec_lo, s63
	s_cbranch_execz .LBB6_7509
.LBB6_7728:                             ;   in Loop: Header=BB6_6449 Depth=4
	v_cmp_ne_u16_sdwa s72, v14, v2 src0_sel:BYTE_0 src1_sel:DWORD
	v_mov_b32_e32 v23, 0
	s_andn2_b32 s16, s16, exec_lo
	s_and_b32 s72, s72, exec_lo
	s_or_b32 s16, s16, s72
	s_or_b32 exec_lo, exec_lo, s63
	s_and_saveexec_b32 s63, s16
	s_cbranch_execnz .LBB6_7510
	s_branch .LBB6_7511
.LBB6_7729:                             ;   in Loop: Header=BB6_6449 Depth=4
	s_or_saveexec_b32 s63, s63
	v_mov_b32_e32 v14, 0x7f800001
	s_xor_b32 exec_lo, exec_lo, s63
	s_cbranch_execz .LBB6_7515
.LBB6_7730:                             ;   in Loop: Header=BB6_6449 Depth=4
	v_cmp_ne_u16_sdwa s72, v19, v2 src0_sel:BYTE_0 src1_sel:DWORD
	v_mov_b32_e32 v14, 0
	s_andn2_b32 s16, s16, exec_lo
	s_and_b32 s72, s72, exec_lo
	s_or_b32 s16, s16, s72
	s_or_b32 exec_lo, exec_lo, s63
	s_and_saveexec_b32 s63, s16
	s_cbranch_execnz .LBB6_7516
	s_branch .LBB6_7517
.LBB6_7731:                             ;   in Loop: Header=BB6_6449 Depth=4
	s_or_saveexec_b32 s63, s63
	v_mov_b32_e32 v19, 0x7f800001
	s_xor_b32 exec_lo, exec_lo, s63
	s_cbranch_execz .LBB6_7529
.LBB6_7732:                             ;   in Loop: Header=BB6_6449 Depth=4
	v_cmp_ne_u16_sdwa s72, v7, v2 src0_sel:BYTE_0 src1_sel:DWORD
	v_mov_b32_e32 v19, 0
	s_andn2_b32 s16, s16, exec_lo
	s_and_b32 s72, s72, exec_lo
	s_or_b32 s16, s16, s72
	s_or_b32 exec_lo, exec_lo, s63
	s_and_saveexec_b32 s63, s16
	s_cbranch_execnz .LBB6_7530
	s_branch .LBB6_7531
.LBB6_7733:                             ;   in Loop: Header=BB6_6449 Depth=4
	s_or_saveexec_b32 s63, s63
	v_mov_b32_e32 v7, 0x7f800001
	s_xor_b32 exec_lo, exec_lo, s63
	s_cbranch_execz .LBB6_7535
.LBB6_7734:                             ;   in Loop: Header=BB6_6449 Depth=4
	v_cmp_ne_u16_sdwa s72, v6, v2 src0_sel:BYTE_0 src1_sel:DWORD
	v_mov_b32_e32 v7, 0
	s_andn2_b32 s16, s16, exec_lo
	s_and_b32 s72, s72, exec_lo
	s_or_b32 s16, s16, s72
	s_or_b32 exec_lo, exec_lo, s63
	s_and_saveexec_b32 s63, s16
	s_cbranch_execnz .LBB6_7536
	s_branch .LBB6_7537
.LBB6_7735:                             ;   in Loop: Header=BB6_3138 Depth=3
	s_or_b32 exec_lo, exec_lo, s62
.LBB6_7736:                             ;   in Loop: Header=BB6_3138 Depth=3
	s_or_b32 exec_lo, exec_lo, s61
	v_lshlrev_b32_e32 v6, 10, v17
	v_cmp_ne_u32_e32 vcc_lo, v1, v6
	s_and_b32 exec_lo, exec_lo, vcc_lo
	s_cbranch_execz .LBB6_7788
; %bb.7737:                             ;   in Loop: Header=BB6_3138 Depth=3
	v_lshlrev_b32_e32 v5, 5, v5
	v_sub_nc_u32_e32 v4, v4, v5
	v_lshlrev_b32_e32 v5, 5, v16
	v_sub_nc_u32_e32 v4, v4, v5
	v_add_nc_u32_e32 v4, v6, v4
	v_sub_nc_u32_e32 v1, v1, v4
	v_cmp_lt_i32_e32 vcc_lo, 0, v1
	s_and_b32 exec_lo, exec_lo, vcc_lo
	s_cbranch_execz .LBB6_7788
; %bb.7738:                             ;   in Loop: Header=BB6_3138 Depth=3
	s_trap 2
	ds_read_b128 v[8:11], v0
	ds_read_b64 v[5:6], v0
	v_add_nc_u32_e32 v0, v4, v0
	s_mov_b32 s61, 0
	v_ashrrev_i32_e32 v4, 31, v0
	s_waitcnt lgkmcnt(1)
	v_add_co_u32 v8, vcc_lo, v8, v0
	v_add_co_ci_u32_e64 v9, null, v9, v4, vcc_lo
	v_add_co_u32 v10, vcc_lo, v10, v0
	v_add_co_ci_u32_e64 v11, null, v11, v4, vcc_lo
	s_waitcnt lgkmcnt(0)
	v_add_co_u32 v12, vcc_lo, v5, v0
	v_add_co_ci_u32_e64 v13, null, v6, v4, vcc_lo
	s_branch .LBB6_7742
.LBB6_7739:                             ;   in Loop: Header=BB6_7742 Depth=4
	s_or_b32 exec_lo, exec_lo, s16
	v_lshrrev_b32_e32 v5, 21, v5
	v_cmp_gt_i32_e32 vcc_lo, 32, v4
	v_min_i32_e32 v6, 31, v4
	v_and_b32_sdwa v0, v0, v117 dst_sel:DWORD dst_unused:UNUSED_PAD src0_sel:BYTE_3 src1_sel:DWORD
	v_cndmask_b32_e32 v5, 3, v5, vcc_lo
	v_lshlrev_b32_e32 v6, 2, v6
	v_and_b32_e32 v7, 3, v5
	v_or_b32_e32 v4, v4, v5
	v_or3_b32 v0, v6, v0, v7
	v_cmp_ne_u32_e32 vcc_lo, 0, v4
	v_cndmask_b32_e32 v4, 0, v0, vcc_lo
.LBB6_7740:                             ;   in Loop: Header=BB6_7742 Depth=4
	s_or_b32 exec_lo, exec_lo, s63
.LBB6_7741:                             ;   in Loop: Header=BB6_7742 Depth=4
	s_or_b32 exec_lo, exec_lo, s62
	v_sub_nc_u32_e32 v1, v1, v114
	v_add_co_u32 v8, vcc_lo, v8, v114
	v_add_co_ci_u32_e64 v9, null, 0, v9, vcc_lo
	v_add_co_u32 v10, vcc_lo, v10, v114
	flat_store_byte v[12:13], v4 glc slc
	v_add_co_ci_u32_e64 v11, null, 0, v11, vcc_lo
	v_cmp_gt_i32_e32 vcc_lo, 1, v1
	v_add_co_u32 v12, s16, v12, v114
	v_add_co_ci_u32_e64 v13, null, 0, v13, s16
	s_or_b32 s61, vcc_lo, s61
	s_andn2_b32 exec_lo, exec_lo, s61
	s_cbranch_execz .LBB6_7788
.LBB6_7742:                             ;   Parent Loop BB6_47 Depth=1
                                        ;     Parent Loop BB6_3135 Depth=2
                                        ;       Parent Loop BB6_3138 Depth=3
                                        ; =>      This Inner Loop Header: Depth=4
	s_trap 2
	ds_read_b64 v[14:15], v0
	s_waitcnt lgkmcnt(0)
	v_readfirstlane_b32 s16, v14
	s_and_b32 s62, s16, 0xff
	s_cmpk_lt_i32 s62, 0x80
	s_cbranch_scc1 .LBB6_7746
; %bb.7743:                             ;   in Loop: Header=BB6_7742 Depth=4
	s_and_b32 s63, 0xffff, s62
	s_cmpk_eq_i32 s63, 0x80
	s_mov_b32 s63, -1
	s_cbranch_scc0 .LBB6_7745
; %bb.7744:                             ;   in Loop: Header=BB6_7742 Depth=4
	s_mov_b32 s63, 0
.LBB6_7745:                             ;   in Loop: Header=BB6_7742 Depth=4
	s_mov_b32 s72, 0x7f800001
	s_branch .LBB6_7748
.LBB6_7746:                             ;   in Loop: Header=BB6_7742 Depth=4
	s_mov_b32 s63, 0
	s_mov_b32 s72, 0x7f800001
	s_cbranch_execz .LBB6_7748
; %bb.7747:                             ;   in Loop: Header=BB6_7742 Depth=4
	s_and_b32 s62, 0xffff, s62
	s_mov_b32 s72, 0
	s_cmp_lg_u32 s62, 0
	s_cselect_b32 s63, -1, 0
.LBB6_7748:                             ;   in Loop: Header=BB6_7742 Depth=4
	v_mov_b32_e32 v0, s72
	s_andn2_b32 vcc_lo, exec_lo, s63
	s_cbranch_vccnz .LBB6_7750
; %bb.7749:                             ;   in Loop: Header=BB6_7742 Depth=4
	s_and_b32 s62, s16, 3
	s_bfe_u32 s72, s16, 0x50002
	s_flbit_i32_b32 s63, s62
	v_lshlrev_b32_e32 v0, 24, v14
	s_min_u32 s63, s63, 32
	s_sub_i32 s73, s63, 29
	s_sub_i32 s63, 30, s63
	s_lshl_b32 s16, s16, s73
	v_and_b32_e32 v0, 0x80000000, v0
	s_and_b32 s16, s16, 3
	s_cmp_eq_u32 s72, 0
	s_cselect_b32 s63, s63, s72
	s_cselect_b32 s16, s16, s62
	s_lshl_b32 s62, s63, 23
	s_lshl_b32 s16, s16, 21
	s_add_i32 s62, s62, 0x37800000
	v_or_b32_e32 v0, s62, v0
	v_or_b32_e32 v0, s16, v0
.LBB6_7750:                             ;   in Loop: Header=BB6_7742 Depth=4
	flat_load_ubyte v4, v[8:9] slc
	s_mov_b32 s16, 0
	s_mov_b32 s62, exec_lo
	s_waitcnt vmcnt(0) lgkmcnt(0)
	v_cmpx_lt_i16_e32 0x7f, v4
	s_xor_b32 s62, exec_lo, s62
	s_cbranch_execz .LBB6_7782
; %bb.7751:                             ;   in Loop: Header=BB6_7742 Depth=4
	s_mov_b32 s16, -1
	s_mov_b32 s63, exec_lo
	v_cmpx_eq_u16_e32 0x80, v4
; %bb.7752:                             ;   in Loop: Header=BB6_7742 Depth=4
	s_xor_b32 s16, exec_lo, -1
; %bb.7753:                             ;   in Loop: Header=BB6_7742 Depth=4
	s_or_b32 exec_lo, exec_lo, s63
	s_and_b32 s16, s16, exec_lo
	s_or_saveexec_b32 s62, s62
	v_mov_b32_e32 v5, 0x7f800001
	s_xor_b32 exec_lo, exec_lo, s62
	s_cbranch_execnz .LBB6_7783
.LBB6_7754:                             ;   in Loop: Header=BB6_7742 Depth=4
	s_or_b32 exec_lo, exec_lo, s62
	s_and_saveexec_b32 s62, s16
	s_cbranch_execz .LBB6_7756
.LBB6_7755:                             ;   in Loop: Header=BB6_7742 Depth=4
	v_and_b32_e32 v5, 0xffff, v4
	v_lshlrev_b32_e32 v4, 24, v4
	v_and_b32_e32 v6, 3, v5
	v_bfe_u32 v15, v5, 2, 5
	v_and_b32_e32 v4, 0x80000000, v4
	v_ffbh_u32_e32 v7, v6
	v_cmp_eq_u32_e32 vcc_lo, 0, v15
	v_min_u32_e32 v7, 32, v7
	v_subrev_nc_u32_e32 v14, 29, v7
	v_sub_nc_u32_e32 v7, 30, v7
	v_lshlrev_b32_e32 v5, v14, v5
	v_cndmask_b32_e32 v7, v15, v7, vcc_lo
	v_and_b32_e32 v5, 3, v5
	v_cndmask_b32_e32 v5, v6, v5, vcc_lo
	v_lshl_add_u32 v6, v7, 23, 0x37800000
	v_lshlrev_b32_e32 v5, 21, v5
	v_or3_b32 v5, v4, v6, v5
.LBB6_7756:                             ;   in Loop: Header=BB6_7742 Depth=4
	s_or_b32 exec_lo, exec_lo, s62
	v_mul_f32_e32 v0, v0, v5
	v_mov_b32_e32 v5, 0x80
	s_mov_b32 s62, exec_lo
	v_and_b32_e32 v4, 0x7f800000, v0
	v_cmpx_ne_u32_e32 0x7f800000, v4
	s_cbranch_execz .LBB6_7764
; %bb.7757:                             ;   in Loop: Header=BB6_7742 Depth=4
	v_mov_b32_e32 v5, 0
	s_mov_b32 s63, exec_lo
	v_cmpx_ne_u32_e32 0, v0
	s_cbranch_execz .LBB6_7763
; %bb.7758:                             ;   in Loop: Header=BB6_7742 Depth=4
	v_bfe_u32 v4, v0, 23, 8
	v_and_b32_e32 v5, 0x7fffff, v0
	v_sub_nc_u32_e32 v6, 0x70, v4
	v_cmp_gt_u32_e32 vcc_lo, 0x71, v4
	v_or_b32_e32 v7, 0x800000, v5
	v_cndmask_b32_e32 v6, 0, v6, vcc_lo
	v_cmp_eq_u32_e32 vcc_lo, 0, v4
	v_add_nc_u32_e32 v4, 0xffffff91, v4
	v_cndmask_b32_e64 v6, v6, 0x6f, vcc_lo
	v_cndmask_b32_e32 v5, v7, v5, vcc_lo
	v_cndmask_b32_e64 v4, v4, 0xffffff92, vcc_lo
	v_lshl_add_u32 v7, 0x200000, v6, -1
	v_lshrrev_b32_e32 v14, v6, v5
	v_lshlrev_b32_e64 v16, v6, 0x100000
	v_add_nc_u32_e32 v6, v6, v4
	v_and_b32_e32 v5, v7, v5
	v_bfe_u32 v15, v14, 21, 1
	v_cmp_eq_u32_e64 s16, v5, v16
	v_add_nc_u32_e32 v7, -1, v15
	v_cndmask_b32_e64 v5, 0, v7, s16
	v_lshrrev_b32_e32 v7, 23, v14
	s_mov_b32 s16, exec_lo
	v_add_nc_u32_e32 v5, v5, v14
	v_xor_b32_e32 v7, 1, v7
	v_and_b32_e32 v4, 0x1fffff, v5
	v_add_nc_u32_e32 v5, v4, v14
                                        ; implicit-def: $vgpr4
	v_cmpx_ne_u32_e64 v6, v7
	s_xor_b32 s16, exec_lo, s16
; %bb.7759:                             ;   in Loop: Header=BB6_7742 Depth=4
	v_cmp_lt_u32_e32 vcc_lo, 0xffffff, v5
	v_sub_nc_u32_e32 v4, v6, v7
	v_cndmask_b32_e64 v6, 0, 1, vcc_lo
	v_add_co_ci_u32_e64 v4, null, 0, v4, vcc_lo
	v_lshrrev_b32_e32 v5, v6, v5
; %bb.7760:                             ;   in Loop: Header=BB6_7742 Depth=4
	s_andn2_saveexec_b32 s16, s16
; %bb.7761:                             ;   in Loop: Header=BB6_7742 Depth=4
	v_bfe_u32 v4, v5, 23, 1
; %bb.7762:                             ;   in Loop: Header=BB6_7742 Depth=4
	s_or_b32 exec_lo, exec_lo, s16
	v_lshrrev_b32_e32 v5, 21, v5
	v_cmp_gt_i32_e32 vcc_lo, 32, v4
	v_min_i32_e32 v6, 31, v4
	v_and_b32_sdwa v0, v0, v117 dst_sel:DWORD dst_unused:UNUSED_PAD src0_sel:BYTE_3 src1_sel:DWORD
	v_cndmask_b32_e32 v5, 3, v5, vcc_lo
	v_lshlrev_b32_e32 v6, 2, v6
	v_and_b32_e32 v7, 3, v5
	v_or_b32_e32 v4, v4, v5
	v_or3_b32 v0, v6, v0, v7
	v_cmp_ne_u32_e32 vcc_lo, 0, v4
	v_cndmask_b32_e32 v5, 0, v0, vcc_lo
.LBB6_7763:                             ;   in Loop: Header=BB6_7742 Depth=4
	s_or_b32 exec_lo, exec_lo, s63
.LBB6_7764:                             ;   in Loop: Header=BB6_7742 Depth=4
	s_or_b32 exec_lo, exec_lo, s62
	flat_load_ubyte v0, v[10:11] slc
	v_cmp_gt_i16_sdwa s62, v5, v116 src0_sel:BYTE_0 src1_sel:DWORD
	s_mov_b32 s16, 0
	s_and_saveexec_b32 s63, s62
	s_xor_b32 s62, exec_lo, s63
	s_cbranch_execz .LBB6_7784
; %bb.7765:                             ;   in Loop: Header=BB6_7742 Depth=4
	v_cmp_eq_u16_sdwa s72, v5, v117 src0_sel:BYTE_0 src1_sel:DWORD
	s_mov_b32 s16, -1
	s_and_saveexec_b32 s63, s72
; %bb.7766:                             ;   in Loop: Header=BB6_7742 Depth=4
	s_xor_b32 s16, exec_lo, -1
; %bb.7767:                             ;   in Loop: Header=BB6_7742 Depth=4
	s_or_b32 exec_lo, exec_lo, s63
	s_and_b32 s16, s16, exec_lo
	s_or_saveexec_b32 s62, s62
	v_mov_b32_e32 v4, 0x7f800001
	s_xor_b32 exec_lo, exec_lo, s62
	s_cbranch_execnz .LBB6_7785
.LBB6_7768:                             ;   in Loop: Header=BB6_7742 Depth=4
	s_or_b32 exec_lo, exec_lo, s62
	s_and_saveexec_b32 s62, s16
	s_cbranch_execz .LBB6_7770
.LBB6_7769:                             ;   in Loop: Header=BB6_7742 Depth=4
	v_and_b32_e32 v4, 3, v5
	v_lshrrev_b16 v7, 2, v5
	v_ffbh_u32_e32 v6, v4
	v_and_b32_e32 v7, 31, v7
	v_min_u32_e32 v6, 32, v6
	v_cmp_eq_u32_e32 vcc_lo, 0, v7
	v_subrev_nc_u32_e32 v14, 29, v6
	v_sub_nc_u32_e32 v6, 30, v6
	v_lshlrev_b32_e32 v14, v14, v5
	v_lshlrev_b32_e32 v5, 24, v5
	v_cndmask_b32_e32 v6, v7, v6, vcc_lo
	v_and_b32_e32 v14, 3, v14
	v_and_b32_e32 v5, 0x80000000, v5
	v_lshl_add_u32 v6, v6, 23, 0x37800000
	v_cndmask_b32_e32 v4, v4, v14, vcc_lo
	v_lshlrev_b32_e32 v4, 21, v4
	v_or3_b32 v4, v5, v6, v4
.LBB6_7770:                             ;   in Loop: Header=BB6_7742 Depth=4
	s_or_b32 exec_lo, exec_lo, s62
	s_waitcnt vmcnt(0) lgkmcnt(0)
	v_cmp_gt_i16_sdwa s62, v0, v116 src0_sel:BYTE_0 src1_sel:DWORD
	s_mov_b32 s16, 0
	s_and_saveexec_b32 s63, s62
	s_xor_b32 s62, exec_lo, s63
	s_cbranch_execz .LBB6_7786
; %bb.7771:                             ;   in Loop: Header=BB6_7742 Depth=4
	v_cmp_eq_u16_sdwa s72, v0, v117 src0_sel:BYTE_0 src1_sel:DWORD
	s_mov_b32 s16, -1
	s_and_saveexec_b32 s63, s72
; %bb.7772:                             ;   in Loop: Header=BB6_7742 Depth=4
	s_xor_b32 s16, exec_lo, -1
; %bb.7773:                             ;   in Loop: Header=BB6_7742 Depth=4
	s_or_b32 exec_lo, exec_lo, s63
	s_and_b32 s16, s16, exec_lo
	s_or_saveexec_b32 s62, s62
	v_mov_b32_e32 v5, 0x7f800001
	s_xor_b32 exec_lo, exec_lo, s62
	s_cbranch_execnz .LBB6_7787
.LBB6_7774:                             ;   in Loop: Header=BB6_7742 Depth=4
	s_or_b32 exec_lo, exec_lo, s62
	s_and_saveexec_b32 s62, s16
	s_cbranch_execz .LBB6_7776
.LBB6_7775:                             ;   in Loop: Header=BB6_7742 Depth=4
	v_and_b32_e32 v5, 3, v0
	v_lshrrev_b16 v7, 2, v0
	v_ffbh_u32_e32 v6, v5
	v_and_b32_e32 v7, 31, v7
	v_min_u32_e32 v6, 32, v6
	v_cmp_eq_u32_e32 vcc_lo, 0, v7
	v_subrev_nc_u32_e32 v14, 29, v6
	v_sub_nc_u32_e32 v6, 30, v6
	v_lshlrev_b32_e32 v14, v14, v0
	v_lshlrev_b32_e32 v0, 24, v0
	v_cndmask_b32_e32 v6, v7, v6, vcc_lo
	v_and_b32_e32 v14, 3, v14
	v_and_b32_e32 v0, 0x80000000, v0
	v_lshl_add_u32 v6, v6, 23, 0x37800000
	v_cndmask_b32_e32 v5, v5, v14, vcc_lo
	v_lshlrev_b32_e32 v5, 21, v5
	v_or3_b32 v5, v0, v6, v5
.LBB6_7776:                             ;   in Loop: Header=BB6_7742 Depth=4
	s_or_b32 exec_lo, exec_lo, s62
	v_add_f32_e32 v0, v4, v5
	v_and_b32_e32 v4, 0x7f800000, v0
	v_cmp_ne_u32_e32 vcc_lo, 0x7f800000, v4
	v_mov_b32_e32 v4, 0x80
	s_and_saveexec_b32 s62, vcc_lo
	s_cbranch_execz .LBB6_7741
; %bb.7777:                             ;   in Loop: Header=BB6_7742 Depth=4
	v_mov_b32_e32 v4, 0
	s_mov_b32 s63, exec_lo
	v_cmpx_ne_u32_e32 0, v0
	s_cbranch_execz .LBB6_7740
; %bb.7778:                             ;   in Loop: Header=BB6_7742 Depth=4
	v_bfe_u32 v4, v0, 23, 8
	v_and_b32_e32 v5, 0x7fffff, v0
	v_sub_nc_u32_e32 v6, 0x70, v4
	v_cmp_gt_u32_e32 vcc_lo, 0x71, v4
	v_or_b32_e32 v7, 0x800000, v5
	v_cndmask_b32_e32 v6, 0, v6, vcc_lo
	v_cmp_eq_u32_e32 vcc_lo, 0, v4
	v_add_nc_u32_e32 v4, 0xffffff91, v4
	v_cndmask_b32_e64 v6, v6, 0x6f, vcc_lo
	v_cndmask_b32_e32 v5, v7, v5, vcc_lo
	v_cndmask_b32_e64 v4, v4, 0xffffff92, vcc_lo
	v_lshl_add_u32 v7, 0x200000, v6, -1
	v_lshrrev_b32_e32 v14, v6, v5
	v_lshlrev_b32_e64 v16, v6, 0x100000
	v_add_nc_u32_e32 v6, v6, v4
	v_and_b32_e32 v5, v7, v5
	v_bfe_u32 v15, v14, 21, 1
	v_cmp_eq_u32_e64 s16, v5, v16
	v_add_nc_u32_e32 v7, -1, v15
	v_cndmask_b32_e64 v5, 0, v7, s16
	v_lshrrev_b32_e32 v7, 23, v14
	s_mov_b32 s16, exec_lo
	v_add_nc_u32_e32 v5, v5, v14
	v_xor_b32_e32 v7, 1, v7
	v_and_b32_e32 v4, 0x1fffff, v5
	v_add_nc_u32_e32 v5, v4, v14
                                        ; implicit-def: $vgpr4
	v_cmpx_ne_u32_e64 v6, v7
	s_xor_b32 s16, exec_lo, s16
; %bb.7779:                             ;   in Loop: Header=BB6_7742 Depth=4
	v_cmp_lt_u32_e32 vcc_lo, 0xffffff, v5
	v_sub_nc_u32_e32 v4, v6, v7
	v_cndmask_b32_e64 v6, 0, 1, vcc_lo
	v_add_co_ci_u32_e64 v4, null, 0, v4, vcc_lo
	v_lshrrev_b32_e32 v5, v6, v5
; %bb.7780:                             ;   in Loop: Header=BB6_7742 Depth=4
	s_andn2_saveexec_b32 s16, s16
	s_cbranch_execz .LBB6_7739
; %bb.7781:                             ;   in Loop: Header=BB6_7742 Depth=4
	v_bfe_u32 v4, v5, 23, 1
	s_branch .LBB6_7739
.LBB6_7782:                             ;   in Loop: Header=BB6_7742 Depth=4
	s_or_saveexec_b32 s62, s62
	v_mov_b32_e32 v5, 0x7f800001
	s_xor_b32 exec_lo, exec_lo, s62
	s_cbranch_execz .LBB6_7754
.LBB6_7783:                             ;   in Loop: Header=BB6_7742 Depth=4
	v_cmp_ne_u16_e32 vcc_lo, 0, v4
	v_mov_b32_e32 v5, 0
	s_andn2_b32 s16, s16, exec_lo
	s_and_b32 s63, vcc_lo, exec_lo
	s_or_b32 s16, s16, s63
	s_or_b32 exec_lo, exec_lo, s62
	s_and_saveexec_b32 s62, s16
	s_cbranch_execnz .LBB6_7755
	s_branch .LBB6_7756
.LBB6_7784:                             ;   in Loop: Header=BB6_7742 Depth=4
	s_or_saveexec_b32 s62, s62
	v_mov_b32_e32 v4, 0x7f800001
	s_xor_b32 exec_lo, exec_lo, s62
	s_cbranch_execz .LBB6_7768
.LBB6_7785:                             ;   in Loop: Header=BB6_7742 Depth=4
	v_cmp_ne_u16_sdwa s63, v5, v2 src0_sel:BYTE_0 src1_sel:DWORD
	v_mov_b32_e32 v4, 0
	s_andn2_b32 s16, s16, exec_lo
	s_and_b32 s63, s63, exec_lo
	s_or_b32 s16, s16, s63
	s_or_b32 exec_lo, exec_lo, s62
	s_and_saveexec_b32 s62, s16
	s_cbranch_execnz .LBB6_7769
	s_branch .LBB6_7770
.LBB6_7786:                             ;   in Loop: Header=BB6_7742 Depth=4
	s_or_saveexec_b32 s62, s62
	v_mov_b32_e32 v5, 0x7f800001
	s_xor_b32 exec_lo, exec_lo, s62
	s_cbranch_execz .LBB6_7774
.LBB6_7787:                             ;   in Loop: Header=BB6_7742 Depth=4
	v_cmp_ne_u16_sdwa s63, v0, v2 src0_sel:BYTE_0 src1_sel:DWORD
	v_mov_b32_e32 v5, 0
	s_andn2_b32 s16, s16, exec_lo
	s_and_b32 s63, s63, exec_lo
	s_or_b32 s16, s16, s63
	s_or_b32 exec_lo, exec_lo, s62
	s_and_saveexec_b32 s62, s16
	s_cbranch_execnz .LBB6_7775
	s_branch .LBB6_7776
.LBB6_7788:                             ;   in Loop: Header=BB6_3138 Depth=3
	s_or_b32 exec_lo, exec_lo, s17
	v_cmp_lt_i32_e64 s16, 0, v3
	s_and_saveexec_b32 s17, s6
	s_cbranch_execnz .LBB6_7789
; %bb.17797:                            ;   in Loop: Header=BB6_3138 Depth=3
	s_getpc_b64 s[34:35]
.Lpost_getpc36:
	s_add_u32 s34, s34, (.LBB6_3213-.Lpost_getpc36)&4294967295
	s_addc_u32 s35, s35, (.LBB6_3213-.Lpost_getpc36)>>32
	s_setpc_b64 s[34:35]
.LBB6_7789:                             ;   in Loop: Header=BB6_3138 Depth=3
	s_and_saveexec_b32 s61, s29
	s_xor_b32 s61, exec_lo, s61
	s_cbranch_execz .LBB6_7804
; %bb.7790:                             ;   in Loop: Header=BB6_3138 Depth=3
	s_and_saveexec_b32 s62, s11
	s_cbranch_execz .LBB6_7803
; %bb.7791:                             ;   in Loop: Header=BB6_3138 Depth=3
	s_mov_b32 s72, exec_lo
	s_mov_b32 s63, exec_lo
	v_mbcnt_lo_u32_b32 v0, s72, 0
	s_waitcnt vmcnt(0) lgkmcnt(0)
	s_waitcnt_vscnt null, 0x0
	buffer_gl1_inv
	buffer_gl0_inv
	v_cmpx_eq_u32_e32 0, v0
	s_cbranch_execz .LBB6_7793
; %bb.7792:                             ;   in Loop: Header=BB6_3138 Depth=3
	s_bcnt1_i32_b32 s72, s72
	v_mov_b32_e32 v1, v2
	v_mov_b32_e32 v0, s72
	ds_add_u64 v0, v[0:1]
	s_trap 2
.LBB6_7793:                             ;   in Loop: Header=BB6_3138 Depth=3
	s_or_b32 exec_lo, exec_lo, s63
	s_trap 2
	ds_read_b64 v[0:1], v0
	s_waitcnt lgkmcnt(0)
	buffer_gl0_inv
	v_add_co_u32 v38, vcc_lo, v38, v103
	v_add_co_ci_u32_e64 v39, null, 0, v39, vcc_lo
	s_mov_b32 s63, exec_lo
	v_cmpx_lt_u64_e64 v[0:1], v[38:39]
	s_cbranch_execz .LBB6_7802
; %bb.7794:                             ;   in Loop: Header=BB6_3138 Depth=3
	s_mov_b32 s72, 0
	s_mov_b32 s75, 0
                                        ; implicit-def: $sgpr73
                                        ; implicit-def: $sgpr74
	s_inst_prefetch 0x1
	s_branch .LBB6_7796
	.p2align	6
.LBB6_7795:                             ;   in Loop: Header=BB6_7796 Depth=4
	s_or_b32 exec_lo, exec_lo, s77
	s_and_b32 s76, exec_lo, s78
	s_or_b32 s72, s76, s72
	s_andn2_b32 s73, s73, exec_lo
	s_and_b32 s76, s74, exec_lo
	s_or_b32 s73, s73, s76
	s_andn2_b32 exec_lo, exec_lo, s72
	s_cbranch_execz .LBB6_7800
.LBB6_7796:                             ;   Parent Loop BB6_47 Depth=1
                                        ;     Parent Loop BB6_3135 Depth=2
                                        ;       Parent Loop BB6_3138 Depth=3
                                        ; =>      This Inner Loop Header: Depth=4
	s_add_i32 s75, s75, 1
	s_cmpk_lg_i32 s75, 0x2710
	s_cselect_b32 s76, -1, 0
	s_and_b32 vcc_lo, exec_lo, s76
	s_cbranch_vccz .LBB6_7798
; %bb.7797:                             ;   in Loop: Header=BB6_7796 Depth=4
	s_mov_b32 s78, -1
	s_or_b32 s74, s74, exec_lo
	s_and_saveexec_b32 s77, s76
	s_cbranch_execz .LBB6_7795
	s_branch .LBB6_7799
	.p2align	6
.LBB6_7798:                             ;   in Loop: Header=BB6_7796 Depth=4
	s_trap 2
	ds_read_b64 v[0:1], v0
	s_andn2_b32 s76, s76, exec_lo
	s_mov_b32 s75, 0
	s_waitcnt lgkmcnt(0)
	flat_load_dword v0, v[0:1] glc dlc
	s_waitcnt vmcnt(0) lgkmcnt(0)
	buffer_gl1_inv
	buffer_gl0_inv
	v_cmp_eq_u32_e32 vcc_lo, 0, v0
	s_and_b32 s77, vcc_lo, exec_lo
	s_or_b32 s76, s76, s77
	s_mov_b32 s78, -1
	s_or_b32 s74, s74, exec_lo
	s_and_saveexec_b32 s77, s76
	s_cbranch_execz .LBB6_7795
.LBB6_7799:                             ;   in Loop: Header=BB6_7796 Depth=4
	s_sleep 1
	s_trap 2
	ds_read_b64 v[0:1], v0
	s_waitcnt lgkmcnt(0)
	buffer_gl0_inv
	s_andn2_b32 s74, s74, exec_lo
	v_cmp_ge_u64_e32 vcc_lo, v[0:1], v[38:39]
	s_orn2_b32 s78, vcc_lo, exec_lo
	s_branch .LBB6_7795
.LBB6_7800:                             ;   in Loop: Header=BB6_3138 Depth=3
	s_inst_prefetch 0x2
	s_or_b32 exec_lo, exec_lo, s72
	s_and_saveexec_b32 s72, s73
	s_xor_b32 s72, exec_lo, s72
	s_cbranch_execz .LBB6_7802
; %bb.7801:                             ;   in Loop: Header=BB6_3138 Depth=3
	v_mov_b32_e32 v0, 1
	ds_write_b32 v0, v0
	s_trap 2
.LBB6_7802:                             ;   in Loop: Header=BB6_3138 Depth=3
	s_or_b32 exec_lo, exec_lo, s63
	;;#ASMSTART
	s_wakeup
	;;#ASMEND
.LBB6_7803:                             ;   in Loop: Header=BB6_3138 Depth=3
	s_or_b32 exec_lo, exec_lo, s62
.LBB6_7804:                             ;   in Loop: Header=BB6_3138 Depth=3
	s_andn2_saveexec_b32 s61, s61
	s_cbranch_execz .LBB6_7806
; %bb.7805:                             ;   in Loop: Header=BB6_3138 Depth=3
	s_waitcnt vmcnt(0) lgkmcnt(0)
	s_waitcnt_vscnt null, 0x0
	buffer_gl1_inv
	buffer_gl0_inv
	s_barrier
.LBB6_7806:                             ;   in Loop: Header=BB6_3138 Depth=3
	s_or_b32 exec_lo, exec_lo, s61
	s_or_b32 exec_lo, exec_lo, s17
                                        ; implicit-def: $vgpr0
	s_and_saveexec_b32 s17, s15
	s_xor_b32 s17, exec_lo, s17
	s_cbranch_execz .LBB6_7807
; %bb.17799:                            ;   in Loop: Header=BB6_3138 Depth=3
	s_getpc_b64 s[34:35]
.Lpost_getpc37:
	s_add_u32 s34, s34, (.LBB6_3214-.Lpost_getpc37)&4294967295
	s_addc_u32 s35, s35, (.LBB6_3214-.Lpost_getpc37)>>32
	s_setpc_b64 s[34:35]
.LBB6_7807:                             ;   in Loop: Header=BB6_3138 Depth=3
	s_andn2_saveexec_b32 s16, s17
	s_cbranch_execz .LBB6_7826
.LBB6_7808:                             ;   in Loop: Header=BB6_3138 Depth=3
	s_and_saveexec_b32 s17, s29
	s_xor_b32 s17, exec_lo, s17
	s_cbranch_execz .LBB6_7823
; %bb.7809:                             ;   in Loop: Header=BB6_3138 Depth=3
	s_and_saveexec_b32 s61, s11
	s_cbranch_execz .LBB6_7822
; %bb.7810:                             ;   in Loop: Header=BB6_3138 Depth=3
	s_mov_b32 s63, exec_lo
	s_mov_b32 s62, exec_lo
	v_mbcnt_lo_u32_b32 v0, s63, 0
	;;#ASMSTART
	s_waitcnt lgkmcnt(0) vmcnt(0)
	;;#ASMEND
	v_cmpx_eq_u32_e32 0, v0
	s_cbranch_execz .LBB6_7812
; %bb.7811:                             ;   in Loop: Header=BB6_3138 Depth=3
	s_bcnt1_i32_b32 s63, s63
	v_mov_b32_e32 v1, v2
	v_mov_b32_e32 v0, s63
	s_waitcnt vmcnt(0) lgkmcnt(0)
	s_waitcnt_vscnt null, 0x0
	ds_add_u64 v0, v[0:1]
	s_trap 2
.LBB6_7812:                             ;   in Loop: Header=BB6_3138 Depth=3
	s_or_b32 exec_lo, exec_lo, s62
	s_trap 2
	ds_read_b64 v[0:1], v0
	s_waitcnt vmcnt(0) lgkmcnt(0)
	buffer_gl0_inv
	v_add_co_u32 v38, vcc_lo, v38, v103
	v_add_co_ci_u32_e64 v39, null, 0, v39, vcc_lo
	s_mov_b32 s62, exec_lo
	v_cmpx_lt_u64_e64 v[0:1], v[38:39]
	s_cbranch_execz .LBB6_7821
; %bb.7813:                             ;   in Loop: Header=BB6_3138 Depth=3
	s_mov_b32 s63, 0
	s_mov_b32 s74, 0
                                        ; implicit-def: $sgpr72
                                        ; implicit-def: $sgpr73
	s_inst_prefetch 0x1
	s_branch .LBB6_7815
	.p2align	6
.LBB6_7814:                             ;   in Loop: Header=BB6_7815 Depth=4
	s_or_b32 exec_lo, exec_lo, s76
	s_and_b32 s75, exec_lo, s77
	s_or_b32 s63, s75, s63
	s_andn2_b32 s72, s72, exec_lo
	s_and_b32 s75, s73, exec_lo
	s_or_b32 s72, s72, s75
	s_andn2_b32 exec_lo, exec_lo, s63
	s_cbranch_execz .LBB6_7819
.LBB6_7815:                             ;   Parent Loop BB6_47 Depth=1
                                        ;     Parent Loop BB6_3135 Depth=2
                                        ;       Parent Loop BB6_3138 Depth=3
                                        ; =>      This Inner Loop Header: Depth=4
	s_add_i32 s74, s74, 1
	s_cmpk_lg_i32 s74, 0x2710
	s_cselect_b32 s75, -1, 0
	s_and_b32 vcc_lo, exec_lo, s75
	s_cbranch_vccz .LBB6_7817
; %bb.7816:                             ;   in Loop: Header=BB6_7815 Depth=4
	s_mov_b32 s77, -1
	s_or_b32 s73, s73, exec_lo
	s_and_saveexec_b32 s76, s75
	s_cbranch_execz .LBB6_7814
	s_branch .LBB6_7818
	.p2align	6
.LBB6_7817:                             ;   in Loop: Header=BB6_7815 Depth=4
	s_trap 2
	ds_read_b64 v[0:1], v0
	s_andn2_b32 s75, s75, exec_lo
	s_mov_b32 s74, 0
	s_waitcnt lgkmcnt(0)
	s_waitcnt_vscnt null, 0x0
	flat_load_dword v0, v[0:1] glc dlc
	s_waitcnt vmcnt(0) lgkmcnt(0)
	buffer_gl1_inv
	buffer_gl0_inv
	v_cmp_eq_u32_e32 vcc_lo, 0, v0
	s_and_b32 s76, vcc_lo, exec_lo
	s_or_b32 s75, s75, s76
	s_mov_b32 s77, -1
	s_or_b32 s73, s73, exec_lo
	s_and_saveexec_b32 s76, s75
	s_cbranch_execz .LBB6_7814
.LBB6_7818:                             ;   in Loop: Header=BB6_7815 Depth=4
	s_sleep 1
	s_trap 2
	ds_read_b64 v[0:1], v0
	s_waitcnt lgkmcnt(0)
	buffer_gl0_inv
	s_andn2_b32 s73, s73, exec_lo
	v_cmp_ge_u64_e32 vcc_lo, v[0:1], v[38:39]
	s_orn2_b32 s77, vcc_lo, exec_lo
	s_branch .LBB6_7814
.LBB6_7819:                             ;   in Loop: Header=BB6_3138 Depth=3
	s_inst_prefetch 0x2
	s_or_b32 exec_lo, exec_lo, s63
	s_and_saveexec_b32 s63, s72
	s_xor_b32 s63, exec_lo, s63
	s_cbranch_execz .LBB6_7821
; %bb.7820:                             ;   in Loop: Header=BB6_3138 Depth=3
	v_mov_b32_e32 v0, 1
	ds_write_b32 v0, v0
	s_trap 2
.LBB6_7821:                             ;   in Loop: Header=BB6_3138 Depth=3
	s_or_b32 exec_lo, exec_lo, s62
	;;#ASMSTART
	s_wakeup
	;;#ASMEND
.LBB6_7822:                             ;   in Loop: Header=BB6_3138 Depth=3
	s_or_b32 exec_lo, exec_lo, s61
.LBB6_7823:                             ;   in Loop: Header=BB6_3138 Depth=3
	s_andn2_saveexec_b32 s17, s17
	s_cbranch_execz .LBB6_7825
; %bb.7824:                             ;   in Loop: Header=BB6_3138 Depth=3
	;;#ASMSTART
	s_waitcnt lgkmcnt(0) vmcnt(0)
	;;#ASMEND
	s_barrier
.LBB6_7825:                             ;   in Loop: Header=BB6_3138 Depth=3
	s_or_b32 exec_lo, exec_lo, s17
	v_and_b32_e32 v0, 16, v100
.LBB6_7826:                             ;   in Loop: Header=BB6_3138 Depth=3
	s_or_b32 exec_lo, exec_lo, s16
	v_cmp_ne_u32_e32 vcc_lo, 0, v0
	s_xor_b32 s16, s7, -1
	s_and_b32 s17, vcc_lo, s16
	s_and_saveexec_b32 s16, s17
	s_cbranch_execz .LBB6_7828
; %bb.7827:                             ;   in Loop: Header=BB6_3138 Depth=3
	s_clause 0x1
	buffer_load_dword v0, off, s[0:3], s33 offset:240
	buffer_load_dword v1, off, s[0:3], s33 offset:244
	v_mov_b32_e32 v3, 1
	s_waitcnt vmcnt(0) lgkmcnt(0)
	s_waitcnt_vscnt null, 0x0
	flat_store_dword v[0:1], v3
.LBB6_7828:                             ;   in Loop: Header=BB6_3138 Depth=3
	s_or_b32 exec_lo, exec_lo, s16
	v_and_b32_e32 v0, 48, v100
	s_mov_b32 s16, exec_lo
	v_cmpx_ne_u32_e32 0, v0
	s_cbranch_execnz .LBB6_7829
; %bb.17801:                            ;   in Loop: Header=BB6_3138 Depth=3
	s_getpc_b64 s[34:35]
.Lpost_getpc38:
	s_add_u32 s34, s34, (.LBB6_3137-.Lpost_getpc38)&4294967295
	s_addc_u32 s35, s35, (.LBB6_3137-.Lpost_getpc38)>>32
	s_setpc_b64 s[34:35]
.LBB6_7829:                             ;   in Loop: Header=BB6_3138 Depth=3
	v_add_co_u32 v64, vcc_lo, v64, 2
	v_add_co_ci_u32_e64 v65, null, 0, v65, vcc_lo
	s_waitcnt vmcnt(0) lgkmcnt(0)
	s_waitcnt_vscnt null, 0x0
	flat_store_dwordx2 v[32:33], v[64:65]
; %bb.17769:                            ;   in Loop: Header=BB6_3138 Depth=3
	s_getpc_b64 s[34:35]
.Lpost_getpc22:
	s_add_u32 s34, s34, (.LBB6_3137-.Lpost_getpc22)&4294967295
	s_addc_u32 s35, s35, (.LBB6_3137-.Lpost_getpc22)>>32
	s_setpc_b64 s[34:35]
.LBB6_7830:                             ;   in Loop: Header=BB6_3135 Depth=2
	s_or_b32 exec_lo, exec_lo, s21
.LBB6_7831:                             ;   in Loop: Header=BB6_3135 Depth=2
	s_or_b32 exec_lo, exec_lo, s19
	v_cmp_gt_i32_e32 vcc_lo, 2, v0
	s_mov_b32 s17, exec_lo
	s_clause 0x6
	buffer_load_dword v5, off, s[0:3], s33 offset:224
	buffer_load_dword v6, off, s[0:3], s33 offset:228
	;; [unrolled: 1-line block ×7, first 2 shown]
	s_and_b32 s16, s17, vcc_lo
	s_mov_b32 exec_lo, s16
	s_cbranch_execnz .LBB6_7832
; %bb.17803:                            ;   in Loop: Header=BB6_3135 Depth=2
	s_getpc_b64 s[34:35]
.Lpost_getpc39:
	s_add_u32 s34, s34, (.LBB6_3134-.Lpost_getpc39)&4294967295
	s_addc_u32 s35, s35, (.LBB6_3134-.Lpost_getpc39)>>32
	s_setpc_b64 s[34:35]
.LBB6_7832:                             ;   in Loop: Header=BB6_3135 Depth=2
	v_cmp_eq_u32_e64 s21, 0, v0
	s_mov_b32 s19, 0
	s_branch .LBB6_7834
.LBB6_7833:                             ;   in Loop: Header=BB6_7834 Depth=3
	s_or_b32 exec_lo, exec_lo, s16
	v_add_nc_u32_e32 v99, v68, v99
	s_mov_b32 s21, 0
	s_andn2_b32 exec_lo, exec_lo, s19
	s_cbranch_execnz .LBB6_7834
; %bb.17805:                            ;   in Loop: Header=BB6_3135 Depth=2
	s_getpc_b64 s[34:35]
.Lpost_getpc40:
	s_add_u32 s34, s34, (.LBB6_3133-.Lpost_getpc40)&4294967295
	s_addc_u32 s35, s35, (.LBB6_3133-.Lpost_getpc40)>>32
	s_setpc_b64 s[34:35]
.LBB6_7834:                             ;   Parent Loop BB6_47 Depth=1
                                        ;     Parent Loop BB6_3135 Depth=2
                                        ; =>    This Loop Header: Depth=3
                                        ;         Child Loop BB6_7840 Depth 4
                                        ;         Child Loop BB6_7868 Depth 4
	;; [unrolled: 1-line block ×3, first 2 shown]
	v_sub_nc_u32_e32 v0, v98, v99
	v_and_b32_e32 v1, 12, v100
	s_mov_b32 s22, exec_lo
	v_min_i32_e32 v68, v68, v0
	v_cmpx_ne_u32_e32 0, v1
	s_cbranch_execz .LBB6_7860
; %bb.7835:                             ;   in Loop: Header=BB6_7834 Depth=3
	v_and_b32_e32 v0, 8, v100
	s_mov_b32 s23, exec_lo
	s_waitcnt vmcnt(0) lgkmcnt(1)
	v_add_co_u32 v3, vcc_lo, v48, v0
	v_add_co_ci_u32_e64 v4, null, 0, v49, vcc_lo
	s_waitcnt vmcnt(3)
	v_add_co_u32 v8, vcc_lo, v64, 2
	v_add_co_ci_u32_e64 v9, null, 0, v65, vcc_lo
	v_cmpx_lt_u64_e64 v[3:4], v[8:9]
	s_cbranch_execz .LBB6_7847
; %bb.7836:                             ;   in Loop: Header=BB6_7834 Depth=3
	v_and_b32_e32 v1, 64, v100
	s_mov_b32 s61, 0
	s_mov_b32 s73, 0
                                        ; implicit-def: $sgpr62
                                        ; implicit-def: $sgpr63
                                        ; implicit-def: $sgpr72
	v_cmp_eq_u32_e32 vcc_lo, 0, v1
	s_branch .LBB6_7840
.LBB6_7837:                             ;   in Loop: Header=BB6_7840 Depth=4
	s_waitcnt vmcnt(0) lgkmcnt(0)
	v_add_co_u32 v3, s16, v48, v0
	v_add_co_ci_u32_e64 v4, null, 0, v49, s16
	s_or_b32 s76, s76, exec_lo
	v_cmp_ge_u64_e64 s16, v[3:4], v[8:9]
	s_orn2_b32 s75, s16, exec_lo
.LBB6_7838:                             ;   in Loop: Header=BB6_7840 Depth=4
	s_or_b32 exec_lo, exec_lo, s78
	s_andn2_b32 s16, s72, exec_lo
	s_and_b32 s72, s76, exec_lo
	s_andn2_b32 s63, s63, exec_lo
	s_and_b32 s75, s75, exec_lo
	s_or_b32 s72, s16, s72
	s_or_b32 s63, s63, s75
.LBB6_7839:                             ;   in Loop: Header=BB6_7840 Depth=4
	s_or_b32 exec_lo, exec_lo, s74
	s_and_b32 s16, exec_lo, s63
	s_or_b32 s61, s16, s61
	s_andn2_b32 s16, s62, exec_lo
	s_and_b32 s62, s72, exec_lo
	s_or_b32 s62, s16, s62
	s_andn2_b32 exec_lo, exec_lo, s61
	s_cbranch_execz .LBB6_7844
.LBB6_7840:                             ;   Parent Loop BB6_47 Depth=1
                                        ;     Parent Loop BB6_3135 Depth=2
                                        ;       Parent Loop BB6_7834 Depth=3
                                        ; =>      This Inner Loop Header: Depth=4
	s_sleep 1
	s_waitcnt vmcnt(0) lgkmcnt(0)
	flat_load_dwordx2 v[48:49], v[32:33] glc dlc
	s_or_b32 s72, s72, exec_lo
	s_or_b32 s63, s63, exec_lo
                                        ; implicit-def: $vgpr1
	s_and_saveexec_b32 s74, vcc_lo
	s_cbranch_execz .LBB6_7839
; %bb.7841:                             ;   in Loop: Header=BB6_7840 Depth=4
	s_cmpk_lt_i32 s73, 0x270f
	s_mov_b32 s75, -1
	s_cselect_b32 s77, -1, 0
	s_cmpk_gt_i32 s73, 0x270e
	s_cbranch_scc0 .LBB6_7843
; %bb.7842:                             ;   in Loop: Header=BB6_7840 Depth=4
	s_trap 2
	ds_read_b64 v[3:4], v0
	s_andn2_b32 s73, s77, exec_lo
	s_mov_b32 s76, 0
	s_waitcnt vmcnt(0) lgkmcnt(0)
	s_waitcnt_vscnt null, 0x0
	flat_load_dword v1, v[3:4] glc dlc
	s_waitcnt vmcnt(0) lgkmcnt(0)
	buffer_gl1_inv
	buffer_gl0_inv
	v_cmp_eq_u32_e64 s16, 0, v1
	s_and_b32 s16, s16, exec_lo
	s_or_b32 s77, s73, s16
	s_mov_b32 s73, 0
	s_and_saveexec_b32 s78, s77
	s_cbranch_execz .LBB6_7838
	s_branch .LBB6_7837
.LBB6_7843:                             ;   in Loop: Header=BB6_7840 Depth=4
	s_add_i32 s73, s73, 1
	s_mov_b32 s76, -1
                                        ; implicit-def: $vgpr1
	s_and_saveexec_b32 s78, s77
	s_cbranch_execz .LBB6_7838
	s_branch .LBB6_7837
.LBB6_7844:                             ;   in Loop: Header=BB6_7834 Depth=3
	s_or_b32 exec_lo, exec_lo, s61
	s_xor_b32 s16, s62, -1
	s_and_saveexec_b32 s61, s16
	s_xor_b32 s16, exec_lo, s61
	s_cbranch_execz .LBB6_7846
; %bb.7845:                             ;   in Loop: Header=BB6_7834 Depth=3
	v_or_b32_e32 v100, 64, v100
	s_waitcnt vmcnt(0) lgkmcnt(0)
	s_waitcnt_vscnt null, 0x0
	ds_write_b32 v0, v1
	s_trap 2
.LBB6_7846:                             ;   in Loop: Header=BB6_7834 Depth=3
	s_or_b32 exec_lo, exec_lo, s16
.LBB6_7847:                             ;   in Loop: Header=BB6_7834 Depth=3
	s_or_b32 exec_lo, exec_lo, s23
	v_and_b32_e32 v1, 0x108, v100
	s_mov_b32 s16, exec_lo
	;;#ASMSTART
	s_wakeup
	;;#ASMEND
                                        ; implicit-def: $vgpr10_vgpr11
	v_cmpx_ne_u32_e32 0x108, v1
	s_xor_b32 s16, exec_lo, s16
; %bb.7848:                             ;   in Loop: Header=BB6_7834 Depth=3
	v_and_b32_e32 v10, 7, v64
	v_mov_b32_e32 v11, v2
                                        ; implicit-def: $vgpr64_vgpr65
; %bb.7849:                             ;   in Loop: Header=BB6_7834 Depth=3
	s_andn2_saveexec_b32 s16, s16
	s_cbranch_execz .LBB6_7851
; %bb.7850:                             ;   in Loop: Header=BB6_7834 Depth=3
	v_and_b32_e32 v10, 7, v64
	v_ashrrev_i32_e32 v69, 31, v68
	v_mov_b32_e32 v11, v2
	v_mad_u64_u32 v[3:4], null, v10, 24, v[5:6]
	flat_store_dwordx2 v[3:4], v[68:69] offset:8
.LBB6_7851:                             ;   in Loop: Header=BB6_7834 Depth=3
	s_or_b32 exec_lo, exec_lo, s16
	v_and_b32_e32 v1, 0x100, v100
	s_mov_b32 s16, -1
	s_mov_b32 s23, exec_lo
                                        ; implicit-def: $vgpr12_vgpr13
	v_cmpx_ne_u32_e32 0, v1
	s_cbranch_execz .LBB6_7855
; %bb.7852:                             ;   in Loop: Header=BB6_7834 Depth=3
	v_mad_u64_u32 v[14:15], null, v10, 24, v[5:6]
	s_mov_b32 s61, exec_lo
                                        ; implicit-def: $vgpr12_vgpr13
	v_mov_b32_e32 v1, v15
	v_mad_u64_u32 v[3:4], null, v11, 24, v[1:2]
	v_mov_b32_e32 v15, v3
	flat_load_dword v1, v[14:15]
	s_waitcnt vmcnt(0) lgkmcnt(0)
	v_cmp_ne_u32_e32 vcc_lo, 1, v1
	v_cmpx_eq_u32_e32 1, v1
	s_cbranch_execz .LBB6_7854
; %bb.7853:                             ;   in Loop: Header=BB6_7834 Depth=3
	flat_load_dword v12, v[14:15] offset:4 glc dlc
	s_waitcnt vmcnt(0) lgkmcnt(0)
	v_ashrrev_i32_e32 v13, 31, v12
.LBB6_7854:                             ;   in Loop: Header=BB6_7834 Depth=3
	s_or_b32 exec_lo, exec_lo, s61
	s_orn2_b32 s16, vcc_lo, exec_lo
.LBB6_7855:                             ;   in Loop: Header=BB6_7834 Depth=3
	s_or_b32 exec_lo, exec_lo, s23
	s_and_saveexec_b32 s23, s16
	s_cbranch_execz .LBB6_7857
; %bb.7856:                             ;   in Loop: Header=BB6_7834 Depth=3
	buffer_load_dword v3, off, s[0:3], s33 offset:200 ; 4-byte Folded Reload
	s_waitcnt vmcnt(3)
	v_mul_lo_u32 v1, v11, v7
	v_mad_u64_u32 v[12:13], null, v10, v7, 0
	s_waitcnt vmcnt(0)
	v_mul_lo_u32 v3, v10, v3
	v_add3_u32 v13, v13, v3, v1
.LBB6_7857:                             ;   in Loop: Header=BB6_7834 Depth=3
	s_or_b32 exec_lo, exec_lo, s23
	v_cmp_eq_u32_e32 vcc_lo, 0, v0
	v_mov_b32_e32 v0, 0x90
	v_and_b32_e32 v4, 0x2000, v100
	s_mov_b32 s16, exec_lo
	v_cndmask_b32_e32 v3, 0xc8, v0, vcc_lo
	v_add_co_u32 v0, vcc_lo, v34, v12
	v_add_co_ci_u32_e64 v1, null, v35, v13, vcc_lo
	v_add_nc_u32_e32 v3, v0, v3
	ds_write_b64 v3, v[0:1] offset:584
	v_cmpx_ne_u32_e32 0, v4
	s_cbranch_execz .LBB6_7859
; %bb.7858:                             ;   in Loop: Header=BB6_7834 Depth=3
	ds_read_b64 v[0:1], v0 offset:872
	s_waitcnt lgkmcnt(0)
	v_add_co_u32 v0, vcc_lo, v0, 1
	v_add_co_ci_u32_e64 v1, null, 0, v1, vcc_lo
	ds_write_b64 v0, v[0:1] offset:872
.LBB6_7859:                             ;   in Loop: Header=BB6_7834 Depth=3
	s_or_b32 exec_lo, exec_lo, s16
	v_mov_b32_e32 v65, v9
	v_mov_b32_e32 v64, v8
.LBB6_7860:                             ;   in Loop: Header=BB6_7834 Depth=3
	s_or_b32 exec_lo, exec_lo, s22
	s_xor_b32 s16, s21, -1
	s_and_b32 s16, exec_lo, s16
	s_or_b32 s19, s16, s19
	s_and_saveexec_b32 s16, s6
	s_cbranch_execz .LBB6_7879
; %bb.7861:                             ;   in Loop: Header=BB6_7834 Depth=3
	s_and_saveexec_b32 s21, s29
	s_xor_b32 s21, exec_lo, s21
	s_cbranch_execz .LBB6_7876
; %bb.7862:                             ;   in Loop: Header=BB6_7834 Depth=3
	s_and_saveexec_b32 s22, s11
	s_cbranch_execz .LBB6_7875
; %bb.7863:                             ;   in Loop: Header=BB6_7834 Depth=3
	s_mov_b32 s61, exec_lo
	s_mov_b32 s23, exec_lo
	v_mbcnt_lo_u32_b32 v0, s61, 0
	s_waitcnt vmcnt(0) lgkmcnt(0)
	s_waitcnt_vscnt null, 0x0
	buffer_gl1_inv
	buffer_gl0_inv
	v_cmpx_eq_u32_e32 0, v0
	s_cbranch_execz .LBB6_7865
; %bb.7864:                             ;   in Loop: Header=BB6_7834 Depth=3
	s_bcnt1_i32_b32 s61, s61
	v_mov_b32_e32 v1, v2
	v_mov_b32_e32 v0, s61
	ds_add_u64 v0, v[0:1]
	s_trap 2
.LBB6_7865:                             ;   in Loop: Header=BB6_7834 Depth=3
	s_or_b32 exec_lo, exec_lo, s23
	s_trap 2
	ds_read_b64 v[0:1], v0
	s_waitcnt lgkmcnt(0)
	buffer_gl0_inv
	v_add_co_u32 v38, vcc_lo, v38, v103
	v_add_co_ci_u32_e64 v39, null, 0, v39, vcc_lo
	s_mov_b32 s23, exec_lo
	v_cmpx_lt_u64_e64 v[0:1], v[38:39]
	s_cbranch_execz .LBB6_7874
; %bb.7866:                             ;   in Loop: Header=BB6_7834 Depth=3
	s_mov_b32 s61, 0
	s_mov_b32 s72, 0
                                        ; implicit-def: $sgpr62
                                        ; implicit-def: $sgpr63
	s_inst_prefetch 0x1
	s_branch .LBB6_7868
	.p2align	6
.LBB6_7867:                             ;   in Loop: Header=BB6_7868 Depth=4
	s_or_b32 exec_lo, exec_lo, s74
	s_and_b32 s73, exec_lo, s75
	s_or_b32 s61, s73, s61
	s_andn2_b32 s62, s62, exec_lo
	s_and_b32 s73, s63, exec_lo
	s_or_b32 s62, s62, s73
	s_andn2_b32 exec_lo, exec_lo, s61
	s_cbranch_execz .LBB6_7872
.LBB6_7868:                             ;   Parent Loop BB6_47 Depth=1
                                        ;     Parent Loop BB6_3135 Depth=2
                                        ;       Parent Loop BB6_7834 Depth=3
                                        ; =>      This Inner Loop Header: Depth=4
	s_add_i32 s72, s72, 1
	s_cmpk_lg_i32 s72, 0x2710
	s_cselect_b32 s73, -1, 0
	s_and_b32 vcc_lo, exec_lo, s73
	s_cbranch_vccz .LBB6_7870
; %bb.7869:                             ;   in Loop: Header=BB6_7868 Depth=4
	s_mov_b32 s75, -1
	s_or_b32 s63, s63, exec_lo
	s_and_saveexec_b32 s74, s73
	s_cbranch_execz .LBB6_7867
	s_branch .LBB6_7871
	.p2align	6
.LBB6_7870:                             ;   in Loop: Header=BB6_7868 Depth=4
	s_trap 2
	ds_read_b64 v[0:1], v0
	s_andn2_b32 s73, s73, exec_lo
	s_mov_b32 s72, 0
	s_waitcnt lgkmcnt(0)
	flat_load_dword v0, v[0:1] glc dlc
	s_waitcnt vmcnt(0) lgkmcnt(0)
	buffer_gl1_inv
	buffer_gl0_inv
	v_cmp_eq_u32_e32 vcc_lo, 0, v0
	s_and_b32 s74, vcc_lo, exec_lo
	s_or_b32 s73, s73, s74
	s_mov_b32 s75, -1
	s_or_b32 s63, s63, exec_lo
	s_and_saveexec_b32 s74, s73
	s_cbranch_execz .LBB6_7867
.LBB6_7871:                             ;   in Loop: Header=BB6_7868 Depth=4
	s_sleep 1
	s_trap 2
	ds_read_b64 v[0:1], v0
	s_waitcnt lgkmcnt(0)
	buffer_gl0_inv
	s_andn2_b32 s63, s63, exec_lo
	v_cmp_ge_u64_e32 vcc_lo, v[0:1], v[38:39]
	s_orn2_b32 s75, vcc_lo, exec_lo
	s_branch .LBB6_7867
.LBB6_7872:                             ;   in Loop: Header=BB6_7834 Depth=3
	s_inst_prefetch 0x2
	s_or_b32 exec_lo, exec_lo, s61
	s_and_saveexec_b32 s61, s62
	s_xor_b32 s61, exec_lo, s61
	s_cbranch_execz .LBB6_7874
; %bb.7873:                             ;   in Loop: Header=BB6_7834 Depth=3
	v_mov_b32_e32 v0, 1
	ds_write_b32 v0, v0
	s_trap 2
.LBB6_7874:                             ;   in Loop: Header=BB6_7834 Depth=3
	s_or_b32 exec_lo, exec_lo, s23
	;;#ASMSTART
	s_wakeup
	;;#ASMEND
.LBB6_7875:                             ;   in Loop: Header=BB6_7834 Depth=3
	s_or_b32 exec_lo, exec_lo, s22
.LBB6_7876:                             ;   in Loop: Header=BB6_7834 Depth=3
	s_andn2_saveexec_b32 s21, s21
	s_cbranch_execz .LBB6_7878
; %bb.7877:                             ;   in Loop: Header=BB6_7834 Depth=3
	s_waitcnt vmcnt(0) lgkmcnt(0)
	s_waitcnt_vscnt null, 0x0
	buffer_gl1_inv
	buffer_gl0_inv
	s_barrier
.LBB6_7878:                             ;   in Loop: Header=BB6_7834 Depth=3
	s_or_b32 exec_lo, exec_lo, s21
.LBB6_7879:                             ;   in Loop: Header=BB6_7834 Depth=3
	s_or_b32 exec_lo, exec_lo, s16
                                        ; implicit-def: $vgpr0
	s_and_saveexec_b32 s16, s47
	s_xor_b32 s16, exec_lo, s16
	s_cbranch_execz .LBB6_7891
; %bb.7880:                             ;   in Loop: Header=BB6_7834 Depth=3
	s_and_saveexec_b32 s21, s29
	s_xor_b32 s21, exec_lo, s21
	s_cbranch_execz .LBB6_7896
; %bb.7881:                             ;   in Loop: Header=BB6_7834 Depth=3
	s_and_saveexec_b32 s22, s11
	s_cbranch_execz .LBB6_7895
; %bb.7882:                             ;   in Loop: Header=BB6_7834 Depth=3
	s_mov_b32 s61, exec_lo
	s_mov_b32 s23, exec_lo
	v_mbcnt_lo_u32_b32 v0, s61, 0
	;;#ASMSTART
	s_waitcnt lgkmcnt(0) vmcnt(0)
	;;#ASMEND
	v_cmpx_eq_u32_e32 0, v0
	s_cbranch_execz .LBB6_7884
; %bb.7883:                             ;   in Loop: Header=BB6_7834 Depth=3
	s_bcnt1_i32_b32 s61, s61
	v_mov_b32_e32 v1, v2
	v_mov_b32_e32 v0, s61
	s_waitcnt vmcnt(0) lgkmcnt(0)
	s_waitcnt_vscnt null, 0x0
	ds_add_u64 v0, v[0:1]
	s_trap 2
.LBB6_7884:                             ;   in Loop: Header=BB6_7834 Depth=3
	s_or_b32 exec_lo, exec_lo, s23
	s_trap 2
	ds_read_b64 v[0:1], v0
	s_waitcnt vmcnt(0) lgkmcnt(0)
	buffer_gl0_inv
	v_add_co_u32 v38, vcc_lo, v38, v103
	v_add_co_ci_u32_e64 v39, null, 0, v39, vcc_lo
	s_mov_b32 s23, exec_lo
	v_cmpx_lt_u64_e64 v[0:1], v[38:39]
	s_cbranch_execz .LBB6_7894
; %bb.7885:                             ;   in Loop: Header=BB6_7834 Depth=3
	s_mov_b32 s61, 0
	s_mov_b32 s72, 0
                                        ; implicit-def: $sgpr62
                                        ; implicit-def: $sgpr63
	s_inst_prefetch 0x1
	s_branch .LBB6_7887
	.p2align	6
.LBB6_7886:                             ;   in Loop: Header=BB6_7887 Depth=4
	s_or_b32 exec_lo, exec_lo, s74
	s_and_b32 s73, exec_lo, s75
	s_or_b32 s61, s73, s61
	s_andn2_b32 s62, s62, exec_lo
	s_and_b32 s73, s63, exec_lo
	s_or_b32 s62, s62, s73
	s_andn2_b32 exec_lo, exec_lo, s61
	s_cbranch_execz .LBB6_7892
.LBB6_7887:                             ;   Parent Loop BB6_47 Depth=1
                                        ;     Parent Loop BB6_3135 Depth=2
                                        ;       Parent Loop BB6_7834 Depth=3
                                        ; =>      This Inner Loop Header: Depth=4
	s_add_i32 s72, s72, 1
	s_cmpk_lg_i32 s72, 0x2710
	s_cselect_b32 s73, -1, 0
	s_and_b32 vcc_lo, exec_lo, s73
	s_cbranch_vccz .LBB6_7889
; %bb.7888:                             ;   in Loop: Header=BB6_7887 Depth=4
	s_mov_b32 s75, -1
	s_or_b32 s63, s63, exec_lo
	s_and_saveexec_b32 s74, s73
	s_cbranch_execz .LBB6_7886
	s_branch .LBB6_7890
	.p2align	6
.LBB6_7889:                             ;   in Loop: Header=BB6_7887 Depth=4
	s_trap 2
	ds_read_b64 v[0:1], v0
	s_andn2_b32 s73, s73, exec_lo
	s_mov_b32 s72, 0
	s_waitcnt lgkmcnt(0)
	s_waitcnt_vscnt null, 0x0
	flat_load_dword v0, v[0:1] glc dlc
	s_waitcnt vmcnt(0) lgkmcnt(0)
	buffer_gl1_inv
	buffer_gl0_inv
	v_cmp_eq_u32_e32 vcc_lo, 0, v0
	s_and_b32 s74, vcc_lo, exec_lo
	s_or_b32 s73, s73, s74
	s_mov_b32 s75, -1
	s_or_b32 s63, s63, exec_lo
	s_and_saveexec_b32 s74, s73
	s_cbranch_execz .LBB6_7886
.LBB6_7890:                             ;   in Loop: Header=BB6_7887 Depth=4
	s_sleep 1
	s_trap 2
	ds_read_b64 v[0:1], v0
	s_waitcnt lgkmcnt(0)
	buffer_gl0_inv
	s_andn2_b32 s63, s63, exec_lo
	v_cmp_ge_u64_e32 vcc_lo, v[0:1], v[38:39]
	s_orn2_b32 s75, vcc_lo, exec_lo
	s_branch .LBB6_7886
.LBB6_7891:                             ;   in Loop: Header=BB6_7834 Depth=3
	s_andn2_saveexec_b32 s21, s16
	s_cbranch_execnz .LBB6_7899
	s_branch .LBB6_7902
.LBB6_7892:                             ;   in Loop: Header=BB6_7834 Depth=3
	s_inst_prefetch 0x2
	s_or_b32 exec_lo, exec_lo, s61
	s_and_saveexec_b32 s61, s62
	s_xor_b32 s61, exec_lo, s61
	s_cbranch_execz .LBB6_7894
; %bb.7893:                             ;   in Loop: Header=BB6_7834 Depth=3
	v_mov_b32_e32 v0, 1
	ds_write_b32 v0, v0
	s_trap 2
.LBB6_7894:                             ;   in Loop: Header=BB6_7834 Depth=3
	s_or_b32 exec_lo, exec_lo, s23
	;;#ASMSTART
	s_wakeup
	;;#ASMEND
.LBB6_7895:                             ;   in Loop: Header=BB6_7834 Depth=3
	s_or_b32 exec_lo, exec_lo, s22
.LBB6_7896:                             ;   in Loop: Header=BB6_7834 Depth=3
	s_andn2_saveexec_b32 s21, s21
	s_cbranch_execz .LBB6_7898
; %bb.7897:                             ;   in Loop: Header=BB6_7834 Depth=3
	;;#ASMSTART
	s_waitcnt lgkmcnt(0) vmcnt(0)
	;;#ASMEND
	s_barrier
.LBB6_7898:                             ;   in Loop: Header=BB6_7834 Depth=3
	s_or_b32 exec_lo, exec_lo, s21
	v_and_b32_e32 v0, 16, v100
	s_andn2_saveexec_b32 s21, s16
	s_cbranch_execz .LBB6_7902
.LBB6_7899:                             ;   in Loop: Header=BB6_7834 Depth=3
	s_trap 2
	ds_read_b32 v0, v0
	v_cmp_lt_i32_e32 vcc_lo, 0, v68
	s_waitcnt lgkmcnt(0)
	v_readfirstlane_b32 s16, v0
	v_and_b32_e32 v0, 16, v100
	s_cmp_eq_u32 s16, 0
	v_cmp_ne_u32_e64 s16, 0, v0
	s_cselect_b32 s22, -1, 0
	v_and_b32_e32 v0, 16, v100
	s_and_b32 s22, vcc_lo, s22
	s_and_b32 s22, s16, s22
	s_and_saveexec_b32 s16, s22
	s_cbranch_execz .LBB6_7901
; %bb.7900:                             ;   in Loop: Header=BB6_7834 Depth=3
	v_mov_b32_e32 v0, 1
	s_waitcnt vmcnt(0)
	s_waitcnt_vscnt null, 0x0
	buffer_gl1_inv
	buffer_gl0_inv
.LBB6_7901:                             ;   in Loop: Header=BB6_7834 Depth=3
	s_or_b32 exec_lo, exec_lo, s16
.LBB6_7902:                             ;   in Loop: Header=BB6_7834 Depth=3
	s_or_b32 exec_lo, exec_lo, s21
	v_cmp_ne_u32_e32 vcc_lo, 0, v0
	s_xor_b32 s16, s7, -1
	s_and_b32 s21, vcc_lo, s16
	s_and_saveexec_b32 s16, s21
	s_cbranch_execz .LBB6_7904
; %bb.7903:                             ;   in Loop: Header=BB6_7834 Depth=3
	v_mov_b32_e32 v0, 1
	s_waitcnt vmcnt(0) lgkmcnt(0)
	s_waitcnt_vscnt null, 0x0
	flat_store_dword v[16:17], v0
.LBB6_7904:                             ;   in Loop: Header=BB6_7834 Depth=3
	s_or_b32 exec_lo, exec_lo, s16
	v_and_b32_e32 v0, 48, v100
	s_mov_b32 s16, exec_lo
	v_cmpx_ne_u32_e32 0, v0
	s_cbranch_execz .LBB6_7833
; %bb.7905:                             ;   in Loop: Header=BB6_7834 Depth=3
	v_add_co_u32 v64, vcc_lo, v64, 2
	v_add_co_ci_u32_e64 v65, null, 0, v65, vcc_lo
	s_waitcnt vmcnt(0) lgkmcnt(0)
	s_waitcnt_vscnt null, 0x0
	flat_store_dwordx2 v[32:33], v[64:65]
	s_branch .LBB6_7833
.LBB6_7906:                             ;   in Loop: Header=BB6_47 Depth=1
	s_clause 0x1
	buffer_load_dword v3, off, s[0:3], s33 offset:432
	buffer_load_dword v4, off, s[0:3], s33 offset:436
	v_mov_b32_e32 v71, 0
	s_waitcnt vmcnt(1)
	v_mul_lo_u32 v1, v3, s28
	s_waitcnt vmcnt(0)
	v_mul_lo_u32 v0, v4, s25
	v_mad_u64_u32 v[8:9], null, v3, s25, 0
	v_add3_u32 v9, v9, v1, v0
	s_clause 0x1
	buffer_load_dword v0, off, s[0:3], s33 offset:424
	buffer_load_dword v1, off, s[0:3], s33 offset:428
	s_waitcnt vmcnt(1)
	v_sub_co_u32 v0, vcc_lo, v0, v8
	s_waitcnt vmcnt(0)
	v_sub_co_ci_u32_e64 v1, null, v1, v9, vcc_lo
	v_cmp_lt_i64_e32 vcc_lo, v[3:4], v[0:1]
	v_cndmask_b32_e32 v1, v0, v3, vcc_lo
	v_max_i32_e32 v3, 0, v1
	v_cmp_lt_i32_e32 vcc_lo, 0, v1
	v_add_nc_u32_e32 v0, 31, v3
	s_and_b32 s16, s57, vcc_lo
	v_lshrrev_b32_e32 v0, 1, v0
	v_and_b32_e32 v4, 0x3ffffff0, v0
	v_mov_b32_e32 v0, 0
	v_max_i32_e32 v68, s45, v4
	s_and_saveexec_b32 s21, s16
	s_cbranch_execnz .LBB6_7907
; %bb.17807:                            ;   in Loop: Header=BB6_47 Depth=1
	s_getpc_b64 s[34:35]
.Lpost_getpc41:
	s_add_u32 s34, s34, (.LBB6_17187-.Lpost_getpc41)&4294967295
	s_addc_u32 s35, s35, (.LBB6_17187-.Lpost_getpc41)>>32
	s_setpc_b64 s[34:35]
.LBB6_7907:                             ;   in Loop: Header=BB6_47 Depth=1
	buffer_load_dword v0, off, s[0:3], s33 offset:248 ; 4-byte Folded Reload
	v_mov_b32_e32 v71, 0
	s_mov_b32 s63, 1
	s_mov_b32 s62, -1
	s_mov_b32 s61, 0
	s_waitcnt vmcnt(0)
	v_add_co_u32 v0, vcc_lo, v8, v0
	buffer_store_dword v0, off, s[0:3], s33 offset:272 ; 4-byte Folded Spill
	buffer_load_dword v0, off, s[0:3], s33 offset:252 ; 4-byte Folded Reload
	s_waitcnt vmcnt(0)
	v_add_co_ci_u32_e64 v0, null, v9, v0, vcc_lo
	buffer_store_dword v0, off, s[0:3], s33 offset:276 ; 4-byte Folded Spill
	s_branch .LBB6_7909
.LBB6_7908:                             ;   in Loop: Header=BB6_7909 Depth=2
	s_or_b32 exec_lo, exec_lo, s16
	v_add_nc_u32_e32 v71, v68, v71
	s_xor_b32 s16, s62, -1
	v_mov_b32_e32 v0, s63
	s_mov_b32 s62, 0
	s_mov_b32 s63, 2
	v_cmp_ge_i32_e32 vcc_lo, v71, v3
	s_or_b32 s16, s16, vcc_lo
	s_and_b32 s16, exec_lo, s16
	s_or_b32 s61, s16, s61
	s_andn2_b32 exec_lo, exec_lo, s61
	s_cbranch_execnz .LBB6_7909
; %bb.17809:                            ;   in Loop: Header=BB6_47 Depth=1
	s_getpc_b64 s[34:35]
.Lpost_getpc42:
	s_add_u32 s34, s34, (.LBB6_17186-.Lpost_getpc42)&4294967295
	s_addc_u32 s35, s35, (.LBB6_17186-.Lpost_getpc42)>>32
	s_setpc_b64 s[34:35]
.LBB6_7909:                             ;   Parent Loop BB6_47 Depth=1
                                        ; =>  This Loop Header: Depth=2
                                        ;       Child Loop BB6_7917 Depth 3
                                        ;       Child Loop BB6_7945 Depth 3
	;; [unrolled: 1-line block ×5, first 2 shown]
                                        ;         Child Loop BB6_11117 Depth 4
                                        ;       Child Loop BB6_11223 Depth 3
                                        ;       Child Loop BB6_12513 Depth 3
                                        ;         Child Loop BB6_12556 Depth 4
                                        ;       Child Loop BB6_12577 Depth 3
                                        ;       Child Loop BB6_15150 Depth 3
	;; [unrolled: 1-line block ×6, first 2 shown]
	s_and_saveexec_b32 s17, s4
	s_cbranch_execz .LBB6_7911
; %bb.7910:                             ;   in Loop: Header=BB6_7909 Depth=2
	s_trap 2
	s_waitcnt vmcnt(0)
	ds_read2_b64 v[4:7], v0 offset1:1
	ds_read_b64 v[0:1], v0
	s_clause 0x1
	buffer_load_dword v9, off, s[0:3], s33 offset:272
	buffer_load_dword v10, off, s[0:3], s33 offset:276
	v_ashrrev_i32_e32 v8, 31, v71
	s_waitcnt vmcnt(1) lgkmcnt(1)
	v_add_co_u32 v4, vcc_lo, v4, v9
	s_waitcnt vmcnt(0)
	v_add_co_ci_u32_e64 v5, null, v5, v10, vcc_lo
	v_add_co_u32 v6, vcc_lo, v6, v9
	v_add_co_ci_u32_e64 v7, null, v7, v10, vcc_lo
	s_waitcnt lgkmcnt(0)
	v_add_co_u32 v9, vcc_lo, v0, v9
	v_add_co_ci_u32_e64 v10, null, v1, v10, vcc_lo
	v_add_co_u32 v4, vcc_lo, v4, v71
	v_add_co_ci_u32_e64 v5, null, v5, v8, vcc_lo
	;; [unrolled: 2-line block ×3, first 2 shown]
	v_cmp_ne_u64_e32 vcc_lo, 0, v[0:1]
	v_add_co_u32 v0, s16, v6, v71
	v_add_co_ci_u32_e64 v1, null, v7, v8, s16
	v_cndmask_b32_e32 v7, 0, v10, vcc_lo
	v_cndmask_b32_e32 v6, 0, v9, vcc_lo
	ds_write_b64 v0, v[4:5]
	ds_write_b64 v0, v[0:1]
	;; [unrolled: 1-line block ×3, first 2 shown]
.LBB6_7911:                             ;   in Loop: Header=BB6_7909 Depth=2
	s_or_b32 exec_lo, exec_lo, s17
	v_sub_nc_u32_e32 v0, v3, v71
	v_and_b32_e32 v1, 12, v100
	s_mov_b32 s17, exec_lo
	v_min_i32_e32 v68, v68, v0
	v_cmpx_ne_u32_e32 0, v1
	s_cbranch_execz .LBB6_7937
; %bb.7912:                             ;   in Loop: Header=BB6_7909 Depth=2
	v_and_b32_e32 v0, 8, v100
	s_mov_b32 s18, exec_lo
	s_waitcnt vmcnt(0) lgkmcnt(1)
	v_add_co_u32 v4, vcc_lo, v48, v0
	v_add_co_ci_u32_e64 v5, null, 0, v49, vcc_lo
	v_add_co_u32 v8, vcc_lo, v64, 2
	v_add_co_ci_u32_e64 v9, null, 0, v65, vcc_lo
	v_cmpx_lt_u64_e64 v[4:5], v[8:9]
	s_cbranch_execz .LBB6_7924
; %bb.7913:                             ;   in Loop: Header=BB6_7909 Depth=2
	v_and_b32_e32 v1, 64, v100
	s_mov_b32 s19, 0
	s_mov_b32 s73, 0
                                        ; implicit-def: $sgpr22
                                        ; implicit-def: $sgpr23
                                        ; implicit-def: $sgpr72
	v_cmp_eq_u32_e32 vcc_lo, 0, v1
	s_branch .LBB6_7917
.LBB6_7914:                             ;   in Loop: Header=BB6_7917 Depth=3
	s_waitcnt vmcnt(0) lgkmcnt(0)
	v_add_co_u32 v4, s16, v48, v0
	v_add_co_ci_u32_e64 v5, null, 0, v49, s16
	s_or_b32 s76, s76, exec_lo
	v_cmp_ge_u64_e64 s16, v[4:5], v[8:9]
	s_orn2_b32 s75, s16, exec_lo
.LBB6_7915:                             ;   in Loop: Header=BB6_7917 Depth=3
	s_or_b32 exec_lo, exec_lo, s78
	s_andn2_b32 s16, s72, exec_lo
	s_and_b32 s72, s76, exec_lo
	s_andn2_b32 s23, s23, exec_lo
	s_and_b32 s75, s75, exec_lo
	s_or_b32 s72, s16, s72
	s_or_b32 s23, s23, s75
.LBB6_7916:                             ;   in Loop: Header=BB6_7917 Depth=3
	s_or_b32 exec_lo, exec_lo, s74
	s_and_b32 s16, exec_lo, s23
	s_or_b32 s19, s16, s19
	s_andn2_b32 s16, s22, exec_lo
	s_and_b32 s22, s72, exec_lo
	s_or_b32 s22, s16, s22
	s_andn2_b32 exec_lo, exec_lo, s19
	s_cbranch_execz .LBB6_7921
.LBB6_7917:                             ;   Parent Loop BB6_47 Depth=1
                                        ;     Parent Loop BB6_7909 Depth=2
                                        ; =>    This Inner Loop Header: Depth=3
	s_sleep 1
	s_waitcnt vmcnt(0) lgkmcnt(0)
	flat_load_dwordx2 v[48:49], v[32:33] glc dlc
	s_or_b32 s72, s72, exec_lo
	s_or_b32 s23, s23, exec_lo
                                        ; implicit-def: $vgpr1
	s_and_saveexec_b32 s74, vcc_lo
	s_cbranch_execz .LBB6_7916
; %bb.7918:                             ;   in Loop: Header=BB6_7917 Depth=3
	s_cmpk_lt_i32 s73, 0x270f
	s_mov_b32 s75, -1
	s_cselect_b32 s77, -1, 0
	s_cmpk_gt_i32 s73, 0x270e
	s_cbranch_scc0 .LBB6_7920
; %bb.7919:                             ;   in Loop: Header=BB6_7917 Depth=3
	s_trap 2
	ds_read_b64 v[4:5], v0
	s_andn2_b32 s73, s77, exec_lo
	s_mov_b32 s76, 0
	s_waitcnt vmcnt(0) lgkmcnt(0)
	s_waitcnt_vscnt null, 0x0
	flat_load_dword v1, v[4:5] glc dlc
	s_waitcnt vmcnt(0) lgkmcnt(0)
	buffer_gl1_inv
	buffer_gl0_inv
	v_cmp_eq_u32_e64 s16, 0, v1
	s_and_b32 s16, s16, exec_lo
	s_or_b32 s77, s73, s16
	s_mov_b32 s73, 0
	s_and_saveexec_b32 s78, s77
	s_cbranch_execz .LBB6_7915
	s_branch .LBB6_7914
.LBB6_7920:                             ;   in Loop: Header=BB6_7917 Depth=3
	s_add_i32 s73, s73, 1
	s_mov_b32 s76, -1
                                        ; implicit-def: $vgpr1
	s_and_saveexec_b32 s78, s77
	s_cbranch_execz .LBB6_7915
	s_branch .LBB6_7914
.LBB6_7921:                             ;   in Loop: Header=BB6_7909 Depth=2
	s_or_b32 exec_lo, exec_lo, s19
	s_xor_b32 s16, s22, -1
	s_and_saveexec_b32 s19, s16
	s_xor_b32 s16, exec_lo, s19
	s_cbranch_execz .LBB6_7923
; %bb.7922:                             ;   in Loop: Header=BB6_7909 Depth=2
	v_or_b32_e32 v100, 64, v100
	s_waitcnt vmcnt(0) lgkmcnt(0)
	s_waitcnt_vscnt null, 0x0
	ds_write_b32 v0, v1
	s_trap 2
.LBB6_7923:                             ;   in Loop: Header=BB6_7909 Depth=2
	s_or_b32 exec_lo, exec_lo, s16
.LBB6_7924:                             ;   in Loop: Header=BB6_7909 Depth=2
	s_or_b32 exec_lo, exec_lo, s18
	v_and_b32_e32 v1, 0x108, v100
	s_mov_b32 s16, exec_lo
	;;#ASMSTART
	s_wakeup
	;;#ASMEND
                                        ; implicit-def: $vgpr10_vgpr11
	v_cmpx_ne_u32_e32 0x108, v1
	s_xor_b32 s16, exec_lo, s16
; %bb.7925:                             ;   in Loop: Header=BB6_7909 Depth=2
	v_and_b32_e32 v10, 7, v64
	v_mov_b32_e32 v11, v2
                                        ; implicit-def: $vgpr64_vgpr65
; %bb.7926:                             ;   in Loop: Header=BB6_7909 Depth=2
	s_andn2_saveexec_b32 s16, s16
	s_cbranch_execz .LBB6_7928
; %bb.7927:                             ;   in Loop: Header=BB6_7909 Depth=2
	s_clause 0x3
	buffer_load_dword v4, off, s[0:3], s33 offset:224
	buffer_load_dword v5, off, s[0:3], s33 offset:228
	;; [unrolled: 1-line block ×4, first 2 shown]
	v_and_b32_e32 v10, 7, v64
	v_ashrrev_i32_e32 v69, 31, v68
	v_mov_b32_e32 v11, v2
	s_waitcnt vmcnt(2)
	v_mad_u64_u32 v[4:5], null, v10, 24, v[4:5]
	flat_store_dwordx2 v[4:5], v[68:69] offset:8
.LBB6_7928:                             ;   in Loop: Header=BB6_7909 Depth=2
	s_or_b32 exec_lo, exec_lo, s16
	v_and_b32_e32 v1, 0x100, v100
	s_mov_b32 s16, -1
	s_mov_b32 s18, exec_lo
                                        ; implicit-def: $vgpr12_vgpr13
	v_cmpx_ne_u32_e32 0, v1
	s_cbranch_execz .LBB6_7932
; %bb.7929:                             ;   in Loop: Header=BB6_7909 Depth=2
	s_clause 0x3
	buffer_load_dword v4, off, s[0:3], s33 offset:224
	buffer_load_dword v5, off, s[0:3], s33 offset:228
	;; [unrolled: 1-line block ×4, first 2 shown]
	s_mov_b32 s19, exec_lo
                                        ; implicit-def: $vgpr12_vgpr13
	s_waitcnt vmcnt(2)
	v_mad_u64_u32 v[14:15], null, v10, 24, v[4:5]
	v_mov_b32_e32 v1, v15
	v_mad_u64_u32 v[4:5], null, v11, 24, v[1:2]
	v_mov_b32_e32 v15, v4
	flat_load_dword v1, v[14:15]
	s_waitcnt vmcnt(0) lgkmcnt(0)
	v_cmp_ne_u32_e32 vcc_lo, 1, v1
	v_cmpx_eq_u32_e32 1, v1
	s_cbranch_execz .LBB6_7931
; %bb.7930:                             ;   in Loop: Header=BB6_7909 Depth=2
	flat_load_dword v12, v[14:15] offset:4 glc dlc
	s_waitcnt vmcnt(0) lgkmcnt(0)
	v_ashrrev_i32_e32 v13, 31, v12
.LBB6_7931:                             ;   in Loop: Header=BB6_7909 Depth=2
	s_or_b32 exec_lo, exec_lo, s19
	s_orn2_b32 s16, vcc_lo, exec_lo
.LBB6_7932:                             ;   in Loop: Header=BB6_7909 Depth=2
	s_or_b32 exec_lo, exec_lo, s18
	s_and_saveexec_b32 s18, s16
	s_cbranch_execz .LBB6_7934
; %bb.7933:                             ;   in Loop: Header=BB6_7909 Depth=2
	s_clause 0x1
	buffer_load_dword v5, off, s[0:3], s33 offset:256
	buffer_load_dword v4, off, s[0:3], s33 offset:200
	s_waitcnt vmcnt(1)
	v_mul_lo_u32 v1, v11, v5
	s_waitcnt vmcnt(0)
	v_mul_lo_u32 v4, v10, v4
	v_mad_u64_u32 v[12:13], null, v10, v5, 0
	v_add3_u32 v13, v13, v4, v1
.LBB6_7934:                             ;   in Loop: Header=BB6_7909 Depth=2
	s_or_b32 exec_lo, exec_lo, s18
	v_cmp_eq_u32_e32 vcc_lo, 0, v0
	v_mov_b32_e32 v0, 0x90
	v_and_b32_e32 v5, 0x2000, v100
	s_mov_b32 s16, exec_lo
	v_cndmask_b32_e32 v4, 0xd0, v0, vcc_lo
	v_add_co_u32 v0, vcc_lo, v34, v12
	v_add_co_ci_u32_e64 v1, null, v35, v13, vcc_lo
	v_add_nc_u32_e32 v4, v0, v4
	ds_write_b64 v4, v[0:1] offset:584
	v_cmpx_ne_u32_e32 0, v5
	s_cbranch_execz .LBB6_7936
; %bb.7935:                             ;   in Loop: Header=BB6_7909 Depth=2
	ds_read_b64 v[0:1], v0 offset:872
	s_waitcnt lgkmcnt(0)
	v_add_co_u32 v0, vcc_lo, v0, 1
	v_add_co_ci_u32_e64 v1, null, 0, v1, vcc_lo
	ds_write_b64 v0, v[0:1] offset:872
.LBB6_7936:                             ;   in Loop: Header=BB6_7909 Depth=2
	s_or_b32 exec_lo, exec_lo, s16
	v_mov_b32_e32 v65, v9
	v_mov_b32_e32 v64, v8
.LBB6_7937:                             ;   in Loop: Header=BB6_7909 Depth=2
	s_or_b32 exec_lo, exec_lo, s17
	s_and_saveexec_b32 s16, s6
	s_cbranch_execz .LBB6_7956
; %bb.7938:                             ;   in Loop: Header=BB6_7909 Depth=2
	s_and_saveexec_b32 s17, s29
	s_xor_b32 s17, exec_lo, s17
	s_cbranch_execz .LBB6_7953
; %bb.7939:                             ;   in Loop: Header=BB6_7909 Depth=2
	s_and_saveexec_b32 s18, s11
	s_cbranch_execz .LBB6_7952
; %bb.7940:                             ;   in Loop: Header=BB6_7909 Depth=2
	s_mov_b32 s22, exec_lo
	s_mov_b32 s19, exec_lo
	v_mbcnt_lo_u32_b32 v0, s22, 0
	s_waitcnt vmcnt(0) lgkmcnt(0)
	s_waitcnt_vscnt null, 0x0
	buffer_gl1_inv
	buffer_gl0_inv
	v_cmpx_eq_u32_e32 0, v0
	s_cbranch_execz .LBB6_7942
; %bb.7941:                             ;   in Loop: Header=BB6_7909 Depth=2
	s_bcnt1_i32_b32 s22, s22
	v_mov_b32_e32 v1, v2
	v_mov_b32_e32 v0, s22
	ds_add_u64 v0, v[0:1]
	s_trap 2
.LBB6_7942:                             ;   in Loop: Header=BB6_7909 Depth=2
	s_or_b32 exec_lo, exec_lo, s19
	s_trap 2
	ds_read_b64 v[0:1], v0
	s_waitcnt lgkmcnt(0)
	buffer_gl0_inv
	v_add_co_u32 v38, vcc_lo, v38, v103
	v_add_co_ci_u32_e64 v39, null, 0, v39, vcc_lo
	s_mov_b32 s19, exec_lo
	v_cmpx_lt_u64_e64 v[0:1], v[38:39]
	s_cbranch_execz .LBB6_7951
; %bb.7943:                             ;   in Loop: Header=BB6_7909 Depth=2
	s_mov_b32 s22, 0
	s_mov_b32 s73, 0
                                        ; implicit-def: $sgpr23
                                        ; implicit-def: $sgpr72
	s_inst_prefetch 0x1
	s_branch .LBB6_7945
	.p2align	6
.LBB6_7944:                             ;   in Loop: Header=BB6_7945 Depth=3
	s_or_b32 exec_lo, exec_lo, s75
	s_and_b32 s74, exec_lo, s76
	s_or_b32 s22, s74, s22
	s_andn2_b32 s23, s23, exec_lo
	s_and_b32 s74, s72, exec_lo
	s_or_b32 s23, s23, s74
	s_andn2_b32 exec_lo, exec_lo, s22
	s_cbranch_execz .LBB6_7949
.LBB6_7945:                             ;   Parent Loop BB6_47 Depth=1
                                        ;     Parent Loop BB6_7909 Depth=2
                                        ; =>    This Inner Loop Header: Depth=3
	s_add_i32 s73, s73, 1
	s_cmpk_lg_i32 s73, 0x2710
	s_cselect_b32 s74, -1, 0
	s_and_b32 vcc_lo, exec_lo, s74
	s_cbranch_vccz .LBB6_7947
; %bb.7946:                             ;   in Loop: Header=BB6_7945 Depth=3
	s_mov_b32 s76, -1
	s_or_b32 s72, s72, exec_lo
	s_and_saveexec_b32 s75, s74
	s_cbranch_execz .LBB6_7944
	s_branch .LBB6_7948
	.p2align	6
.LBB6_7947:                             ;   in Loop: Header=BB6_7945 Depth=3
	s_trap 2
	ds_read_b64 v[0:1], v0
	s_andn2_b32 s74, s74, exec_lo
	s_mov_b32 s73, 0
	s_waitcnt lgkmcnt(0)
	flat_load_dword v0, v[0:1] glc dlc
	s_waitcnt vmcnt(0) lgkmcnt(0)
	buffer_gl1_inv
	buffer_gl0_inv
	v_cmp_eq_u32_e32 vcc_lo, 0, v0
	s_and_b32 s75, vcc_lo, exec_lo
	s_or_b32 s74, s74, s75
	s_mov_b32 s76, -1
	s_or_b32 s72, s72, exec_lo
	s_and_saveexec_b32 s75, s74
	s_cbranch_execz .LBB6_7944
.LBB6_7948:                             ;   in Loop: Header=BB6_7945 Depth=3
	s_sleep 1
	s_trap 2
	ds_read_b64 v[0:1], v0
	s_waitcnt lgkmcnt(0)
	buffer_gl0_inv
	s_andn2_b32 s72, s72, exec_lo
	v_cmp_ge_u64_e32 vcc_lo, v[0:1], v[38:39]
	s_orn2_b32 s76, vcc_lo, exec_lo
	s_branch .LBB6_7944
.LBB6_7949:                             ;   in Loop: Header=BB6_7909 Depth=2
	s_inst_prefetch 0x2
	s_or_b32 exec_lo, exec_lo, s22
	s_and_saveexec_b32 s22, s23
	s_xor_b32 s22, exec_lo, s22
	s_cbranch_execz .LBB6_7951
; %bb.7950:                             ;   in Loop: Header=BB6_7909 Depth=2
	v_mov_b32_e32 v0, 1
	ds_write_b32 v0, v0
	s_trap 2
.LBB6_7951:                             ;   in Loop: Header=BB6_7909 Depth=2
	s_or_b32 exec_lo, exec_lo, s19
	;;#ASMSTART
	s_wakeup
	;;#ASMEND
.LBB6_7952:                             ;   in Loop: Header=BB6_7909 Depth=2
	s_or_b32 exec_lo, exec_lo, s18
.LBB6_7953:                             ;   in Loop: Header=BB6_7909 Depth=2
	s_andn2_saveexec_b32 s17, s17
	s_cbranch_execz .LBB6_7955
; %bb.7954:                             ;   in Loop: Header=BB6_7909 Depth=2
	s_waitcnt vmcnt(0) lgkmcnt(0)
	s_waitcnt_vscnt null, 0x0
	buffer_gl1_inv
	buffer_gl0_inv
	s_barrier
.LBB6_7955:                             ;   in Loop: Header=BB6_7909 Depth=2
	s_or_b32 exec_lo, exec_lo, s17
.LBB6_7956:                             ;   in Loop: Header=BB6_7909 Depth=2
	s_or_b32 exec_lo, exec_lo, s16
	s_trap 2
	ds_read_b32 v0, v0
	v_and_b32_e32 v1, 0x4000, v100
	s_xor_b32 s16, s5, -1
	v_cmp_ne_u32_e32 vcc_lo, 0, v1
	s_and_b32 s17, s16, vcc_lo
	s_and_saveexec_b32 s16, s17
	s_cbranch_execz .LBB6_7975
; %bb.7957:                             ;   in Loop: Header=BB6_7909 Depth=2
	s_and_saveexec_b32 s17, s29
	s_xor_b32 s17, exec_lo, s17
	s_cbranch_execz .LBB6_7972
; %bb.7958:                             ;   in Loop: Header=BB6_7909 Depth=2
	s_and_saveexec_b32 s18, s11
	s_cbranch_execz .LBB6_7971
; %bb.7959:                             ;   in Loop: Header=BB6_7909 Depth=2
	s_mov_b32 s22, exec_lo
	s_mov_b32 s19, exec_lo
	v_mbcnt_lo_u32_b32 v1, s22, 0
	s_waitcnt vmcnt(0) lgkmcnt(0)
	s_waitcnt_vscnt null, 0x0
	buffer_gl1_inv
	buffer_gl0_inv
	v_cmpx_eq_u32_e32 0, v1
	s_cbranch_execz .LBB6_7961
; %bb.7960:                             ;   in Loop: Header=BB6_7909 Depth=2
	s_bcnt1_i32_b32 s22, s22
	v_mov_b32_e32 v5, v2
	v_mov_b32_e32 v4, s22
	ds_add_u64 v0, v[4:5]
	s_trap 2
.LBB6_7961:                             ;   in Loop: Header=BB6_7909 Depth=2
	s_or_b32 exec_lo, exec_lo, s19
	s_trap 2
	ds_read_b64 v[4:5], v0
	s_waitcnt lgkmcnt(0)
	buffer_gl0_inv
	v_add_co_u32 v38, vcc_lo, v38, v103
	v_add_co_ci_u32_e64 v39, null, 0, v39, vcc_lo
	s_mov_b32 s19, exec_lo
	v_cmpx_lt_u64_e64 v[4:5], v[38:39]
	s_cbranch_execz .LBB6_7970
; %bb.7962:                             ;   in Loop: Header=BB6_7909 Depth=2
	s_mov_b32 s22, 0
	s_mov_b32 s73, 0
                                        ; implicit-def: $sgpr23
                                        ; implicit-def: $sgpr72
	s_inst_prefetch 0x1
	s_branch .LBB6_7964
	.p2align	6
.LBB6_7963:                             ;   in Loop: Header=BB6_7964 Depth=3
	s_or_b32 exec_lo, exec_lo, s75
	s_and_b32 s74, exec_lo, s76
	s_or_b32 s22, s74, s22
	s_andn2_b32 s23, s23, exec_lo
	s_and_b32 s74, s72, exec_lo
	s_or_b32 s23, s23, s74
	s_andn2_b32 exec_lo, exec_lo, s22
	s_cbranch_execz .LBB6_7968
.LBB6_7964:                             ;   Parent Loop BB6_47 Depth=1
                                        ;     Parent Loop BB6_7909 Depth=2
                                        ; =>    This Inner Loop Header: Depth=3
	s_add_i32 s73, s73, 1
	s_cmpk_lg_i32 s73, 0x2710
	s_cselect_b32 s74, -1, 0
	s_and_b32 vcc_lo, exec_lo, s74
	s_cbranch_vccz .LBB6_7966
; %bb.7965:                             ;   in Loop: Header=BB6_7964 Depth=3
	s_mov_b32 s76, -1
	s_or_b32 s72, s72, exec_lo
	s_and_saveexec_b32 s75, s74
	s_cbranch_execz .LBB6_7963
	s_branch .LBB6_7967
	.p2align	6
.LBB6_7966:                             ;   in Loop: Header=BB6_7964 Depth=3
	s_trap 2
	ds_read_b64 v[4:5], v0
	s_andn2_b32 s74, s74, exec_lo
	s_mov_b32 s73, 0
	s_waitcnt lgkmcnt(0)
	flat_load_dword v1, v[4:5] glc dlc
	s_waitcnt vmcnt(0) lgkmcnt(0)
	buffer_gl1_inv
	buffer_gl0_inv
	v_cmp_eq_u32_e32 vcc_lo, 0, v1
	s_and_b32 s75, vcc_lo, exec_lo
	s_or_b32 s74, s74, s75
	s_mov_b32 s76, -1
	s_or_b32 s72, s72, exec_lo
	s_and_saveexec_b32 s75, s74
	s_cbranch_execz .LBB6_7963
.LBB6_7967:                             ;   in Loop: Header=BB6_7964 Depth=3
	s_sleep 1
	s_trap 2
	ds_read_b64 v[4:5], v0
	s_waitcnt lgkmcnt(0)
	buffer_gl0_inv
	s_andn2_b32 s72, s72, exec_lo
	v_cmp_ge_u64_e32 vcc_lo, v[4:5], v[38:39]
	s_orn2_b32 s76, vcc_lo, exec_lo
	s_branch .LBB6_7963
.LBB6_7968:                             ;   in Loop: Header=BB6_7909 Depth=2
	s_inst_prefetch 0x2
	s_or_b32 exec_lo, exec_lo, s22
	s_and_saveexec_b32 s22, s23
	s_xor_b32 s22, exec_lo, s22
	s_cbranch_execz .LBB6_7970
; %bb.7969:                             ;   in Loop: Header=BB6_7909 Depth=2
	v_mov_b32_e32 v1, 1
	ds_write_b32 v0, v1
	s_trap 2
.LBB6_7970:                             ;   in Loop: Header=BB6_7909 Depth=2
	s_or_b32 exec_lo, exec_lo, s19
	;;#ASMSTART
	s_wakeup
	;;#ASMEND
.LBB6_7971:                             ;   in Loop: Header=BB6_7909 Depth=2
	s_or_b32 exec_lo, exec_lo, s18
.LBB6_7972:                             ;   in Loop: Header=BB6_7909 Depth=2
	s_andn2_saveexec_b32 s17, s17
	s_cbranch_execz .LBB6_7974
; %bb.7973:                             ;   in Loop: Header=BB6_7909 Depth=2
	s_waitcnt vmcnt(0) lgkmcnt(0)
	s_waitcnt_vscnt null, 0x0
	buffer_gl1_inv
	buffer_gl0_inv
	s_barrier
.LBB6_7974:                             ;   in Loop: Header=BB6_7909 Depth=2
	s_or_b32 exec_lo, exec_lo, s17
.LBB6_7975:                             ;   in Loop: Header=BB6_7909 Depth=2
	s_or_b32 exec_lo, exec_lo, s16
	s_trap 2
	s_waitcnt lgkmcnt(0)
	ds_read_b64 v[69:70], v0
	s_waitcnt lgkmcnt(0)
	v_cmp_eq_u64_e32 vcc_lo, 0, v[69:70]
	s_cbranch_vccnz .LBB6_7984
; %bb.7976:                             ;   in Loop: Header=BB6_7909 Depth=2
	s_trap 2
	ds_read_b64 v[4:5], v0
	s_waitcnt lgkmcnt(0)
	buffer_store_dword v4, off, s[0:3], s33 offset:264 ; 4-byte Folded Spill
	buffer_store_dword v5, off, s[0:3], s33 offset:268 ; 4-byte Folded Spill
	v_cmp_eq_u64_e32 vcc_lo, 0, v[4:5]
	s_cbranch_vccnz .LBB6_7984
; %bb.7977:                             ;   in Loop: Header=BB6_7909 Depth=2
	s_trap 2
	ds_read_b64 v[82:83], v0
	v_cmp_eq_u32_e64 s16, 0, v0
	v_cndmask_b32_e64 v0, 0, v68, s16
	s_mov_b32 s16, -1
	buffer_store_dword v0, off, s[0:3], s33 offset:260 ; 4-byte Folded Spill
	s_waitcnt lgkmcnt(0)
	v_cmp_ne_u64_e32 vcc_lo, 0, v[82:83]
	s_cbranch_vccnz .LBB6_7978
; %bb.17811:                            ;   in Loop: Header=BB6_7909 Depth=2
	s_getpc_b64 s[34:35]
.Lpost_getpc43:
	s_add_u32 s34, s34, (.LBB6_12565-.Lpost_getpc43)&4294967295
	s_addc_u32 s35, s35, (.LBB6_12565-.Lpost_getpc43)>>32
	s_setpc_b64 s[34:35]
.LBB6_7978:                             ;   in Loop: Header=BB6_7909 Depth=2
	s_and_saveexec_b32 s17, s14
	s_cbranch_execz .LBB6_7980
; %bb.7979:                             ;   in Loop: Header=BB6_7909 Depth=2
	ds_read_b32 v0, v0 offset:720
	s_waitcnt lgkmcnt(0)
	v_and_b32_e32 v0, 15, v0
	v_cmp_eq_u32_e32 vcc_lo, 0, v0
	s_orn2_b32 s16, vcc_lo, exec_lo
.LBB6_7980:                             ;   in Loop: Header=BB6_7909 Depth=2
	s_or_b32 exec_lo, exec_lo, s17
	s_and_saveexec_b32 s17, s14
	s_cbranch_execz .LBB6_7982
; %bb.7981:                             ;   in Loop: Header=BB6_7909 Depth=2
	ds_read_b32 v0, v0 offset:784
	s_waitcnt lgkmcnt(0)
	v_and_b32_e32 v0, 15, v0
	v_cmp_eq_u32_e32 vcc_lo, 0, v0
	s_and_b32 s18, s16, vcc_lo
	s_andn2_b32 s16, s16, exec_lo
	s_and_b32 s18, s18, exec_lo
	s_or_b32 s16, s16, s18
.LBB6_7982:                             ;   in Loop: Header=BB6_7909 Depth=2
	s_or_b32 exec_lo, exec_lo, s17
	s_clause 0x1
	buffer_load_dword v4, off, s[0:3], s33 offset:260
	buffer_load_dword v5, off, s[0:3], s33 offset:204
	s_xor_b32 s16, s16, -1
	v_mov_b32_e32 v1, 0
	v_cndmask_b32_e64 v0, 0, 1, s16
	s_mov_b32 s16, -1
	v_cmp_ne_u32_e32 vcc_lo, 0, v0
	s_cbranch_vccz .LBB6_7989
; %bb.7983:                             ;   in Loop: Header=BB6_7909 Depth=2
	s_and_saveexec_b32 s22, s16
	s_cbranch_execnz .LBB6_11218
; %bb.17813:                            ;   in Loop: Header=BB6_7909 Depth=2
	s_getpc_b64 s[34:35]
.Lpost_getpc44:
	s_add_u32 s34, s34, (.LBB6_12564-.Lpost_getpc44)&4294967295
	s_addc_u32 s35, s35, (.LBB6_12564-.Lpost_getpc44)>>32
	s_setpc_b64 s[34:35]
.LBB6_7984:                             ;   in Loop: Header=BB6_7909 Depth=2
	s_mov_b32 s16, 0
	s_and_saveexec_b32 s17, s6
	s_cbranch_execz .LBB6_7985
; %bb.17815:                            ;   in Loop: Header=BB6_7909 Depth=2
	s_getpc_b64 s[34:35]
.Lpost_getpc45:
	s_add_u32 s34, s34, (.LBB6_17145-.Lpost_getpc45)&4294967295
	s_addc_u32 s35, s35, (.LBB6_17145-.Lpost_getpc45)>>32
	s_setpc_b64 s[34:35]
.LBB6_7985:                             ;   in Loop: Header=BB6_7909 Depth=2
	s_or_b32 exec_lo, exec_lo, s17
                                        ; implicit-def: $vgpr0
	s_and_saveexec_b32 s17, s15
	s_xor_b32 s17, exec_lo, s17
	s_cbranch_execnz .LBB6_7986
; %bb.17817:                            ;   in Loop: Header=BB6_7909 Depth=2
	s_getpc_b64 s[34:35]
.Lpost_getpc46:
	s_add_u32 s34, s34, (.LBB6_17163-.Lpost_getpc46)&4294967295
	s_addc_u32 s35, s35, (.LBB6_17163-.Lpost_getpc46)>>32
	s_setpc_b64 s[34:35]
.LBB6_7986:                             ;   in Loop: Header=BB6_7909 Depth=2
	v_and_b32_e32 v0, 16, v100
	v_cmp_ne_u32_e32 vcc_lo, 0, v0
	v_and_b32_e32 v0, 16, v100
	s_and_b32 s18, vcc_lo, s16
	s_and_saveexec_b32 s16, s18
	s_cbranch_execz .LBB6_7988
; %bb.7987:                             ;   in Loop: Header=BB6_7909 Depth=2
	v_mov_b32_e32 v0, 1
	s_waitcnt vmcnt(0) lgkmcnt(0)
	s_waitcnt_vscnt null, 0x0
	buffer_gl1_inv
	buffer_gl0_inv
.LBB6_7988:                             ;   in Loop: Header=BB6_7909 Depth=2
	s_or_b32 exec_lo, exec_lo, s16
	s_andn2_saveexec_b32 s16, s17
	s_cbranch_execnz .LBB6_17771
; %bb.17819:                            ;   in Loop: Header=BB6_7909 Depth=2
	s_getpc_b64 s[34:35]
.Lpost_getpc47:
	s_add_u32 s34, s34, (.LBB6_17182-.Lpost_getpc47)&4294967295
	s_addc_u32 s35, s35, (.LBB6_17182-.Lpost_getpc47)>>32
	s_setpc_b64 s[34:35]
.LBB6_17771:                            ;   in Loop: Header=BB6_7909 Depth=2
	s_getpc_b64 s[34:35]
.Lpost_getpc23:
	s_add_u32 s34, s34, (.LBB6_17164-.Lpost_getpc23)&4294967295
	s_addc_u32 s35, s35, (.LBB6_17164-.Lpost_getpc23)>>32
	s_setpc_b64 s[34:35]
.LBB6_7989:                             ;   in Loop: Header=BB6_7909 Depth=2
	buffer_load_dword v1, off, s[0:3], s33 offset:260 ; 4-byte Folded Reload
	s_mov_b32 s17, exec_lo
	s_waitcnt vmcnt(0)
	v_ashrrev_i32_e32 v0, 31, v1
	v_lshrrev_b32_e32 v0, 21, v0
	v_add_nc_u32_e32 v0, v1, v0
	v_ashrrev_i32_e32 v1, 11, v0
	buffer_load_dword v0, off, s[0:3], s33 offset:332 ; 4-byte Folded Reload
	s_waitcnt vmcnt(0)
	v_sub_nc_u32_e32 v79, v1, v0
	v_cmpx_lt_i32_e32 0, v79
	s_cbranch_execz .LBB6_10561
; %bb.7990:                             ;   in Loop: Header=BB6_7909 Depth=2
	buffer_store_dword v1, off, s[0:3], s33 offset:280 ; 4-byte Folded Spill
	s_trap 2
	ds_read_b64 v[0:1], v0
	s_clause 0x2
	buffer_load_dword v4, off, s[0:3], s33 offset:440
	buffer_load_dword v5, off, s[0:3], s33 offset:264
	;; [unrolled: 1-line block ×3, first 2 shown]
	s_waitcnt lgkmcnt(0)
	v_readfirstlane_b32 s16, v0
	s_and_b32 s18, s16, 3
	s_bfe_u32 s23, s16, 0x50002
	s_flbit_i32_b32 s19, s18
	s_min_u32 s19, s19, 32
	s_sub_i32 s22, s19, 29
	s_sub_i32 s19, 30, s19
	s_lshl_b32 s22, s16, s22
	s_and_b32 s22, s22, 3
	s_cmp_eq_u32 s23, 0
	s_cselect_b32 s19, s19, s23
	s_cselect_b32 s18, s22, s18
	s_lshl_b32 s22, s16, 24
	s_lshl_b32 s19, s19, 23
	s_and_b32 s22, s22, 0x80000000
	s_add_i32 s19, s19, 0x37800000
	s_lshl_b32 s23, s18, 21
	s_or_b32 s19, s22, s19
	s_mov_b32 s18, 0
	s_or_b32 s19, s19, s23
	s_and_b32 s22, s16, 0xff
	s_waitcnt vmcnt(1)
	v_add_co_u32 v84, vcc_lo, v5, v4
	s_waitcnt vmcnt(0)
	v_add_co_ci_u32_e64 v85, null, 0, v6, vcc_lo
	v_add_co_u32 v86, vcc_lo, v82, v4
	v_add_co_ci_u32_e64 v87, null, 0, v83, vcc_lo
	v_add_co_u32 v96, vcc_lo, v69, v4
	;; [unrolled: 2-line block ×3, first 2 shown]
	v_add_co_ci_u32_e64 v99, null, 0, v1, vcc_lo
	s_branch .LBB6_7994
.LBB6_7991:                             ;   in Loop: Header=BB6_7994 Depth=3
	s_or_b32 exec_lo, exec_lo, s16
	v_lshrrev_b32_e32 v28, 21, v73
	v_min_i32_e32 v72, 31, v74
	v_cmp_gt_i32_e32 vcc_lo, 32, v74
	v_and_b32_sdwa v11, v11, v117 dst_sel:DWORD dst_unused:UNUSED_PAD src0_sel:BYTE_3 src1_sel:DWORD
	v_lshlrev_b32_e32 v72, 2, v72
	v_cndmask_b32_e32 v28, 3, v28, vcc_lo
	v_and_b32_e32 v72, 0xfc, v72
	v_or_b32_e32 v73, v74, v28
	v_and_b32_e32 v28, 3, v28
	v_cmp_ne_u32_e32 vcc_lo, 0, v73
	v_or3_b32 v11, v11, v72, v28
	v_lshlrev_b32_e32 v11, 8, v11
	v_cndmask_b32_e32 v28, 0, v11, vcc_lo
.LBB6_7992:                             ;   in Loop: Header=BB6_7994 Depth=3
	s_or_b32 exec_lo, exec_lo, s72
.LBB6_7993:                             ;   in Loop: Header=BB6_7994 Depth=3
	s_or_b32 exec_lo, exec_lo, s23
	v_or_b32_sdwa v11, v13, v101 dst_sel:WORD_1 dst_unused:UNUSED_PAD src0_sel:DWORD src1_sel:DWORD
	v_add_co_u32 v96, vcc_lo, v96, v47
	v_add_co_ci_u32_e64 v97, null, 0, v97, vcc_lo
	v_or3_b32 v13, v31, v1, v11
	v_or_b32_sdwa v1, v12, v81 dst_sel:WORD_1 dst_unused:UNUSED_PAD src0_sel:DWORD src1_sel:DWORD
	v_add_co_u32 v98, vcc_lo, v98, v47
	v_sub_nc_u32_e32 v79, v79, v103
	v_add_co_ci_u32_e64 v99, null, 0, v99, vcc_lo
	v_or3_b32 v12, v19, v7, v1
	v_or_b32_sdwa v1, v14, v112 dst_sel:WORD_1 dst_unused:UNUSED_PAD src0_sel:DWORD src1_sel:DWORD
	v_or3_b32 v14, v42, v113, v1
	v_or_b32_sdwa v1, v15, v60 dst_sel:WORD_1 dst_unused:UNUSED_PAD src0_sel:DWORD src1_sel:DWORD
	;; [unrolled: 2-line block ×14, first 2 shown]
	v_or3_b32 v8, v30, v26, v0
	global_store_dwordx4 v[84:85], v[20:23], off glc slc
	global_store_dwordx4 v[84:85], v[16:19], off offset:512 glc slc
	global_store_dwordx4 v[84:85], v[12:15], off offset:1024 glc slc
	global_store_dwordx4 v[84:85], v[5:8], off offset:1536 glc slc
	global_store_dwordx4 v[86:87], v[20:23], off glc slc
	global_store_dwordx4 v[86:87], v[16:19], off offset:512 glc slc
	global_store_dwordx4 v[86:87], v[12:15], off offset:1024 glc slc
	;; [unrolled: 1-line block ×3, first 2 shown]
	v_add_co_u32 v84, vcc_lo, v84, v47
	v_add_co_ci_u32_e64 v85, null, 0, v85, vcc_lo
	v_add_co_u32 v86, vcc_lo, v86, v47
	v_add_co_ci_u32_e64 v87, null, 0, v87, vcc_lo
	v_cmp_gt_i32_e32 vcc_lo, 1, v79
	s_or_b32 s18, vcc_lo, s18
	s_andn2_b32 exec_lo, exec_lo, s18
	s_cbranch_execz .LBB6_10560
.LBB6_7994:                             ;   Parent Loop BB6_47 Depth=1
                                        ;     Parent Loop BB6_7909 Depth=2
                                        ; =>    This Inner Loop Header: Depth=3
	s_cmpk_lt_i32 s22, 0x80
	s_cbranch_scc1 .LBB6_7998
; %bb.7995:                             ;   in Loop: Header=BB6_7994 Depth=3
	s_and_b32 s16, 0xffff, s22
	s_cmpk_eq_i32 s16, 0x80
	s_mov_b32 s16, -1
	s_cbranch_scc0 .LBB6_7997
; %bb.7996:                             ;   in Loop: Header=BB6_7994 Depth=3
	s_mov_b32 s16, 0
.LBB6_7997:                             ;   in Loop: Header=BB6_7994 Depth=3
	s_mov_b32 s23, 0x7f800001
	s_branch .LBB6_8000
.LBB6_7998:                             ;   in Loop: Header=BB6_7994 Depth=3
	s_mov_b32 s16, 0
	s_mov_b32 s23, 0x7f800001
	s_cbranch_execz .LBB6_8000
; %bb.7999:                             ;   in Loop: Header=BB6_7994 Depth=3
	s_and_b32 s16, 0xffff, s22
	s_mov_b32 s23, 0
	s_cmp_lg_u32 s16, 0
	s_cselect_b32 s16, -1, 0
.LBB6_8000:                             ;   in Loop: Header=BB6_7994 Depth=3
	s_andn2_b32 vcc_lo, exec_lo, s16
	s_cbranch_vccnz .LBB6_8002
; %bb.8001:                             ;   in Loop: Header=BB6_7994 Depth=3
	s_mov_b32 s23, s19
.LBB6_8002:                             ;   in Loop: Header=BB6_7994 Depth=3
	global_load_dwordx4 v[8:11], v[96:97], off slc
	s_mov_b32 s16, 0
	s_waitcnt vmcnt(0)
	v_cmp_gt_i16_sdwa s72, v8, v116 src0_sel:BYTE_0 src1_sel:DWORD
	s_and_saveexec_b32 s73, s72
	s_xor_b32 s72, exec_lo, s73
	s_cbranch_execz .LBB6_10176
; %bb.8003:                             ;   in Loop: Header=BB6_7994 Depth=3
	v_cmp_eq_u16_sdwa s74, v8, v117 src0_sel:BYTE_0 src1_sel:DWORD
	s_mov_b32 s16, -1
	s_and_saveexec_b32 s73, s74
; %bb.8004:                             ;   in Loop: Header=BB6_7994 Depth=3
	s_xor_b32 s16, exec_lo, -1
; %bb.8005:                             ;   in Loop: Header=BB6_7994 Depth=3
	s_or_b32 exec_lo, exec_lo, s73
	s_and_b32 s16, s16, exec_lo
	s_or_saveexec_b32 s72, s72
	v_mov_b32_e32 v0, 0x7f800001
	s_xor_b32 exec_lo, exec_lo, s72
	s_cbranch_execnz .LBB6_10177
.LBB6_8006:                             ;   in Loop: Header=BB6_7994 Depth=3
	s_or_b32 exec_lo, exec_lo, s72
	s_and_saveexec_b32 s72, s16
	s_cbranch_execz .LBB6_8008
.LBB6_8007:                             ;   in Loop: Header=BB6_7994 Depth=3
	v_and_b32_e32 v0, 3, v8
	v_bfe_u32 v5, v8, 2, 5
	v_lshlrev_b32_e32 v6, 24, v8
	v_ffbh_u32_e32 v1, v0
	v_cmp_eq_u32_e32 vcc_lo, 0, v5
	v_min_u32_e32 v1, 32, v1
	v_subrev_nc_u32_e32 v4, 29, v1
	v_sub_nc_u32_e32 v1, 30, v1
	v_lshlrev_b32_e32 v4, v4, v8
	v_cndmask_b32_e32 v1, v5, v1, vcc_lo
	v_and_b32_e32 v4, 3, v4
	v_lshl_add_u32 v1, v1, 23, 0x37800000
	v_cndmask_b32_e32 v0, v0, v4, vcc_lo
	v_and_b32_e32 v4, 0x80000000, v6
	v_lshlrev_b32_e32 v0, 21, v0
	v_or3_b32 v0, v4, v1, v0
.LBB6_8008:                             ;   in Loop: Header=BB6_7994 Depth=3
	s_or_b32 exec_lo, exec_lo, s72
	v_mul_f32_e32 v0, s23, v0
	v_mov_b32_e32 v12, 0x80
	s_mov_b32 s72, exec_lo
	v_and_b32_e32 v1, 0x7f800000, v0
	v_cmpx_ne_u32_e32 0x7f800000, v1
	s_cbranch_execz .LBB6_8016
; %bb.8009:                             ;   in Loop: Header=BB6_7994 Depth=3
	v_mov_b32_e32 v12, 0
	s_mov_b32 s73, exec_lo
	v_cmpx_ne_u32_e32 0, v0
	s_cbranch_execz .LBB6_8015
; %bb.8010:                             ;   in Loop: Header=BB6_7994 Depth=3
	v_bfe_u32 v1, v0, 23, 8
	v_and_b32_e32 v4, 0x7fffff, v0
	v_sub_nc_u32_e32 v5, 0x70, v1
	v_cmp_gt_u32_e32 vcc_lo, 0x71, v1
	v_or_b32_e32 v6, 0x800000, v4
	v_cndmask_b32_e32 v5, 0, v5, vcc_lo
	v_cmp_eq_u32_e32 vcc_lo, 0, v1
	v_add_nc_u32_e32 v1, 0xffffff91, v1
	v_cndmask_b32_e64 v5, v5, 0x6f, vcc_lo
	v_cndmask_b32_e32 v4, v6, v4, vcc_lo
	v_cndmask_b32_e64 v1, v1, 0xffffff92, vcc_lo
	v_lshl_add_u32 v6, 0x200000, v5, -1
	v_lshrrev_b32_e32 v7, v5, v4
	v_lshlrev_b32_e64 v13, v5, 0x100000
	v_add_nc_u32_e32 v5, v5, v1
	v_and_b32_e32 v4, v6, v4
	v_bfe_u32 v12, v7, 21, 1
	v_cmp_eq_u32_e64 s16, v4, v13
	v_add_nc_u32_e32 v6, -1, v12
	v_cndmask_b32_e64 v4, 0, v6, s16
	v_lshrrev_b32_e32 v6, 23, v7
	s_mov_b32 s16, exec_lo
	v_add_nc_u32_e32 v4, v4, v7
	v_xor_b32_e32 v6, 1, v6
	v_and_b32_e32 v1, 0x1fffff, v4
	v_add_nc_u32_e32 v4, v1, v7
                                        ; implicit-def: $vgpr1
	v_cmpx_ne_u32_e64 v5, v6
	s_xor_b32 s16, exec_lo, s16
; %bb.8011:                             ;   in Loop: Header=BB6_7994 Depth=3
	v_cmp_lt_u32_e32 vcc_lo, 0xffffff, v4
	v_sub_nc_u32_e32 v1, v5, v6
	v_cndmask_b32_e64 v5, 0, 1, vcc_lo
	v_add_co_ci_u32_e64 v1, null, 0, v1, vcc_lo
	v_lshrrev_b32_e32 v4, v5, v4
; %bb.8012:                             ;   in Loop: Header=BB6_7994 Depth=3
	s_andn2_saveexec_b32 s16, s16
; %bb.8013:                             ;   in Loop: Header=BB6_7994 Depth=3
	v_bfe_u32 v1, v4, 23, 1
; %bb.8014:                             ;   in Loop: Header=BB6_7994 Depth=3
	s_or_b32 exec_lo, exec_lo, s16
	v_lshrrev_b32_e32 v4, 21, v4
	v_min_i32_e32 v5, 31, v1
	v_cmp_gt_i32_e32 vcc_lo, 32, v1
	v_and_b32_sdwa v0, v0, v117 dst_sel:DWORD dst_unused:UNUSED_PAD src0_sel:BYTE_3 src1_sel:DWORD
	v_lshlrev_b32_e32 v5, 2, v5
	v_cndmask_b32_e32 v4, 3, v4, vcc_lo
	v_and_b32_e32 v5, 0xfc, v5
	v_and_b32_e32 v6, 3, v4
	v_or_b32_e32 v1, v1, v4
	v_or3_b32 v0, v5, v0, v6
	v_cmp_ne_u32_e32 vcc_lo, 0, v1
	v_cndmask_b32_e32 v12, 0, v0, vcc_lo
.LBB6_8015:                             ;   in Loop: Header=BB6_7994 Depth=3
	s_or_b32 exec_lo, exec_lo, s73
.LBB6_8016:                             ;   in Loop: Header=BB6_7994 Depth=3
	s_or_b32 exec_lo, exec_lo, s72
	v_cmp_gt_i16_sdwa s72, v8, v116 src0_sel:BYTE_1 src1_sel:DWORD
	s_mov_b32 s16, 0
	s_and_saveexec_b32 s73, s72
	s_xor_b32 s72, exec_lo, s73
	s_cbranch_execz .LBB6_10178
; %bb.8017:                             ;   in Loop: Header=BB6_7994 Depth=3
	v_cmp_eq_u16_sdwa s74, v8, v117 src0_sel:BYTE_1 src1_sel:DWORD
	s_mov_b32 s16, -1
	s_and_saveexec_b32 s73, s74
; %bb.8018:                             ;   in Loop: Header=BB6_7994 Depth=3
	s_xor_b32 s16, exec_lo, -1
; %bb.8019:                             ;   in Loop: Header=BB6_7994 Depth=3
	s_or_b32 exec_lo, exec_lo, s73
	s_and_b32 s16, s16, exec_lo
	s_or_saveexec_b32 s72, s72
	v_mov_b32_e32 v0, 0x7f800001
	s_xor_b32 exec_lo, exec_lo, s72
	s_cbranch_execnz .LBB6_10179
.LBB6_8020:                             ;   in Loop: Header=BB6_7994 Depth=3
	s_or_b32 exec_lo, exec_lo, s72
	s_and_saveexec_b32 s72, s16
	s_cbranch_execz .LBB6_8022
.LBB6_8021:                             ;   in Loop: Header=BB6_7994 Depth=3
	v_and_b32_sdwa v0, v118, v8 dst_sel:DWORD dst_unused:UNUSED_PAD src0_sel:DWORD src1_sel:BYTE_1
	v_and_b32_e32 v1, 3, v0
	v_bfe_u32 v6, v0, 2, 5
	v_ffbh_u32_e32 v4, v1
	v_cmp_eq_u32_e32 vcc_lo, 0, v6
	v_min_u32_e32 v4, 32, v4
	v_subrev_nc_u32_e32 v5, 29, v4
	v_sub_nc_u32_e32 v4, 30, v4
	v_lshlrev_b32_e32 v0, v5, v0
	v_lshlrev_b32_sdwa v5, v119, v8 dst_sel:DWORD dst_unused:UNUSED_PAD src0_sel:DWORD src1_sel:BYTE_1
	v_cndmask_b32_e32 v4, v6, v4, vcc_lo
	v_and_b32_e32 v0, 3, v0
	v_lshl_add_u32 v4, v4, 23, 0x37800000
	v_cndmask_b32_e32 v0, v1, v0, vcc_lo
	v_and_b32_e32 v1, 0x80000000, v5
	v_lshlrev_b32_e32 v0, 21, v0
	v_or3_b32 v0, v1, v4, v0
.LBB6_8022:                             ;   in Loop: Header=BB6_7994 Depth=3
	s_or_b32 exec_lo, exec_lo, s72
	v_mul_f32_e32 v0, s23, v0
	v_mov_b32_e32 v13, 0x8000
	s_mov_b32 s72, exec_lo
	v_and_b32_e32 v1, 0x7f800000, v0
	v_cmpx_ne_u32_e32 0x7f800000, v1
	s_cbranch_execz .LBB6_8030
; %bb.8023:                             ;   in Loop: Header=BB6_7994 Depth=3
	v_mov_b32_e32 v13, 0
	s_mov_b32 s73, exec_lo
	v_cmpx_ne_u32_e32 0, v0
	s_cbranch_execz .LBB6_8029
; %bb.8024:                             ;   in Loop: Header=BB6_7994 Depth=3
	v_bfe_u32 v1, v0, 23, 8
	v_and_b32_e32 v4, 0x7fffff, v0
	v_sub_nc_u32_e32 v5, 0x70, v1
	v_cmp_gt_u32_e32 vcc_lo, 0x71, v1
	v_or_b32_e32 v6, 0x800000, v4
	v_cndmask_b32_e32 v5, 0, v5, vcc_lo
	v_cmp_eq_u32_e32 vcc_lo, 0, v1
	v_add_nc_u32_e32 v1, 0xffffff91, v1
	v_cndmask_b32_e64 v5, v5, 0x6f, vcc_lo
	v_cndmask_b32_e32 v4, v6, v4, vcc_lo
	v_cndmask_b32_e64 v1, v1, 0xffffff92, vcc_lo
	v_lshl_add_u32 v6, 0x200000, v5, -1
	v_lshrrev_b32_e32 v7, v5, v4
	v_lshlrev_b32_e64 v14, v5, 0x100000
	v_add_nc_u32_e32 v5, v5, v1
	v_and_b32_e32 v4, v6, v4
	v_bfe_u32 v13, v7, 21, 1
	v_cmp_eq_u32_e64 s16, v4, v14
	v_add_nc_u32_e32 v6, -1, v13
	v_cndmask_b32_e64 v4, 0, v6, s16
	v_lshrrev_b32_e32 v6, 23, v7
	s_mov_b32 s16, exec_lo
	v_add_nc_u32_e32 v4, v4, v7
	v_xor_b32_e32 v6, 1, v6
	v_and_b32_e32 v1, 0x1fffff, v4
	v_add_nc_u32_e32 v4, v1, v7
                                        ; implicit-def: $vgpr1
	v_cmpx_ne_u32_e64 v5, v6
	s_xor_b32 s16, exec_lo, s16
; %bb.8025:                             ;   in Loop: Header=BB6_7994 Depth=3
	v_cmp_lt_u32_e32 vcc_lo, 0xffffff, v4
	v_sub_nc_u32_e32 v1, v5, v6
	v_cndmask_b32_e64 v5, 0, 1, vcc_lo
	v_add_co_ci_u32_e64 v1, null, 0, v1, vcc_lo
	v_lshrrev_b32_e32 v4, v5, v4
; %bb.8026:                             ;   in Loop: Header=BB6_7994 Depth=3
	s_andn2_saveexec_b32 s16, s16
; %bb.8027:                             ;   in Loop: Header=BB6_7994 Depth=3
	v_bfe_u32 v1, v4, 23, 1
; %bb.8028:                             ;   in Loop: Header=BB6_7994 Depth=3
	s_or_b32 exec_lo, exec_lo, s16
	v_lshrrev_b32_e32 v4, 21, v4
	v_min_i32_e32 v5, 31, v1
	v_cmp_gt_i32_e32 vcc_lo, 32, v1
	v_and_b32_sdwa v0, v0, v117 dst_sel:DWORD dst_unused:UNUSED_PAD src0_sel:BYTE_3 src1_sel:DWORD
	v_lshlrev_b32_e32 v5, 2, v5
	v_cndmask_b32_e32 v4, 3, v4, vcc_lo
	v_and_b32_e32 v5, 0xfc, v5
	v_and_b32_e32 v6, 3, v4
	v_or_b32_e32 v1, v1, v4
	v_or3_b32 v0, v0, v5, v6
	v_cmp_ne_u32_e32 vcc_lo, 0, v1
	v_lshlrev_b32_e32 v0, 8, v0
	v_cndmask_b32_e32 v13, 0, v0, vcc_lo
.LBB6_8029:                             ;   in Loop: Header=BB6_7994 Depth=3
	s_or_b32 exec_lo, exec_lo, s73
.LBB6_8030:                             ;   in Loop: Header=BB6_7994 Depth=3
	s_or_b32 exec_lo, exec_lo, s72
	v_and_b32_sdwa v1, v8, v40 dst_sel:DWORD dst_unused:UNUSED_PAD src0_sel:WORD_1 src1_sel:DWORD
	s_mov_b32 s16, 0
	s_mov_b32 s72, exec_lo
	v_cmpx_lt_i16_e32 0x7f, v1
	s_xor_b32 s72, exec_lo, s72
	s_cbranch_execz .LBB6_10180
; %bb.8031:                             ;   in Loop: Header=BB6_7994 Depth=3
	s_mov_b32 s16, -1
	s_mov_b32 s73, exec_lo
	v_cmpx_eq_u16_e32 0x80, v1
; %bb.8032:                             ;   in Loop: Header=BB6_7994 Depth=3
	s_xor_b32 s16, exec_lo, -1
; %bb.8033:                             ;   in Loop: Header=BB6_7994 Depth=3
	s_or_b32 exec_lo, exec_lo, s73
	s_and_b32 s16, s16, exec_lo
                                        ; implicit-def: $vgpr1
	s_or_saveexec_b32 s72, s72
	v_mov_b32_e32 v0, 0x7f800001
	s_xor_b32 exec_lo, exec_lo, s72
	s_cbranch_execnz .LBB6_10181
.LBB6_8034:                             ;   in Loop: Header=BB6_7994 Depth=3
	s_or_b32 exec_lo, exec_lo, s72
	s_and_saveexec_b32 s72, s16
	s_cbranch_execz .LBB6_8036
.LBB6_8035:                             ;   in Loop: Header=BB6_7994 Depth=3
	v_bfe_u32 v0, v8, 16, 2
	v_bfe_u32 v5, v8, 18, 5
	v_lshlrev_b32_e32 v6, 8, v8
	v_ffbh_u32_e32 v1, v0
	v_cmp_eq_u32_e32 vcc_lo, 0, v5
	v_min_u32_e32 v1, 32, v1
	v_subrev_nc_u32_e32 v4, 29, v1
	v_sub_nc_u32_e32 v1, 30, v1
	v_lshlrev_b32_sdwa v4, v4, v8 dst_sel:DWORD dst_unused:UNUSED_PAD src0_sel:DWORD src1_sel:WORD_1
	v_cndmask_b32_e32 v1, v5, v1, vcc_lo
	v_and_b32_e32 v4, 3, v4
	v_lshl_add_u32 v1, v1, 23, 0x37800000
	v_cndmask_b32_e32 v0, v0, v4, vcc_lo
	v_and_b32_e32 v4, 0x80000000, v6
	v_lshlrev_b32_e32 v0, 21, v0
	v_or3_b32 v0, v4, v1, v0
.LBB6_8036:                             ;   in Loop: Header=BB6_7994 Depth=3
	s_or_b32 exec_lo, exec_lo, s72
	v_mul_f32_e32 v0, s23, v0
	v_mov_b32_e32 v53, 0x80
	s_mov_b32 s72, exec_lo
	v_and_b32_e32 v1, 0x7f800000, v0
	v_cmpx_ne_u32_e32 0x7f800000, v1
	s_cbranch_execz .LBB6_8044
; %bb.8037:                             ;   in Loop: Header=BB6_7994 Depth=3
	v_mov_b32_e32 v53, 0
	s_mov_b32 s73, exec_lo
	v_cmpx_ne_u32_e32 0, v0
	s_cbranch_execz .LBB6_8043
; %bb.8038:                             ;   in Loop: Header=BB6_7994 Depth=3
	v_bfe_u32 v1, v0, 23, 8
	v_and_b32_e32 v4, 0x7fffff, v0
	v_sub_nc_u32_e32 v5, 0x70, v1
	v_cmp_gt_u32_e32 vcc_lo, 0x71, v1
	v_or_b32_e32 v6, 0x800000, v4
	v_cndmask_b32_e32 v5, 0, v5, vcc_lo
	v_cmp_eq_u32_e32 vcc_lo, 0, v1
	v_add_nc_u32_e32 v1, 0xffffff91, v1
	v_cndmask_b32_e64 v5, v5, 0x6f, vcc_lo
	v_cndmask_b32_e32 v4, v6, v4, vcc_lo
	v_cndmask_b32_e64 v1, v1, 0xffffff92, vcc_lo
	v_lshl_add_u32 v6, 0x200000, v5, -1
	v_lshrrev_b32_e32 v7, v5, v4
	v_lshlrev_b32_e64 v15, v5, 0x100000
	v_add_nc_u32_e32 v5, v5, v1
	v_and_b32_e32 v4, v6, v4
	v_bfe_u32 v14, v7, 21, 1
	v_cmp_eq_u32_e64 s16, v4, v15
	v_add_nc_u32_e32 v6, -1, v14
	v_cndmask_b32_e64 v4, 0, v6, s16
	v_lshrrev_b32_e32 v6, 23, v7
	s_mov_b32 s16, exec_lo
	v_add_nc_u32_e32 v4, v4, v7
	v_xor_b32_e32 v6, 1, v6
	v_and_b32_e32 v1, 0x1fffff, v4
	v_add_nc_u32_e32 v4, v1, v7
                                        ; implicit-def: $vgpr1
	v_cmpx_ne_u32_e64 v5, v6
	s_xor_b32 s16, exec_lo, s16
; %bb.8039:                             ;   in Loop: Header=BB6_7994 Depth=3
	v_cmp_lt_u32_e32 vcc_lo, 0xffffff, v4
	v_sub_nc_u32_e32 v1, v5, v6
	v_cndmask_b32_e64 v5, 0, 1, vcc_lo
	v_add_co_ci_u32_e64 v1, null, 0, v1, vcc_lo
	v_lshrrev_b32_e32 v4, v5, v4
; %bb.8040:                             ;   in Loop: Header=BB6_7994 Depth=3
	s_andn2_saveexec_b32 s16, s16
; %bb.8041:                             ;   in Loop: Header=BB6_7994 Depth=3
	v_bfe_u32 v1, v4, 23, 1
; %bb.8042:                             ;   in Loop: Header=BB6_7994 Depth=3
	s_or_b32 exec_lo, exec_lo, s16
	v_lshrrev_b32_e32 v4, 21, v4
	v_min_i32_e32 v5, 31, v1
	v_cmp_gt_i32_e32 vcc_lo, 32, v1
	v_and_b32_sdwa v0, v0, v117 dst_sel:DWORD dst_unused:UNUSED_PAD src0_sel:BYTE_3 src1_sel:DWORD
	v_lshlrev_b32_e32 v5, 2, v5
	v_cndmask_b32_e32 v4, 3, v4, vcc_lo
	v_and_b32_e32 v5, 0xfc, v5
	v_and_b32_e32 v6, 3, v4
	v_or_b32_e32 v1, v1, v4
	v_or3_b32 v0, v5, v0, v6
	v_cmp_ne_u32_e32 vcc_lo, 0, v1
	v_cndmask_b32_e32 v53, 0, v0, vcc_lo
.LBB6_8043:                             ;   in Loop: Header=BB6_7994 Depth=3
	s_or_b32 exec_lo, exec_lo, s73
.LBB6_8044:                             ;   in Loop: Header=BB6_7994 Depth=3
	s_or_b32 exec_lo, exec_lo, s72
	v_cmp_gt_i16_sdwa s72, v8, v116 src0_sel:BYTE_3 src1_sel:DWORD
	s_mov_b32 s16, 0
	s_and_saveexec_b32 s73, s72
	s_xor_b32 s72, exec_lo, s73
	s_cbranch_execz .LBB6_10182
; %bb.8045:                             ;   in Loop: Header=BB6_7994 Depth=3
	v_cmp_eq_u16_sdwa s74, v8, v117 src0_sel:BYTE_3 src1_sel:DWORD
	s_mov_b32 s16, -1
	s_and_saveexec_b32 s73, s74
; %bb.8046:                             ;   in Loop: Header=BB6_7994 Depth=3
	s_xor_b32 s16, exec_lo, -1
; %bb.8047:                             ;   in Loop: Header=BB6_7994 Depth=3
	s_or_b32 exec_lo, exec_lo, s73
	s_and_b32 s16, s16, exec_lo
	s_or_saveexec_b32 s72, s72
	v_mov_b32_e32 v0, 0x7f800001
	s_xor_b32 exec_lo, exec_lo, s72
	s_cbranch_execnz .LBB6_10183
.LBB6_8048:                             ;   in Loop: Header=BB6_7994 Depth=3
	s_or_b32 exec_lo, exec_lo, s72
	s_and_saveexec_b32 s72, s16
	s_cbranch_execz .LBB6_8050
.LBB6_8049:                             ;   in Loop: Header=BB6_7994 Depth=3
	v_bfe_u32 v0, v8, 24, 2
	v_bfe_u32 v5, v8, 26, 5
	v_ffbh_u32_e32 v1, v0
	v_cmp_eq_u32_e32 vcc_lo, 0, v5
	v_min_u32_e32 v1, 32, v1
	v_subrev_nc_u32_e32 v4, 29, v1
	v_sub_nc_u32_e32 v1, 30, v1
	v_lshlrev_b32_sdwa v4, v4, v8 dst_sel:DWORD dst_unused:UNUSED_PAD src0_sel:DWORD src1_sel:BYTE_3
	v_cndmask_b32_e32 v1, v5, v1, vcc_lo
	v_and_b32_e32 v4, 3, v4
	v_lshl_add_u32 v1, v1, 23, 0x37800000
	v_cndmask_b32_e32 v0, v0, v4, vcc_lo
	v_and_b32_e32 v4, 0x80000000, v8
	v_lshlrev_b32_e32 v0, 21, v0
	v_or3_b32 v0, v4, v1, v0
.LBB6_8050:                             ;   in Loop: Header=BB6_7994 Depth=3
	s_or_b32 exec_lo, exec_lo, s72
	v_mul_f32_e32 v0, s23, v0
	v_mov_b32_e32 v106, 0x8000
	s_mov_b32 s72, exec_lo
	v_and_b32_e32 v1, 0x7f800000, v0
	v_cmpx_ne_u32_e32 0x7f800000, v1
	s_cbranch_execz .LBB6_8058
; %bb.8051:                             ;   in Loop: Header=BB6_7994 Depth=3
	v_mov_b32_e32 v106, 0
	s_mov_b32 s73, exec_lo
	v_cmpx_ne_u32_e32 0, v0
	s_cbranch_execz .LBB6_8057
; %bb.8052:                             ;   in Loop: Header=BB6_7994 Depth=3
	v_bfe_u32 v1, v0, 23, 8
	v_and_b32_e32 v4, 0x7fffff, v0
	v_sub_nc_u32_e32 v5, 0x70, v1
	v_cmp_gt_u32_e32 vcc_lo, 0x71, v1
	v_or_b32_e32 v6, 0x800000, v4
	v_cndmask_b32_e32 v5, 0, v5, vcc_lo
	v_cmp_eq_u32_e32 vcc_lo, 0, v1
	v_add_nc_u32_e32 v1, 0xffffff91, v1
	v_cndmask_b32_e64 v5, v5, 0x6f, vcc_lo
	v_cndmask_b32_e32 v4, v6, v4, vcc_lo
	v_cndmask_b32_e64 v1, v1, 0xffffff92, vcc_lo
	v_lshl_add_u32 v6, 0x200000, v5, -1
	v_lshrrev_b32_e32 v7, v5, v4
	v_lshlrev_b32_e64 v14, v5, 0x100000
	v_add_nc_u32_e32 v5, v5, v1
	v_and_b32_e32 v4, v6, v4
	v_bfe_u32 v8, v7, 21, 1
	v_cmp_eq_u32_e64 s16, v4, v14
	v_add_nc_u32_e32 v6, -1, v8
	v_cndmask_b32_e64 v4, 0, v6, s16
	v_lshrrev_b32_e32 v6, 23, v7
	s_mov_b32 s16, exec_lo
	v_add_nc_u32_e32 v4, v4, v7
	v_xor_b32_e32 v6, 1, v6
	v_and_b32_e32 v1, 0x1fffff, v4
	v_add_nc_u32_e32 v4, v1, v7
                                        ; implicit-def: $vgpr1
	v_cmpx_ne_u32_e64 v5, v6
	s_xor_b32 s16, exec_lo, s16
; %bb.8053:                             ;   in Loop: Header=BB6_7994 Depth=3
	v_cmp_lt_u32_e32 vcc_lo, 0xffffff, v4
	v_sub_nc_u32_e32 v1, v5, v6
	v_cndmask_b32_e64 v5, 0, 1, vcc_lo
	v_add_co_ci_u32_e64 v1, null, 0, v1, vcc_lo
	v_lshrrev_b32_e32 v4, v5, v4
; %bb.8054:                             ;   in Loop: Header=BB6_7994 Depth=3
	s_andn2_saveexec_b32 s16, s16
; %bb.8055:                             ;   in Loop: Header=BB6_7994 Depth=3
	v_bfe_u32 v1, v4, 23, 1
; %bb.8056:                             ;   in Loop: Header=BB6_7994 Depth=3
	s_or_b32 exec_lo, exec_lo, s16
	v_lshrrev_b32_e32 v4, 21, v4
	v_min_i32_e32 v5, 31, v1
	v_cmp_gt_i32_e32 vcc_lo, 32, v1
	v_and_b32_sdwa v0, v0, v117 dst_sel:DWORD dst_unused:UNUSED_PAD src0_sel:BYTE_3 src1_sel:DWORD
	v_lshlrev_b32_e32 v5, 2, v5
	v_cndmask_b32_e32 v4, 3, v4, vcc_lo
	v_and_b32_e32 v5, 0xfc, v5
	v_and_b32_e32 v6, 3, v4
	v_or_b32_e32 v1, v1, v4
	v_or3_b32 v0, v0, v5, v6
	v_cmp_ne_u32_e32 vcc_lo, 0, v1
	v_lshlrev_b32_e32 v0, 8, v0
	v_cndmask_b32_e32 v106, 0, v0, vcc_lo
.LBB6_8057:                             ;   in Loop: Header=BB6_7994 Depth=3
	s_or_b32 exec_lo, exec_lo, s73
.LBB6_8058:                             ;   in Loop: Header=BB6_7994 Depth=3
	s_or_b32 exec_lo, exec_lo, s72
	v_cmp_gt_i16_sdwa s72, v9, v116 src0_sel:BYTE_0 src1_sel:DWORD
	s_mov_b32 s16, 0
	s_and_saveexec_b32 s73, s72
	s_xor_b32 s72, exec_lo, s73
	s_cbranch_execz .LBB6_10184
; %bb.8059:                             ;   in Loop: Header=BB6_7994 Depth=3
	v_cmp_eq_u16_sdwa s74, v9, v117 src0_sel:BYTE_0 src1_sel:DWORD
	s_mov_b32 s16, -1
	s_and_saveexec_b32 s73, s74
; %bb.8060:                             ;   in Loop: Header=BB6_7994 Depth=3
	s_xor_b32 s16, exec_lo, -1
; %bb.8061:                             ;   in Loop: Header=BB6_7994 Depth=3
	s_or_b32 exec_lo, exec_lo, s73
	s_and_b32 s16, s16, exec_lo
	s_or_saveexec_b32 s72, s72
	v_mov_b32_e32 v0, 0x7f800001
	s_xor_b32 exec_lo, exec_lo, s72
	s_cbranch_execnz .LBB6_10185
.LBB6_8062:                             ;   in Loop: Header=BB6_7994 Depth=3
	s_or_b32 exec_lo, exec_lo, s72
	s_and_saveexec_b32 s72, s16
	s_cbranch_execz .LBB6_8064
.LBB6_8063:                             ;   in Loop: Header=BB6_7994 Depth=3
	v_and_b32_e32 v0, 3, v9
	v_bfe_u32 v5, v9, 2, 5
	v_lshlrev_b32_e32 v6, 24, v9
	v_ffbh_u32_e32 v1, v0
	v_cmp_eq_u32_e32 vcc_lo, 0, v5
	v_min_u32_e32 v1, 32, v1
	v_subrev_nc_u32_e32 v4, 29, v1
	v_sub_nc_u32_e32 v1, 30, v1
	v_lshlrev_b32_e32 v4, v4, v9
	v_cndmask_b32_e32 v1, v5, v1, vcc_lo
	v_and_b32_e32 v4, 3, v4
	v_lshl_add_u32 v1, v1, 23, 0x37800000
	v_cndmask_b32_e32 v0, v0, v4, vcc_lo
	v_and_b32_e32 v4, 0x80000000, v6
	v_lshlrev_b32_e32 v0, 21, v0
	v_or3_b32 v0, v4, v1, v0
.LBB6_8064:                             ;   in Loop: Header=BB6_7994 Depth=3
	s_or_b32 exec_lo, exec_lo, s72
	v_mul_f32_e32 v0, s23, v0
	v_mov_b32_e32 v95, 0x80
	s_mov_b32 s72, exec_lo
	v_and_b32_e32 v1, 0x7f800000, v0
	v_cmpx_ne_u32_e32 0x7f800000, v1
	s_cbranch_execz .LBB6_8072
; %bb.8065:                             ;   in Loop: Header=BB6_7994 Depth=3
	v_mov_b32_e32 v95, 0
	s_mov_b32 s73, exec_lo
	v_cmpx_ne_u32_e32 0, v0
	s_cbranch_execz .LBB6_8071
; %bb.8066:                             ;   in Loop: Header=BB6_7994 Depth=3
	v_bfe_u32 v1, v0, 23, 8
	v_and_b32_e32 v4, 0x7fffff, v0
	v_sub_nc_u32_e32 v5, 0x70, v1
	v_cmp_gt_u32_e32 vcc_lo, 0x71, v1
	v_or_b32_e32 v6, 0x800000, v4
	v_cndmask_b32_e32 v5, 0, v5, vcc_lo
	v_cmp_eq_u32_e32 vcc_lo, 0, v1
	v_add_nc_u32_e32 v1, 0xffffff91, v1
	v_cndmask_b32_e64 v5, v5, 0x6f, vcc_lo
	v_cndmask_b32_e32 v4, v6, v4, vcc_lo
	v_cndmask_b32_e64 v1, v1, 0xffffff92, vcc_lo
	v_lshl_add_u32 v6, 0x200000, v5, -1
	v_lshrrev_b32_e32 v7, v5, v4
	v_lshlrev_b32_e64 v14, v5, 0x100000
	v_add_nc_u32_e32 v5, v5, v1
	v_and_b32_e32 v4, v6, v4
	v_bfe_u32 v8, v7, 21, 1
	v_cmp_eq_u32_e64 s16, v4, v14
	v_add_nc_u32_e32 v6, -1, v8
	v_cndmask_b32_e64 v4, 0, v6, s16
	v_lshrrev_b32_e32 v6, 23, v7
	s_mov_b32 s16, exec_lo
	v_add_nc_u32_e32 v4, v4, v7
	v_xor_b32_e32 v6, 1, v6
	v_and_b32_e32 v1, 0x1fffff, v4
	v_add_nc_u32_e32 v4, v1, v7
                                        ; implicit-def: $vgpr1
	v_cmpx_ne_u32_e64 v5, v6
	s_xor_b32 s16, exec_lo, s16
; %bb.8067:                             ;   in Loop: Header=BB6_7994 Depth=3
	v_cmp_lt_u32_e32 vcc_lo, 0xffffff, v4
	v_sub_nc_u32_e32 v1, v5, v6
	v_cndmask_b32_e64 v5, 0, 1, vcc_lo
	v_add_co_ci_u32_e64 v1, null, 0, v1, vcc_lo
	v_lshrrev_b32_e32 v4, v5, v4
; %bb.8068:                             ;   in Loop: Header=BB6_7994 Depth=3
	s_andn2_saveexec_b32 s16, s16
; %bb.8069:                             ;   in Loop: Header=BB6_7994 Depth=3
	v_bfe_u32 v1, v4, 23, 1
; %bb.8070:                             ;   in Loop: Header=BB6_7994 Depth=3
	s_or_b32 exec_lo, exec_lo, s16
	v_lshrrev_b32_e32 v4, 21, v4
	v_min_i32_e32 v5, 31, v1
	v_cmp_gt_i32_e32 vcc_lo, 32, v1
	v_and_b32_sdwa v0, v0, v117 dst_sel:DWORD dst_unused:UNUSED_PAD src0_sel:BYTE_3 src1_sel:DWORD
	v_lshlrev_b32_e32 v5, 2, v5
	v_cndmask_b32_e32 v4, 3, v4, vcc_lo
	v_and_b32_e32 v5, 0xfc, v5
	v_and_b32_e32 v6, 3, v4
	v_or_b32_e32 v1, v1, v4
	v_or3_b32 v0, v5, v0, v6
	v_cmp_ne_u32_e32 vcc_lo, 0, v1
	v_cndmask_b32_e32 v95, 0, v0, vcc_lo
.LBB6_8071:                             ;   in Loop: Header=BB6_7994 Depth=3
	s_or_b32 exec_lo, exec_lo, s73
.LBB6_8072:                             ;   in Loop: Header=BB6_7994 Depth=3
	s_or_b32 exec_lo, exec_lo, s72
	v_cmp_gt_i16_sdwa s72, v9, v116 src0_sel:BYTE_1 src1_sel:DWORD
	s_mov_b32 s16, 0
	s_and_saveexec_b32 s73, s72
	s_xor_b32 s72, exec_lo, s73
	s_cbranch_execz .LBB6_10186
; %bb.8073:                             ;   in Loop: Header=BB6_7994 Depth=3
	v_cmp_eq_u16_sdwa s74, v9, v117 src0_sel:BYTE_1 src1_sel:DWORD
	s_mov_b32 s16, -1
	s_and_saveexec_b32 s73, s74
; %bb.8074:                             ;   in Loop: Header=BB6_7994 Depth=3
	s_xor_b32 s16, exec_lo, -1
; %bb.8075:                             ;   in Loop: Header=BB6_7994 Depth=3
	s_or_b32 exec_lo, exec_lo, s73
	s_and_b32 s16, s16, exec_lo
	s_or_saveexec_b32 s72, s72
	v_mov_b32_e32 v0, 0x7f800001
	s_xor_b32 exec_lo, exec_lo, s72
	s_cbranch_execnz .LBB6_10187
.LBB6_8076:                             ;   in Loop: Header=BB6_7994 Depth=3
	s_or_b32 exec_lo, exec_lo, s72
	s_and_saveexec_b32 s72, s16
	s_cbranch_execz .LBB6_8078
.LBB6_8077:                             ;   in Loop: Header=BB6_7994 Depth=3
	v_and_b32_sdwa v0, v118, v9 dst_sel:DWORD dst_unused:UNUSED_PAD src0_sel:DWORD src1_sel:BYTE_1
	v_and_b32_e32 v1, 3, v0
	v_bfe_u32 v6, v0, 2, 5
	v_ffbh_u32_e32 v4, v1
	v_cmp_eq_u32_e32 vcc_lo, 0, v6
	v_min_u32_e32 v4, 32, v4
	v_subrev_nc_u32_e32 v5, 29, v4
	v_sub_nc_u32_e32 v4, 30, v4
	v_lshlrev_b32_e32 v0, v5, v0
	v_lshlrev_b32_sdwa v5, v119, v9 dst_sel:DWORD dst_unused:UNUSED_PAD src0_sel:DWORD src1_sel:BYTE_1
	v_cndmask_b32_e32 v4, v6, v4, vcc_lo
	v_and_b32_e32 v0, 3, v0
	v_lshl_add_u32 v4, v4, 23, 0x37800000
	v_cndmask_b32_e32 v0, v1, v0, vcc_lo
	v_and_b32_e32 v1, 0x80000000, v5
	v_lshlrev_b32_e32 v0, 21, v0
	v_or3_b32 v0, v1, v4, v0
.LBB6_8078:                             ;   in Loop: Header=BB6_7994 Depth=3
	s_or_b32 exec_lo, exec_lo, s72
	v_mul_f32_e32 v0, s23, v0
	v_mov_b32_e32 v115, 0x8000
	s_mov_b32 s72, exec_lo
	v_and_b32_e32 v1, 0x7f800000, v0
	v_cmpx_ne_u32_e32 0x7f800000, v1
	s_cbranch_execz .LBB6_8086
; %bb.8079:                             ;   in Loop: Header=BB6_7994 Depth=3
	v_mov_b32_e32 v115, 0
	s_mov_b32 s73, exec_lo
	v_cmpx_ne_u32_e32 0, v0
	s_cbranch_execz .LBB6_8085
; %bb.8080:                             ;   in Loop: Header=BB6_7994 Depth=3
	v_bfe_u32 v1, v0, 23, 8
	v_and_b32_e32 v4, 0x7fffff, v0
	v_sub_nc_u32_e32 v5, 0x70, v1
	v_cmp_gt_u32_e32 vcc_lo, 0x71, v1
	v_or_b32_e32 v6, 0x800000, v4
	v_cndmask_b32_e32 v5, 0, v5, vcc_lo
	v_cmp_eq_u32_e32 vcc_lo, 0, v1
	v_add_nc_u32_e32 v1, 0xffffff91, v1
	v_cndmask_b32_e64 v5, v5, 0x6f, vcc_lo
	v_cndmask_b32_e32 v4, v6, v4, vcc_lo
	v_cndmask_b32_e64 v1, v1, 0xffffff92, vcc_lo
	v_lshl_add_u32 v6, 0x200000, v5, -1
	v_lshrrev_b32_e32 v7, v5, v4
	v_lshlrev_b32_e64 v14, v5, 0x100000
	v_add_nc_u32_e32 v5, v5, v1
	v_and_b32_e32 v4, v6, v4
	v_bfe_u32 v8, v7, 21, 1
	v_cmp_eq_u32_e64 s16, v4, v14
	v_add_nc_u32_e32 v6, -1, v8
	v_cndmask_b32_e64 v4, 0, v6, s16
	v_lshrrev_b32_e32 v6, 23, v7
	s_mov_b32 s16, exec_lo
	v_add_nc_u32_e32 v4, v4, v7
	v_xor_b32_e32 v6, 1, v6
	v_and_b32_e32 v1, 0x1fffff, v4
	v_add_nc_u32_e32 v4, v1, v7
                                        ; implicit-def: $vgpr1
	v_cmpx_ne_u32_e64 v5, v6
	s_xor_b32 s16, exec_lo, s16
; %bb.8081:                             ;   in Loop: Header=BB6_7994 Depth=3
	v_cmp_lt_u32_e32 vcc_lo, 0xffffff, v4
	v_sub_nc_u32_e32 v1, v5, v6
	v_cndmask_b32_e64 v5, 0, 1, vcc_lo
	v_add_co_ci_u32_e64 v1, null, 0, v1, vcc_lo
	v_lshrrev_b32_e32 v4, v5, v4
; %bb.8082:                             ;   in Loop: Header=BB6_7994 Depth=3
	s_andn2_saveexec_b32 s16, s16
; %bb.8083:                             ;   in Loop: Header=BB6_7994 Depth=3
	v_bfe_u32 v1, v4, 23, 1
; %bb.8084:                             ;   in Loop: Header=BB6_7994 Depth=3
	s_or_b32 exec_lo, exec_lo, s16
	v_lshrrev_b32_e32 v4, 21, v4
	v_min_i32_e32 v5, 31, v1
	v_cmp_gt_i32_e32 vcc_lo, 32, v1
	v_and_b32_sdwa v0, v0, v117 dst_sel:DWORD dst_unused:UNUSED_PAD src0_sel:BYTE_3 src1_sel:DWORD
	v_lshlrev_b32_e32 v5, 2, v5
	v_cndmask_b32_e32 v4, 3, v4, vcc_lo
	v_and_b32_e32 v5, 0xfc, v5
	v_and_b32_e32 v6, 3, v4
	v_or_b32_e32 v1, v1, v4
	v_or3_b32 v0, v0, v5, v6
	v_cmp_ne_u32_e32 vcc_lo, 0, v1
	v_lshlrev_b32_e32 v0, 8, v0
	v_cndmask_b32_e32 v115, 0, v0, vcc_lo
.LBB6_8085:                             ;   in Loop: Header=BB6_7994 Depth=3
	s_or_b32 exec_lo, exec_lo, s73
.LBB6_8086:                             ;   in Loop: Header=BB6_7994 Depth=3
	s_or_b32 exec_lo, exec_lo, s72
	v_and_b32_sdwa v1, v9, v40 dst_sel:DWORD dst_unused:UNUSED_PAD src0_sel:WORD_1 src1_sel:DWORD
	s_mov_b32 s16, 0
	s_mov_b32 s72, exec_lo
	v_cmpx_lt_i16_e32 0x7f, v1
	s_xor_b32 s72, exec_lo, s72
	s_cbranch_execz .LBB6_10188
; %bb.8087:                             ;   in Loop: Header=BB6_7994 Depth=3
	s_mov_b32 s16, -1
	s_mov_b32 s73, exec_lo
	v_cmpx_eq_u16_e32 0x80, v1
; %bb.8088:                             ;   in Loop: Header=BB6_7994 Depth=3
	s_xor_b32 s16, exec_lo, -1
; %bb.8089:                             ;   in Loop: Header=BB6_7994 Depth=3
	s_or_b32 exec_lo, exec_lo, s73
	s_and_b32 s16, s16, exec_lo
                                        ; implicit-def: $vgpr1
	s_or_saveexec_b32 s72, s72
	v_mov_b32_e32 v0, 0x7f800001
	s_xor_b32 exec_lo, exec_lo, s72
	s_cbranch_execnz .LBB6_10189
.LBB6_8090:                             ;   in Loop: Header=BB6_7994 Depth=3
	s_or_b32 exec_lo, exec_lo, s72
	s_and_saveexec_b32 s72, s16
	s_cbranch_execz .LBB6_8092
.LBB6_8091:                             ;   in Loop: Header=BB6_7994 Depth=3
	v_bfe_u32 v0, v9, 16, 2
	v_bfe_u32 v5, v9, 18, 5
	v_lshlrev_b32_e32 v6, 8, v9
	v_ffbh_u32_e32 v1, v0
	v_cmp_eq_u32_e32 vcc_lo, 0, v5
	v_min_u32_e32 v1, 32, v1
	v_subrev_nc_u32_e32 v4, 29, v1
	v_sub_nc_u32_e32 v1, 30, v1
	v_lshlrev_b32_sdwa v4, v4, v9 dst_sel:DWORD dst_unused:UNUSED_PAD src0_sel:DWORD src1_sel:WORD_1
	v_cndmask_b32_e32 v1, v5, v1, vcc_lo
	v_and_b32_e32 v4, 3, v4
	v_lshl_add_u32 v1, v1, 23, 0x37800000
	v_cndmask_b32_e32 v0, v0, v4, vcc_lo
	v_and_b32_e32 v4, 0x80000000, v6
	v_lshlrev_b32_e32 v0, 21, v0
	v_or3_b32 v0, v4, v1, v0
.LBB6_8092:                             ;   in Loop: Header=BB6_7994 Depth=3
	s_or_b32 exec_lo, exec_lo, s72
	v_mul_f32_e32 v0, s23, v0
	v_mov_b32_e32 v76, 0x80
	s_mov_b32 s72, exec_lo
	v_and_b32_e32 v1, 0x7f800000, v0
	v_cmpx_ne_u32_e32 0x7f800000, v1
	s_cbranch_execz .LBB6_8100
; %bb.8093:                             ;   in Loop: Header=BB6_7994 Depth=3
	v_mov_b32_e32 v76, 0
	s_mov_b32 s73, exec_lo
	v_cmpx_ne_u32_e32 0, v0
	s_cbranch_execz .LBB6_8099
; %bb.8094:                             ;   in Loop: Header=BB6_7994 Depth=3
	v_bfe_u32 v1, v0, 23, 8
	v_and_b32_e32 v4, 0x7fffff, v0
	v_sub_nc_u32_e32 v5, 0x70, v1
	v_cmp_gt_u32_e32 vcc_lo, 0x71, v1
	v_or_b32_e32 v6, 0x800000, v4
	v_cndmask_b32_e32 v5, 0, v5, vcc_lo
	v_cmp_eq_u32_e32 vcc_lo, 0, v1
	v_add_nc_u32_e32 v1, 0xffffff91, v1
	v_cndmask_b32_e64 v5, v5, 0x6f, vcc_lo
	v_cndmask_b32_e32 v4, v6, v4, vcc_lo
	v_cndmask_b32_e64 v1, v1, 0xffffff92, vcc_lo
	v_lshl_add_u32 v6, 0x200000, v5, -1
	v_lshrrev_b32_e32 v7, v5, v4
	v_lshlrev_b32_e64 v14, v5, 0x100000
	v_add_nc_u32_e32 v5, v5, v1
	v_and_b32_e32 v4, v6, v4
	v_bfe_u32 v8, v7, 21, 1
	v_cmp_eq_u32_e64 s16, v4, v14
	v_add_nc_u32_e32 v6, -1, v8
	v_cndmask_b32_e64 v4, 0, v6, s16
	v_lshrrev_b32_e32 v6, 23, v7
	s_mov_b32 s16, exec_lo
	v_add_nc_u32_e32 v4, v4, v7
	v_xor_b32_e32 v6, 1, v6
	v_and_b32_e32 v1, 0x1fffff, v4
	v_add_nc_u32_e32 v4, v1, v7
                                        ; implicit-def: $vgpr1
	v_cmpx_ne_u32_e64 v5, v6
	s_xor_b32 s16, exec_lo, s16
; %bb.8095:                             ;   in Loop: Header=BB6_7994 Depth=3
	v_cmp_lt_u32_e32 vcc_lo, 0xffffff, v4
	v_sub_nc_u32_e32 v1, v5, v6
	v_cndmask_b32_e64 v5, 0, 1, vcc_lo
	v_add_co_ci_u32_e64 v1, null, 0, v1, vcc_lo
	v_lshrrev_b32_e32 v4, v5, v4
; %bb.8096:                             ;   in Loop: Header=BB6_7994 Depth=3
	s_andn2_saveexec_b32 s16, s16
; %bb.8097:                             ;   in Loop: Header=BB6_7994 Depth=3
	v_bfe_u32 v1, v4, 23, 1
; %bb.8098:                             ;   in Loop: Header=BB6_7994 Depth=3
	s_or_b32 exec_lo, exec_lo, s16
	v_lshrrev_b32_e32 v4, 21, v4
	v_min_i32_e32 v5, 31, v1
	v_cmp_gt_i32_e32 vcc_lo, 32, v1
	v_and_b32_sdwa v0, v0, v117 dst_sel:DWORD dst_unused:UNUSED_PAD src0_sel:BYTE_3 src1_sel:DWORD
	v_lshlrev_b32_e32 v5, 2, v5
	v_cndmask_b32_e32 v4, 3, v4, vcc_lo
	v_and_b32_e32 v5, 0xfc, v5
	v_and_b32_e32 v6, 3, v4
	v_or_b32_e32 v1, v1, v4
	v_or3_b32 v0, v5, v0, v6
	v_cmp_ne_u32_e32 vcc_lo, 0, v1
	v_cndmask_b32_e32 v76, 0, v0, vcc_lo
.LBB6_8099:                             ;   in Loop: Header=BB6_7994 Depth=3
	s_or_b32 exec_lo, exec_lo, s73
.LBB6_8100:                             ;   in Loop: Header=BB6_7994 Depth=3
	s_or_b32 exec_lo, exec_lo, s72
	v_cmp_gt_i16_sdwa s72, v9, v116 src0_sel:BYTE_3 src1_sel:DWORD
	s_mov_b32 s16, 0
	s_and_saveexec_b32 s73, s72
	s_xor_b32 s72, exec_lo, s73
	s_cbranch_execz .LBB6_10190
; %bb.8101:                             ;   in Loop: Header=BB6_7994 Depth=3
	v_cmp_eq_u16_sdwa s74, v9, v117 src0_sel:BYTE_3 src1_sel:DWORD
	s_mov_b32 s16, -1
	s_and_saveexec_b32 s73, s74
; %bb.8102:                             ;   in Loop: Header=BB6_7994 Depth=3
	s_xor_b32 s16, exec_lo, -1
; %bb.8103:                             ;   in Loop: Header=BB6_7994 Depth=3
	s_or_b32 exec_lo, exec_lo, s73
	s_and_b32 s16, s16, exec_lo
	s_or_saveexec_b32 s72, s72
	v_mov_b32_e32 v0, 0x7f800001
	s_xor_b32 exec_lo, exec_lo, s72
	s_cbranch_execnz .LBB6_10191
.LBB6_8104:                             ;   in Loop: Header=BB6_7994 Depth=3
	s_or_b32 exec_lo, exec_lo, s72
	s_and_saveexec_b32 s72, s16
	s_cbranch_execz .LBB6_8106
.LBB6_8105:                             ;   in Loop: Header=BB6_7994 Depth=3
	v_bfe_u32 v0, v9, 24, 2
	v_bfe_u32 v5, v9, 26, 5
	v_ffbh_u32_e32 v1, v0
	v_cmp_eq_u32_e32 vcc_lo, 0, v5
	v_min_u32_e32 v1, 32, v1
	v_subrev_nc_u32_e32 v4, 29, v1
	v_sub_nc_u32_e32 v1, 30, v1
	v_lshlrev_b32_sdwa v4, v4, v9 dst_sel:DWORD dst_unused:UNUSED_PAD src0_sel:DWORD src1_sel:BYTE_3
	v_cndmask_b32_e32 v1, v5, v1, vcc_lo
	v_and_b32_e32 v4, 3, v4
	v_lshl_add_u32 v1, v1, 23, 0x37800000
	v_cndmask_b32_e32 v0, v0, v4, vcc_lo
	v_and_b32_e32 v4, 0x80000000, v9
	v_lshlrev_b32_e32 v0, 21, v0
	v_or3_b32 v0, v4, v1, v0
.LBB6_8106:                             ;   in Loop: Header=BB6_7994 Depth=3
	s_or_b32 exec_lo, exec_lo, s72
	v_mul_f32_e32 v0, s23, v0
	v_mov_b32_e32 v111, 0x8000
	s_mov_b32 s72, exec_lo
	v_and_b32_e32 v1, 0x7f800000, v0
	v_cmpx_ne_u32_e32 0x7f800000, v1
	s_cbranch_execz .LBB6_8114
; %bb.8107:                             ;   in Loop: Header=BB6_7994 Depth=3
	v_mov_b32_e32 v111, 0
	s_mov_b32 s73, exec_lo
	v_cmpx_ne_u32_e32 0, v0
	s_cbranch_execz .LBB6_8113
; %bb.8108:                             ;   in Loop: Header=BB6_7994 Depth=3
	v_bfe_u32 v1, v0, 23, 8
	v_and_b32_e32 v4, 0x7fffff, v0
	v_sub_nc_u32_e32 v5, 0x70, v1
	v_cmp_gt_u32_e32 vcc_lo, 0x71, v1
	v_or_b32_e32 v6, 0x800000, v4
	v_cndmask_b32_e32 v5, 0, v5, vcc_lo
	v_cmp_eq_u32_e32 vcc_lo, 0, v1
	v_add_nc_u32_e32 v1, 0xffffff91, v1
	v_cndmask_b32_e64 v5, v5, 0x6f, vcc_lo
	v_cndmask_b32_e32 v4, v6, v4, vcc_lo
	v_cndmask_b32_e64 v1, v1, 0xffffff92, vcc_lo
	v_lshl_add_u32 v6, 0x200000, v5, -1
	v_lshrrev_b32_e32 v7, v5, v4
	v_lshlrev_b32_e64 v9, v5, 0x100000
	v_add_nc_u32_e32 v5, v5, v1
	v_and_b32_e32 v4, v6, v4
	v_bfe_u32 v8, v7, 21, 1
	v_cmp_eq_u32_e64 s16, v4, v9
	v_add_nc_u32_e32 v6, -1, v8
	v_cndmask_b32_e64 v4, 0, v6, s16
	v_lshrrev_b32_e32 v6, 23, v7
	s_mov_b32 s16, exec_lo
	v_add_nc_u32_e32 v4, v4, v7
	v_xor_b32_e32 v6, 1, v6
	v_and_b32_e32 v1, 0x1fffff, v4
	v_add_nc_u32_e32 v4, v1, v7
                                        ; implicit-def: $vgpr1
	v_cmpx_ne_u32_e64 v5, v6
	s_xor_b32 s16, exec_lo, s16
; %bb.8109:                             ;   in Loop: Header=BB6_7994 Depth=3
	v_cmp_lt_u32_e32 vcc_lo, 0xffffff, v4
	v_sub_nc_u32_e32 v1, v5, v6
	v_cndmask_b32_e64 v5, 0, 1, vcc_lo
	v_add_co_ci_u32_e64 v1, null, 0, v1, vcc_lo
	v_lshrrev_b32_e32 v4, v5, v4
; %bb.8110:                             ;   in Loop: Header=BB6_7994 Depth=3
	s_andn2_saveexec_b32 s16, s16
; %bb.8111:                             ;   in Loop: Header=BB6_7994 Depth=3
	v_bfe_u32 v1, v4, 23, 1
; %bb.8112:                             ;   in Loop: Header=BB6_7994 Depth=3
	s_or_b32 exec_lo, exec_lo, s16
	v_lshrrev_b32_e32 v4, 21, v4
	v_min_i32_e32 v5, 31, v1
	v_cmp_gt_i32_e32 vcc_lo, 32, v1
	v_and_b32_sdwa v0, v0, v117 dst_sel:DWORD dst_unused:UNUSED_PAD src0_sel:BYTE_3 src1_sel:DWORD
	v_lshlrev_b32_e32 v5, 2, v5
	v_cndmask_b32_e32 v4, 3, v4, vcc_lo
	v_and_b32_e32 v5, 0xfc, v5
	v_and_b32_e32 v6, 3, v4
	v_or_b32_e32 v1, v1, v4
	v_or3_b32 v0, v0, v5, v6
	v_cmp_ne_u32_e32 vcc_lo, 0, v1
	v_lshlrev_b32_e32 v0, 8, v0
	v_cndmask_b32_e32 v111, 0, v0, vcc_lo
.LBB6_8113:                             ;   in Loop: Header=BB6_7994 Depth=3
	s_or_b32 exec_lo, exec_lo, s73
.LBB6_8114:                             ;   in Loop: Header=BB6_7994 Depth=3
	s_or_b32 exec_lo, exec_lo, s72
	v_cmp_gt_i16_sdwa s72, v10, v116 src0_sel:BYTE_0 src1_sel:DWORD
	s_mov_b32 s16, 0
	s_and_saveexec_b32 s73, s72
	s_xor_b32 s72, exec_lo, s73
	s_cbranch_execz .LBB6_10192
; %bb.8115:                             ;   in Loop: Header=BB6_7994 Depth=3
	v_cmp_eq_u16_sdwa s74, v10, v117 src0_sel:BYTE_0 src1_sel:DWORD
	s_mov_b32 s16, -1
	s_and_saveexec_b32 s73, s74
; %bb.8116:                             ;   in Loop: Header=BB6_7994 Depth=3
	s_xor_b32 s16, exec_lo, -1
; %bb.8117:                             ;   in Loop: Header=BB6_7994 Depth=3
	s_or_b32 exec_lo, exec_lo, s73
	s_and_b32 s16, s16, exec_lo
	s_or_saveexec_b32 s72, s72
	v_mov_b32_e32 v0, 0x7f800001
	s_xor_b32 exec_lo, exec_lo, s72
	s_cbranch_execnz .LBB6_10193
.LBB6_8118:                             ;   in Loop: Header=BB6_7994 Depth=3
	s_or_b32 exec_lo, exec_lo, s72
	s_and_saveexec_b32 s72, s16
	s_cbranch_execz .LBB6_8120
.LBB6_8119:                             ;   in Loop: Header=BB6_7994 Depth=3
	v_and_b32_e32 v0, 3, v10
	v_bfe_u32 v5, v10, 2, 5
	v_lshlrev_b32_e32 v6, 24, v10
	v_ffbh_u32_e32 v1, v0
	v_cmp_eq_u32_e32 vcc_lo, 0, v5
	v_min_u32_e32 v1, 32, v1
	v_subrev_nc_u32_e32 v4, 29, v1
	v_sub_nc_u32_e32 v1, 30, v1
	v_lshlrev_b32_e32 v4, v4, v10
	v_cndmask_b32_e32 v1, v5, v1, vcc_lo
	v_and_b32_e32 v4, 3, v4
	v_lshl_add_u32 v1, v1, 23, 0x37800000
	v_cndmask_b32_e32 v0, v0, v4, vcc_lo
	v_and_b32_e32 v4, 0x80000000, v6
	v_lshlrev_b32_e32 v0, 21, v0
	v_or3_b32 v0, v4, v1, v0
.LBB6_8120:                             ;   in Loop: Header=BB6_7994 Depth=3
	s_or_b32 exec_lo, exec_lo, s72
	v_mul_f32_e32 v0, s23, v0
	v_mov_b32_e32 v62, 0x80
	s_mov_b32 s72, exec_lo
	v_and_b32_e32 v1, 0x7f800000, v0
	v_cmpx_ne_u32_e32 0x7f800000, v1
	s_cbranch_execz .LBB6_8128
; %bb.8121:                             ;   in Loop: Header=BB6_7994 Depth=3
	v_mov_b32_e32 v62, 0
	s_mov_b32 s73, exec_lo
	v_cmpx_ne_u32_e32 0, v0
	s_cbranch_execz .LBB6_8127
; %bb.8122:                             ;   in Loop: Header=BB6_7994 Depth=3
	v_bfe_u32 v1, v0, 23, 8
	v_and_b32_e32 v4, 0x7fffff, v0
	v_sub_nc_u32_e32 v5, 0x70, v1
	v_cmp_gt_u32_e32 vcc_lo, 0x71, v1
	v_or_b32_e32 v6, 0x800000, v4
	v_cndmask_b32_e32 v5, 0, v5, vcc_lo
	v_cmp_eq_u32_e32 vcc_lo, 0, v1
	v_add_nc_u32_e32 v1, 0xffffff91, v1
	v_cndmask_b32_e64 v5, v5, 0x6f, vcc_lo
	v_cndmask_b32_e32 v4, v6, v4, vcc_lo
	v_cndmask_b32_e64 v1, v1, 0xffffff92, vcc_lo
	v_lshl_add_u32 v6, 0x200000, v5, -1
	v_lshrrev_b32_e32 v7, v5, v4
	v_lshlrev_b32_e64 v9, v5, 0x100000
	v_add_nc_u32_e32 v5, v5, v1
	v_and_b32_e32 v4, v6, v4
	v_bfe_u32 v8, v7, 21, 1
	v_cmp_eq_u32_e64 s16, v4, v9
	v_add_nc_u32_e32 v6, -1, v8
	v_cndmask_b32_e64 v4, 0, v6, s16
	v_lshrrev_b32_e32 v6, 23, v7
	s_mov_b32 s16, exec_lo
	v_add_nc_u32_e32 v4, v4, v7
	v_xor_b32_e32 v6, 1, v6
	v_and_b32_e32 v1, 0x1fffff, v4
	v_add_nc_u32_e32 v4, v1, v7
                                        ; implicit-def: $vgpr1
	v_cmpx_ne_u32_e64 v5, v6
	s_xor_b32 s16, exec_lo, s16
; %bb.8123:                             ;   in Loop: Header=BB6_7994 Depth=3
	v_cmp_lt_u32_e32 vcc_lo, 0xffffff, v4
	v_sub_nc_u32_e32 v1, v5, v6
	v_cndmask_b32_e64 v5, 0, 1, vcc_lo
	v_add_co_ci_u32_e64 v1, null, 0, v1, vcc_lo
	v_lshrrev_b32_e32 v4, v5, v4
; %bb.8124:                             ;   in Loop: Header=BB6_7994 Depth=3
	s_andn2_saveexec_b32 s16, s16
; %bb.8125:                             ;   in Loop: Header=BB6_7994 Depth=3
	v_bfe_u32 v1, v4, 23, 1
; %bb.8126:                             ;   in Loop: Header=BB6_7994 Depth=3
	s_or_b32 exec_lo, exec_lo, s16
	v_lshrrev_b32_e32 v4, 21, v4
	v_min_i32_e32 v5, 31, v1
	v_cmp_gt_i32_e32 vcc_lo, 32, v1
	v_and_b32_sdwa v0, v0, v117 dst_sel:DWORD dst_unused:UNUSED_PAD src0_sel:BYTE_3 src1_sel:DWORD
	v_lshlrev_b32_e32 v5, 2, v5
	v_cndmask_b32_e32 v4, 3, v4, vcc_lo
	v_and_b32_e32 v5, 0xfc, v5
	v_and_b32_e32 v6, 3, v4
	v_or_b32_e32 v1, v1, v4
	v_or3_b32 v0, v5, v0, v6
	v_cmp_ne_u32_e32 vcc_lo, 0, v1
	v_cndmask_b32_e32 v62, 0, v0, vcc_lo
.LBB6_8127:                             ;   in Loop: Header=BB6_7994 Depth=3
	s_or_b32 exec_lo, exec_lo, s73
.LBB6_8128:                             ;   in Loop: Header=BB6_7994 Depth=3
	s_or_b32 exec_lo, exec_lo, s72
	v_cmp_gt_i16_sdwa s72, v10, v116 src0_sel:BYTE_1 src1_sel:DWORD
	s_mov_b32 s16, 0
	s_and_saveexec_b32 s73, s72
	s_xor_b32 s72, exec_lo, s73
	s_cbranch_execz .LBB6_10194
; %bb.8129:                             ;   in Loop: Header=BB6_7994 Depth=3
	v_cmp_eq_u16_sdwa s74, v10, v117 src0_sel:BYTE_1 src1_sel:DWORD
	s_mov_b32 s16, -1
	s_and_saveexec_b32 s73, s74
; %bb.8130:                             ;   in Loop: Header=BB6_7994 Depth=3
	s_xor_b32 s16, exec_lo, -1
; %bb.8131:                             ;   in Loop: Header=BB6_7994 Depth=3
	s_or_b32 exec_lo, exec_lo, s73
	s_and_b32 s16, s16, exec_lo
	s_or_saveexec_b32 s72, s72
	v_mov_b32_e32 v0, 0x7f800001
	s_xor_b32 exec_lo, exec_lo, s72
	s_cbranch_execnz .LBB6_10195
.LBB6_8132:                             ;   in Loop: Header=BB6_7994 Depth=3
	s_or_b32 exec_lo, exec_lo, s72
	s_and_saveexec_b32 s72, s16
	s_cbranch_execz .LBB6_8134
.LBB6_8133:                             ;   in Loop: Header=BB6_7994 Depth=3
	v_and_b32_sdwa v0, v118, v10 dst_sel:DWORD dst_unused:UNUSED_PAD src0_sel:DWORD src1_sel:BYTE_1
	v_and_b32_e32 v1, 3, v0
	v_bfe_u32 v6, v0, 2, 5
	v_ffbh_u32_e32 v4, v1
	v_cmp_eq_u32_e32 vcc_lo, 0, v6
	v_min_u32_e32 v4, 32, v4
	v_subrev_nc_u32_e32 v5, 29, v4
	v_sub_nc_u32_e32 v4, 30, v4
	v_lshlrev_b32_e32 v0, v5, v0
	v_lshlrev_b32_sdwa v5, v119, v10 dst_sel:DWORD dst_unused:UNUSED_PAD src0_sel:DWORD src1_sel:BYTE_1
	v_cndmask_b32_e32 v4, v6, v4, vcc_lo
	v_and_b32_e32 v0, 3, v0
	v_lshl_add_u32 v4, v4, 23, 0x37800000
	v_cndmask_b32_e32 v0, v1, v0, vcc_lo
	v_and_b32_e32 v1, 0x80000000, v5
	v_lshlrev_b32_e32 v0, 21, v0
	v_or3_b32 v0, v1, v4, v0
.LBB6_8134:                             ;   in Loop: Header=BB6_7994 Depth=3
	s_or_b32 exec_lo, exec_lo, s72
	v_mul_f32_e32 v0, s23, v0
	v_mov_b32_e32 v63, 0x8000
	s_mov_b32 s72, exec_lo
	v_and_b32_e32 v1, 0x7f800000, v0
	v_cmpx_ne_u32_e32 0x7f800000, v1
	s_cbranch_execz .LBB6_8142
; %bb.8135:                             ;   in Loop: Header=BB6_7994 Depth=3
	v_mov_b32_e32 v63, 0
	s_mov_b32 s73, exec_lo
	v_cmpx_ne_u32_e32 0, v0
	s_cbranch_execz .LBB6_8141
; %bb.8136:                             ;   in Loop: Header=BB6_7994 Depth=3
	v_bfe_u32 v1, v0, 23, 8
	v_and_b32_e32 v4, 0x7fffff, v0
	v_sub_nc_u32_e32 v5, 0x70, v1
	v_cmp_gt_u32_e32 vcc_lo, 0x71, v1
	v_or_b32_e32 v6, 0x800000, v4
	v_cndmask_b32_e32 v5, 0, v5, vcc_lo
	v_cmp_eq_u32_e32 vcc_lo, 0, v1
	v_add_nc_u32_e32 v1, 0xffffff91, v1
	v_cndmask_b32_e64 v5, v5, 0x6f, vcc_lo
	v_cndmask_b32_e32 v4, v6, v4, vcc_lo
	v_cndmask_b32_e64 v1, v1, 0xffffff92, vcc_lo
	v_lshl_add_u32 v6, 0x200000, v5, -1
	v_lshrrev_b32_e32 v7, v5, v4
	v_lshlrev_b32_e64 v9, v5, 0x100000
	v_add_nc_u32_e32 v5, v5, v1
	v_and_b32_e32 v4, v6, v4
	v_bfe_u32 v8, v7, 21, 1
	v_cmp_eq_u32_e64 s16, v4, v9
	v_add_nc_u32_e32 v6, -1, v8
	v_cndmask_b32_e64 v4, 0, v6, s16
	v_lshrrev_b32_e32 v6, 23, v7
	s_mov_b32 s16, exec_lo
	v_add_nc_u32_e32 v4, v4, v7
	v_xor_b32_e32 v6, 1, v6
	v_and_b32_e32 v1, 0x1fffff, v4
	v_add_nc_u32_e32 v4, v1, v7
                                        ; implicit-def: $vgpr1
	v_cmpx_ne_u32_e64 v5, v6
	s_xor_b32 s16, exec_lo, s16
; %bb.8137:                             ;   in Loop: Header=BB6_7994 Depth=3
	v_cmp_lt_u32_e32 vcc_lo, 0xffffff, v4
	v_sub_nc_u32_e32 v1, v5, v6
	v_cndmask_b32_e64 v5, 0, 1, vcc_lo
	v_add_co_ci_u32_e64 v1, null, 0, v1, vcc_lo
	v_lshrrev_b32_e32 v4, v5, v4
; %bb.8138:                             ;   in Loop: Header=BB6_7994 Depth=3
	s_andn2_saveexec_b32 s16, s16
; %bb.8139:                             ;   in Loop: Header=BB6_7994 Depth=3
	v_bfe_u32 v1, v4, 23, 1
; %bb.8140:                             ;   in Loop: Header=BB6_7994 Depth=3
	s_or_b32 exec_lo, exec_lo, s16
	v_lshrrev_b32_e32 v4, 21, v4
	v_min_i32_e32 v5, 31, v1
	v_cmp_gt_i32_e32 vcc_lo, 32, v1
	v_and_b32_sdwa v0, v0, v117 dst_sel:DWORD dst_unused:UNUSED_PAD src0_sel:BYTE_3 src1_sel:DWORD
	v_lshlrev_b32_e32 v5, 2, v5
	v_cndmask_b32_e32 v4, 3, v4, vcc_lo
	v_and_b32_e32 v5, 0xfc, v5
	v_and_b32_e32 v6, 3, v4
	v_or_b32_e32 v1, v1, v4
	v_or3_b32 v0, v0, v5, v6
	v_cmp_ne_u32_e32 vcc_lo, 0, v1
	v_lshlrev_b32_e32 v0, 8, v0
	v_cndmask_b32_e32 v63, 0, v0, vcc_lo
.LBB6_8141:                             ;   in Loop: Header=BB6_7994 Depth=3
	s_or_b32 exec_lo, exec_lo, s73
.LBB6_8142:                             ;   in Loop: Header=BB6_7994 Depth=3
	s_or_b32 exec_lo, exec_lo, s72
	v_and_b32_sdwa v1, v10, v40 dst_sel:DWORD dst_unused:UNUSED_PAD src0_sel:WORD_1 src1_sel:DWORD
	s_mov_b32 s16, 0
	s_mov_b32 s72, exec_lo
	v_cmpx_lt_i16_e32 0x7f, v1
	s_xor_b32 s72, exec_lo, s72
	s_cbranch_execz .LBB6_10196
; %bb.8143:                             ;   in Loop: Header=BB6_7994 Depth=3
	s_mov_b32 s16, -1
	s_mov_b32 s73, exec_lo
	v_cmpx_eq_u16_e32 0x80, v1
; %bb.8144:                             ;   in Loop: Header=BB6_7994 Depth=3
	s_xor_b32 s16, exec_lo, -1
; %bb.8145:                             ;   in Loop: Header=BB6_7994 Depth=3
	s_or_b32 exec_lo, exec_lo, s73
	s_and_b32 s16, s16, exec_lo
                                        ; implicit-def: $vgpr1
	s_or_saveexec_b32 s72, s72
	v_mov_b32_e32 v0, 0x7f800001
	s_xor_b32 exec_lo, exec_lo, s72
	s_cbranch_execnz .LBB6_10197
.LBB6_8146:                             ;   in Loop: Header=BB6_7994 Depth=3
	s_or_b32 exec_lo, exec_lo, s72
	s_and_saveexec_b32 s72, s16
	s_cbranch_execz .LBB6_8148
.LBB6_8147:                             ;   in Loop: Header=BB6_7994 Depth=3
	v_bfe_u32 v0, v10, 16, 2
	v_bfe_u32 v5, v10, 18, 5
	v_lshlrev_b32_e32 v6, 8, v10
	v_ffbh_u32_e32 v1, v0
	v_cmp_eq_u32_e32 vcc_lo, 0, v5
	v_min_u32_e32 v1, 32, v1
	v_subrev_nc_u32_e32 v4, 29, v1
	v_sub_nc_u32_e32 v1, 30, v1
	v_lshlrev_b32_sdwa v4, v4, v10 dst_sel:DWORD dst_unused:UNUSED_PAD src0_sel:DWORD src1_sel:WORD_1
	v_cndmask_b32_e32 v1, v5, v1, vcc_lo
	v_and_b32_e32 v4, 3, v4
	v_lshl_add_u32 v1, v1, 23, 0x37800000
	v_cndmask_b32_e32 v0, v0, v4, vcc_lo
	v_and_b32_e32 v4, 0x80000000, v6
	v_lshlrev_b32_e32 v0, 21, v0
	v_or3_b32 v0, v4, v1, v0
.LBB6_8148:                             ;   in Loop: Header=BB6_7994 Depth=3
	s_or_b32 exec_lo, exec_lo, s72
	v_mul_f32_e32 v0, s23, v0
	v_mov_b32_e32 v66, 0x80
	s_mov_b32 s72, exec_lo
	v_and_b32_e32 v1, 0x7f800000, v0
	v_cmpx_ne_u32_e32 0x7f800000, v1
	s_cbranch_execz .LBB6_8156
; %bb.8149:                             ;   in Loop: Header=BB6_7994 Depth=3
	v_mov_b32_e32 v66, 0
	s_mov_b32 s73, exec_lo
	v_cmpx_ne_u32_e32 0, v0
	s_cbranch_execz .LBB6_8155
; %bb.8150:                             ;   in Loop: Header=BB6_7994 Depth=3
	v_bfe_u32 v1, v0, 23, 8
	v_and_b32_e32 v4, 0x7fffff, v0
	v_sub_nc_u32_e32 v5, 0x70, v1
	v_cmp_gt_u32_e32 vcc_lo, 0x71, v1
	v_or_b32_e32 v6, 0x800000, v4
	v_cndmask_b32_e32 v5, 0, v5, vcc_lo
	v_cmp_eq_u32_e32 vcc_lo, 0, v1
	v_add_nc_u32_e32 v1, 0xffffff91, v1
	v_cndmask_b32_e64 v5, v5, 0x6f, vcc_lo
	v_cndmask_b32_e32 v4, v6, v4, vcc_lo
	v_cndmask_b32_e64 v1, v1, 0xffffff92, vcc_lo
	v_lshl_add_u32 v6, 0x200000, v5, -1
	v_lshrrev_b32_e32 v7, v5, v4
	v_lshlrev_b32_e64 v9, v5, 0x100000
	v_add_nc_u32_e32 v5, v5, v1
	v_and_b32_e32 v4, v6, v4
	v_bfe_u32 v8, v7, 21, 1
	v_cmp_eq_u32_e64 s16, v4, v9
	v_add_nc_u32_e32 v6, -1, v8
	v_cndmask_b32_e64 v4, 0, v6, s16
	v_lshrrev_b32_e32 v6, 23, v7
	s_mov_b32 s16, exec_lo
	v_add_nc_u32_e32 v4, v4, v7
	v_xor_b32_e32 v6, 1, v6
	v_and_b32_e32 v1, 0x1fffff, v4
	v_add_nc_u32_e32 v4, v1, v7
                                        ; implicit-def: $vgpr1
	v_cmpx_ne_u32_e64 v5, v6
	s_xor_b32 s16, exec_lo, s16
; %bb.8151:                             ;   in Loop: Header=BB6_7994 Depth=3
	v_cmp_lt_u32_e32 vcc_lo, 0xffffff, v4
	v_sub_nc_u32_e32 v1, v5, v6
	v_cndmask_b32_e64 v5, 0, 1, vcc_lo
	v_add_co_ci_u32_e64 v1, null, 0, v1, vcc_lo
	v_lshrrev_b32_e32 v4, v5, v4
; %bb.8152:                             ;   in Loop: Header=BB6_7994 Depth=3
	s_andn2_saveexec_b32 s16, s16
; %bb.8153:                             ;   in Loop: Header=BB6_7994 Depth=3
	v_bfe_u32 v1, v4, 23, 1
; %bb.8154:                             ;   in Loop: Header=BB6_7994 Depth=3
	s_or_b32 exec_lo, exec_lo, s16
	v_lshrrev_b32_e32 v4, 21, v4
	v_min_i32_e32 v5, 31, v1
	v_cmp_gt_i32_e32 vcc_lo, 32, v1
	v_and_b32_sdwa v0, v0, v117 dst_sel:DWORD dst_unused:UNUSED_PAD src0_sel:BYTE_3 src1_sel:DWORD
	v_lshlrev_b32_e32 v5, 2, v5
	v_cndmask_b32_e32 v4, 3, v4, vcc_lo
	v_and_b32_e32 v5, 0xfc, v5
	v_and_b32_e32 v6, 3, v4
	v_or_b32_e32 v1, v1, v4
	v_or3_b32 v0, v5, v0, v6
	v_cmp_ne_u32_e32 vcc_lo, 0, v1
	v_cndmask_b32_e32 v66, 0, v0, vcc_lo
.LBB6_8155:                             ;   in Loop: Header=BB6_7994 Depth=3
	s_or_b32 exec_lo, exec_lo, s73
.LBB6_8156:                             ;   in Loop: Header=BB6_7994 Depth=3
	s_or_b32 exec_lo, exec_lo, s72
	v_cmp_gt_i16_sdwa s72, v10, v116 src0_sel:BYTE_3 src1_sel:DWORD
	s_mov_b32 s16, 0
	s_and_saveexec_b32 s73, s72
	s_xor_b32 s72, exec_lo, s73
	s_cbranch_execz .LBB6_10198
; %bb.8157:                             ;   in Loop: Header=BB6_7994 Depth=3
	v_cmp_eq_u16_sdwa s74, v10, v117 src0_sel:BYTE_3 src1_sel:DWORD
	s_mov_b32 s16, -1
	s_and_saveexec_b32 s73, s74
; %bb.8158:                             ;   in Loop: Header=BB6_7994 Depth=3
	s_xor_b32 s16, exec_lo, -1
; %bb.8159:                             ;   in Loop: Header=BB6_7994 Depth=3
	s_or_b32 exec_lo, exec_lo, s73
	s_and_b32 s16, s16, exec_lo
	s_or_saveexec_b32 s72, s72
	v_mov_b32_e32 v0, 0x7f800001
	s_xor_b32 exec_lo, exec_lo, s72
	s_cbranch_execnz .LBB6_10199
.LBB6_8160:                             ;   in Loop: Header=BB6_7994 Depth=3
	s_or_b32 exec_lo, exec_lo, s72
	s_and_saveexec_b32 s72, s16
	s_cbranch_execz .LBB6_8162
.LBB6_8161:                             ;   in Loop: Header=BB6_7994 Depth=3
	v_bfe_u32 v0, v10, 24, 2
	v_bfe_u32 v5, v10, 26, 5
	v_ffbh_u32_e32 v1, v0
	v_cmp_eq_u32_e32 vcc_lo, 0, v5
	v_min_u32_e32 v1, 32, v1
	v_subrev_nc_u32_e32 v4, 29, v1
	v_sub_nc_u32_e32 v1, 30, v1
	v_lshlrev_b32_sdwa v4, v4, v10 dst_sel:DWORD dst_unused:UNUSED_PAD src0_sel:DWORD src1_sel:BYTE_3
	v_cndmask_b32_e32 v1, v5, v1, vcc_lo
	v_and_b32_e32 v4, 3, v4
	v_lshl_add_u32 v1, v1, 23, 0x37800000
	v_cndmask_b32_e32 v0, v0, v4, vcc_lo
	v_and_b32_e32 v4, 0x80000000, v10
	v_lshlrev_b32_e32 v0, 21, v0
	v_or3_b32 v0, v4, v1, v0
.LBB6_8162:                             ;   in Loop: Header=BB6_7994 Depth=3
	s_or_b32 exec_lo, exec_lo, s72
	v_mul_f32_e32 v0, s23, v0
	v_mov_b32_e32 v58, 0x8000
	s_mov_b32 s72, exec_lo
	v_and_b32_e32 v1, 0x7f800000, v0
	v_cmpx_ne_u32_e32 0x7f800000, v1
	s_cbranch_execz .LBB6_8170
; %bb.8163:                             ;   in Loop: Header=BB6_7994 Depth=3
	v_mov_b32_e32 v58, 0
	s_mov_b32 s73, exec_lo
	v_cmpx_ne_u32_e32 0, v0
	s_cbranch_execz .LBB6_8169
; %bb.8164:                             ;   in Loop: Header=BB6_7994 Depth=3
	v_bfe_u32 v1, v0, 23, 8
	v_and_b32_e32 v4, 0x7fffff, v0
	v_sub_nc_u32_e32 v5, 0x70, v1
	v_cmp_gt_u32_e32 vcc_lo, 0x71, v1
	v_or_b32_e32 v6, 0x800000, v4
	v_cndmask_b32_e32 v5, 0, v5, vcc_lo
	v_cmp_eq_u32_e32 vcc_lo, 0, v1
	v_add_nc_u32_e32 v1, 0xffffff91, v1
	v_cndmask_b32_e64 v5, v5, 0x6f, vcc_lo
	v_cndmask_b32_e32 v4, v6, v4, vcc_lo
	v_cndmask_b32_e64 v1, v1, 0xffffff92, vcc_lo
	v_lshl_add_u32 v6, 0x200000, v5, -1
	v_lshrrev_b32_e32 v7, v5, v4
	v_lshlrev_b32_e64 v9, v5, 0x100000
	v_add_nc_u32_e32 v5, v5, v1
	v_and_b32_e32 v4, v6, v4
	v_bfe_u32 v8, v7, 21, 1
	v_cmp_eq_u32_e64 s16, v4, v9
	v_add_nc_u32_e32 v6, -1, v8
	v_cndmask_b32_e64 v4, 0, v6, s16
	v_lshrrev_b32_e32 v6, 23, v7
	s_mov_b32 s16, exec_lo
	v_add_nc_u32_e32 v4, v4, v7
	v_xor_b32_e32 v6, 1, v6
	v_and_b32_e32 v1, 0x1fffff, v4
	v_add_nc_u32_e32 v4, v1, v7
                                        ; implicit-def: $vgpr1
	v_cmpx_ne_u32_e64 v5, v6
	s_xor_b32 s16, exec_lo, s16
; %bb.8165:                             ;   in Loop: Header=BB6_7994 Depth=3
	v_cmp_lt_u32_e32 vcc_lo, 0xffffff, v4
	v_sub_nc_u32_e32 v1, v5, v6
	v_cndmask_b32_e64 v5, 0, 1, vcc_lo
	v_add_co_ci_u32_e64 v1, null, 0, v1, vcc_lo
	v_lshrrev_b32_e32 v4, v5, v4
; %bb.8166:                             ;   in Loop: Header=BB6_7994 Depth=3
	s_andn2_saveexec_b32 s16, s16
; %bb.8167:                             ;   in Loop: Header=BB6_7994 Depth=3
	v_bfe_u32 v1, v4, 23, 1
; %bb.8168:                             ;   in Loop: Header=BB6_7994 Depth=3
	s_or_b32 exec_lo, exec_lo, s16
	v_lshrrev_b32_e32 v4, 21, v4
	v_min_i32_e32 v5, 31, v1
	v_cmp_gt_i32_e32 vcc_lo, 32, v1
	v_and_b32_sdwa v0, v0, v117 dst_sel:DWORD dst_unused:UNUSED_PAD src0_sel:BYTE_3 src1_sel:DWORD
	v_lshlrev_b32_e32 v5, 2, v5
	v_cndmask_b32_e32 v4, 3, v4, vcc_lo
	v_and_b32_e32 v5, 0xfc, v5
	v_and_b32_e32 v6, 3, v4
	v_or_b32_e32 v1, v1, v4
	v_or3_b32 v0, v0, v5, v6
	v_cmp_ne_u32_e32 vcc_lo, 0, v1
	v_lshlrev_b32_e32 v0, 8, v0
	v_cndmask_b32_e32 v58, 0, v0, vcc_lo
.LBB6_8169:                             ;   in Loop: Header=BB6_7994 Depth=3
	s_or_b32 exec_lo, exec_lo, s73
.LBB6_8170:                             ;   in Loop: Header=BB6_7994 Depth=3
	s_or_b32 exec_lo, exec_lo, s72
	v_cmp_gt_i16_sdwa s72, v11, v116 src0_sel:BYTE_0 src1_sel:DWORD
	s_mov_b32 s16, 0
	s_and_saveexec_b32 s73, s72
	s_xor_b32 s72, exec_lo, s73
	s_cbranch_execz .LBB6_10200
; %bb.8171:                             ;   in Loop: Header=BB6_7994 Depth=3
	v_cmp_eq_u16_sdwa s74, v11, v117 src0_sel:BYTE_0 src1_sel:DWORD
	s_mov_b32 s16, -1
	s_and_saveexec_b32 s73, s74
; %bb.8172:                             ;   in Loop: Header=BB6_7994 Depth=3
	s_xor_b32 s16, exec_lo, -1
; %bb.8173:                             ;   in Loop: Header=BB6_7994 Depth=3
	s_or_b32 exec_lo, exec_lo, s73
	s_and_b32 s16, s16, exec_lo
	s_or_saveexec_b32 s72, s72
	v_mov_b32_e32 v0, 0x7f800001
	s_xor_b32 exec_lo, exec_lo, s72
	s_cbranch_execnz .LBB6_10201
.LBB6_8174:                             ;   in Loop: Header=BB6_7994 Depth=3
	s_or_b32 exec_lo, exec_lo, s72
	s_and_saveexec_b32 s72, s16
	s_cbranch_execz .LBB6_8176
.LBB6_8175:                             ;   in Loop: Header=BB6_7994 Depth=3
	v_and_b32_e32 v0, 3, v11
	v_bfe_u32 v5, v11, 2, 5
	v_lshlrev_b32_e32 v6, 24, v11
	v_ffbh_u32_e32 v1, v0
	v_cmp_eq_u32_e32 vcc_lo, 0, v5
	v_min_u32_e32 v1, 32, v1
	v_subrev_nc_u32_e32 v4, 29, v1
	v_sub_nc_u32_e32 v1, 30, v1
	v_lshlrev_b32_e32 v4, v4, v11
	v_cndmask_b32_e32 v1, v5, v1, vcc_lo
	v_and_b32_e32 v4, 3, v4
	v_lshl_add_u32 v1, v1, 23, 0x37800000
	v_cndmask_b32_e32 v0, v0, v4, vcc_lo
	v_and_b32_e32 v4, 0x80000000, v6
	v_lshlrev_b32_e32 v0, 21, v0
	v_or3_b32 v0, v4, v1, v0
.LBB6_8176:                             ;   in Loop: Header=BB6_7994 Depth=3
	s_or_b32 exec_lo, exec_lo, s72
	v_mul_f32_e32 v0, s23, v0
	v_mov_b32_e32 v54, 0x80
	s_mov_b32 s72, exec_lo
	v_and_b32_e32 v1, 0x7f800000, v0
	v_cmpx_ne_u32_e32 0x7f800000, v1
	s_cbranch_execz .LBB6_8184
; %bb.8177:                             ;   in Loop: Header=BB6_7994 Depth=3
	v_mov_b32_e32 v54, 0
	s_mov_b32 s73, exec_lo
	v_cmpx_ne_u32_e32 0, v0
	s_cbranch_execz .LBB6_8183
; %bb.8178:                             ;   in Loop: Header=BB6_7994 Depth=3
	v_bfe_u32 v1, v0, 23, 8
	v_and_b32_e32 v4, 0x7fffff, v0
	v_sub_nc_u32_e32 v5, 0x70, v1
	v_cmp_gt_u32_e32 vcc_lo, 0x71, v1
	v_or_b32_e32 v6, 0x800000, v4
	v_cndmask_b32_e32 v5, 0, v5, vcc_lo
	v_cmp_eq_u32_e32 vcc_lo, 0, v1
	v_add_nc_u32_e32 v1, 0xffffff91, v1
	v_cndmask_b32_e64 v5, v5, 0x6f, vcc_lo
	v_cndmask_b32_e32 v4, v6, v4, vcc_lo
	v_cndmask_b32_e64 v1, v1, 0xffffff92, vcc_lo
	v_lshl_add_u32 v6, 0x200000, v5, -1
	v_lshrrev_b32_e32 v7, v5, v4
	v_lshlrev_b32_e64 v9, v5, 0x100000
	v_add_nc_u32_e32 v5, v5, v1
	v_and_b32_e32 v4, v6, v4
	v_bfe_u32 v8, v7, 21, 1
	v_cmp_eq_u32_e64 s16, v4, v9
	v_add_nc_u32_e32 v6, -1, v8
	v_cndmask_b32_e64 v4, 0, v6, s16
	v_lshrrev_b32_e32 v6, 23, v7
	s_mov_b32 s16, exec_lo
	v_add_nc_u32_e32 v4, v4, v7
	v_xor_b32_e32 v6, 1, v6
	v_and_b32_e32 v1, 0x1fffff, v4
	v_add_nc_u32_e32 v4, v1, v7
                                        ; implicit-def: $vgpr1
	v_cmpx_ne_u32_e64 v5, v6
	s_xor_b32 s16, exec_lo, s16
; %bb.8179:                             ;   in Loop: Header=BB6_7994 Depth=3
	v_cmp_lt_u32_e32 vcc_lo, 0xffffff, v4
	v_sub_nc_u32_e32 v1, v5, v6
	v_cndmask_b32_e64 v5, 0, 1, vcc_lo
	v_add_co_ci_u32_e64 v1, null, 0, v1, vcc_lo
	v_lshrrev_b32_e32 v4, v5, v4
; %bb.8180:                             ;   in Loop: Header=BB6_7994 Depth=3
	s_andn2_saveexec_b32 s16, s16
; %bb.8181:                             ;   in Loop: Header=BB6_7994 Depth=3
	v_bfe_u32 v1, v4, 23, 1
; %bb.8182:                             ;   in Loop: Header=BB6_7994 Depth=3
	s_or_b32 exec_lo, exec_lo, s16
	v_lshrrev_b32_e32 v4, 21, v4
	v_min_i32_e32 v5, 31, v1
	v_cmp_gt_i32_e32 vcc_lo, 32, v1
	v_and_b32_sdwa v0, v0, v117 dst_sel:DWORD dst_unused:UNUSED_PAD src0_sel:BYTE_3 src1_sel:DWORD
	v_lshlrev_b32_e32 v5, 2, v5
	v_cndmask_b32_e32 v4, 3, v4, vcc_lo
	v_and_b32_e32 v5, 0xfc, v5
	v_and_b32_e32 v6, 3, v4
	v_or_b32_e32 v1, v1, v4
	v_or3_b32 v0, v5, v0, v6
	v_cmp_ne_u32_e32 vcc_lo, 0, v1
	v_cndmask_b32_e32 v54, 0, v0, vcc_lo
.LBB6_8183:                             ;   in Loop: Header=BB6_7994 Depth=3
	s_or_b32 exec_lo, exec_lo, s73
.LBB6_8184:                             ;   in Loop: Header=BB6_7994 Depth=3
	s_or_b32 exec_lo, exec_lo, s72
	v_cmp_gt_i16_sdwa s72, v11, v116 src0_sel:BYTE_1 src1_sel:DWORD
	s_mov_b32 s16, 0
	s_and_saveexec_b32 s73, s72
	s_xor_b32 s72, exec_lo, s73
	s_cbranch_execz .LBB6_10202
; %bb.8185:                             ;   in Loop: Header=BB6_7994 Depth=3
	v_cmp_eq_u16_sdwa s74, v11, v117 src0_sel:BYTE_1 src1_sel:DWORD
	s_mov_b32 s16, -1
	s_and_saveexec_b32 s73, s74
; %bb.8186:                             ;   in Loop: Header=BB6_7994 Depth=3
	s_xor_b32 s16, exec_lo, -1
; %bb.8187:                             ;   in Loop: Header=BB6_7994 Depth=3
	s_or_b32 exec_lo, exec_lo, s73
	s_and_b32 s16, s16, exec_lo
	s_or_saveexec_b32 s72, s72
	v_mov_b32_e32 v0, 0x7f800001
	s_xor_b32 exec_lo, exec_lo, s72
	s_cbranch_execnz .LBB6_10203
.LBB6_8188:                             ;   in Loop: Header=BB6_7994 Depth=3
	s_or_b32 exec_lo, exec_lo, s72
	s_and_saveexec_b32 s72, s16
	s_cbranch_execz .LBB6_8190
.LBB6_8189:                             ;   in Loop: Header=BB6_7994 Depth=3
	v_and_b32_sdwa v0, v118, v11 dst_sel:DWORD dst_unused:UNUSED_PAD src0_sel:DWORD src1_sel:BYTE_1
	v_and_b32_e32 v1, 3, v0
	v_bfe_u32 v6, v0, 2, 5
	v_ffbh_u32_e32 v4, v1
	v_cmp_eq_u32_e32 vcc_lo, 0, v6
	v_min_u32_e32 v4, 32, v4
	v_subrev_nc_u32_e32 v5, 29, v4
	v_sub_nc_u32_e32 v4, 30, v4
	v_lshlrev_b32_e32 v0, v5, v0
	v_lshlrev_b32_sdwa v5, v119, v11 dst_sel:DWORD dst_unused:UNUSED_PAD src0_sel:DWORD src1_sel:BYTE_1
	v_cndmask_b32_e32 v4, v6, v4, vcc_lo
	v_and_b32_e32 v0, 3, v0
	v_lshl_add_u32 v4, v4, 23, 0x37800000
	v_cndmask_b32_e32 v0, v1, v0, vcc_lo
	v_and_b32_e32 v1, 0x80000000, v5
	v_lshlrev_b32_e32 v0, 21, v0
	v_or3_b32 v0, v1, v4, v0
.LBB6_8190:                             ;   in Loop: Header=BB6_7994 Depth=3
	s_or_b32 exec_lo, exec_lo, s72
	v_mul_f32_e32 v0, s23, v0
	v_mov_b32_e32 v102, 0x8000
	s_mov_b32 s72, exec_lo
	v_and_b32_e32 v1, 0x7f800000, v0
	v_cmpx_ne_u32_e32 0x7f800000, v1
	s_cbranch_execz .LBB6_8198
; %bb.8191:                             ;   in Loop: Header=BB6_7994 Depth=3
	v_mov_b32_e32 v102, 0
	s_mov_b32 s73, exec_lo
	v_cmpx_ne_u32_e32 0, v0
	s_cbranch_execz .LBB6_8197
; %bb.8192:                             ;   in Loop: Header=BB6_7994 Depth=3
	v_bfe_u32 v1, v0, 23, 8
	v_and_b32_e32 v4, 0x7fffff, v0
	v_sub_nc_u32_e32 v5, 0x70, v1
	v_cmp_gt_u32_e32 vcc_lo, 0x71, v1
	v_or_b32_e32 v6, 0x800000, v4
	v_cndmask_b32_e32 v5, 0, v5, vcc_lo
	v_cmp_eq_u32_e32 vcc_lo, 0, v1
	v_add_nc_u32_e32 v1, 0xffffff91, v1
	v_cndmask_b32_e64 v5, v5, 0x6f, vcc_lo
	v_cndmask_b32_e32 v4, v6, v4, vcc_lo
	v_cndmask_b32_e64 v1, v1, 0xffffff92, vcc_lo
	v_lshl_add_u32 v6, 0x200000, v5, -1
	v_lshrrev_b32_e32 v7, v5, v4
	v_lshlrev_b32_e64 v9, v5, 0x100000
	v_add_nc_u32_e32 v5, v5, v1
	v_and_b32_e32 v4, v6, v4
	v_bfe_u32 v8, v7, 21, 1
	v_cmp_eq_u32_e64 s16, v4, v9
	v_add_nc_u32_e32 v6, -1, v8
	v_cndmask_b32_e64 v4, 0, v6, s16
	v_lshrrev_b32_e32 v6, 23, v7
	s_mov_b32 s16, exec_lo
	v_add_nc_u32_e32 v4, v4, v7
	v_xor_b32_e32 v6, 1, v6
	v_and_b32_e32 v1, 0x1fffff, v4
	v_add_nc_u32_e32 v4, v1, v7
                                        ; implicit-def: $vgpr1
	v_cmpx_ne_u32_e64 v5, v6
	s_xor_b32 s16, exec_lo, s16
; %bb.8193:                             ;   in Loop: Header=BB6_7994 Depth=3
	v_cmp_lt_u32_e32 vcc_lo, 0xffffff, v4
	v_sub_nc_u32_e32 v1, v5, v6
	v_cndmask_b32_e64 v5, 0, 1, vcc_lo
	v_add_co_ci_u32_e64 v1, null, 0, v1, vcc_lo
	v_lshrrev_b32_e32 v4, v5, v4
; %bb.8194:                             ;   in Loop: Header=BB6_7994 Depth=3
	s_andn2_saveexec_b32 s16, s16
; %bb.8195:                             ;   in Loop: Header=BB6_7994 Depth=3
	v_bfe_u32 v1, v4, 23, 1
; %bb.8196:                             ;   in Loop: Header=BB6_7994 Depth=3
	s_or_b32 exec_lo, exec_lo, s16
	v_lshrrev_b32_e32 v4, 21, v4
	v_min_i32_e32 v5, 31, v1
	v_cmp_gt_i32_e32 vcc_lo, 32, v1
	v_and_b32_sdwa v0, v0, v117 dst_sel:DWORD dst_unused:UNUSED_PAD src0_sel:BYTE_3 src1_sel:DWORD
	v_lshlrev_b32_e32 v5, 2, v5
	v_cndmask_b32_e32 v4, 3, v4, vcc_lo
	v_and_b32_e32 v5, 0xfc, v5
	v_and_b32_e32 v6, 3, v4
	v_or_b32_e32 v1, v1, v4
	v_or3_b32 v0, v0, v5, v6
	v_cmp_ne_u32_e32 vcc_lo, 0, v1
	v_lshlrev_b32_e32 v0, 8, v0
	v_cndmask_b32_e32 v102, 0, v0, vcc_lo
.LBB6_8197:                             ;   in Loop: Header=BB6_7994 Depth=3
	s_or_b32 exec_lo, exec_lo, s73
.LBB6_8198:                             ;   in Loop: Header=BB6_7994 Depth=3
	s_or_b32 exec_lo, exec_lo, s72
	v_and_b32_sdwa v1, v11, v40 dst_sel:DWORD dst_unused:UNUSED_PAD src0_sel:WORD_1 src1_sel:DWORD
	s_mov_b32 s16, 0
	s_mov_b32 s72, exec_lo
	v_cmpx_lt_i16_e32 0x7f, v1
	s_xor_b32 s72, exec_lo, s72
	s_cbranch_execz .LBB6_10204
; %bb.8199:                             ;   in Loop: Header=BB6_7994 Depth=3
	s_mov_b32 s16, -1
	s_mov_b32 s73, exec_lo
	v_cmpx_eq_u16_e32 0x80, v1
; %bb.8200:                             ;   in Loop: Header=BB6_7994 Depth=3
	s_xor_b32 s16, exec_lo, -1
; %bb.8201:                             ;   in Loop: Header=BB6_7994 Depth=3
	s_or_b32 exec_lo, exec_lo, s73
	s_and_b32 s16, s16, exec_lo
                                        ; implicit-def: $vgpr1
	s_or_saveexec_b32 s72, s72
	v_mov_b32_e32 v0, 0x7f800001
	s_xor_b32 exec_lo, exec_lo, s72
	s_cbranch_execnz .LBB6_10205
.LBB6_8202:                             ;   in Loop: Header=BB6_7994 Depth=3
	s_or_b32 exec_lo, exec_lo, s72
	s_and_saveexec_b32 s72, s16
	s_cbranch_execz .LBB6_8204
.LBB6_8203:                             ;   in Loop: Header=BB6_7994 Depth=3
	v_bfe_u32 v0, v11, 16, 2
	v_bfe_u32 v5, v11, 18, 5
	v_lshlrev_b32_e32 v6, 8, v11
	v_ffbh_u32_e32 v1, v0
	v_cmp_eq_u32_e32 vcc_lo, 0, v5
	v_min_u32_e32 v1, 32, v1
	v_subrev_nc_u32_e32 v4, 29, v1
	v_sub_nc_u32_e32 v1, 30, v1
	v_lshlrev_b32_sdwa v4, v4, v11 dst_sel:DWORD dst_unused:UNUSED_PAD src0_sel:DWORD src1_sel:WORD_1
	v_cndmask_b32_e32 v1, v5, v1, vcc_lo
	v_and_b32_e32 v4, 3, v4
	v_lshl_add_u32 v1, v1, 23, 0x37800000
	v_cndmask_b32_e32 v0, v0, v4, vcc_lo
	v_and_b32_e32 v4, 0x80000000, v6
	v_lshlrev_b32_e32 v0, 21, v0
	v_or3_b32 v0, v4, v1, v0
.LBB6_8204:                             ;   in Loop: Header=BB6_7994 Depth=3
	s_or_b32 exec_lo, exec_lo, s72
	v_mul_f32_e32 v1, s23, v0
	v_and_b32_e32 v0, 0x7f800000, v1
	v_cmp_ne_u32_e32 vcc_lo, 0x7f800000, v0
	v_mov_b32_e32 v0, 0x80
	s_and_saveexec_b32 s72, vcc_lo
	s_cbranch_execz .LBB6_8212
; %bb.8205:                             ;   in Loop: Header=BB6_7994 Depth=3
	v_mov_b32_e32 v0, 0
	s_mov_b32 s73, exec_lo
	v_cmpx_ne_u32_e32 0, v1
	s_cbranch_execz .LBB6_8211
; %bb.8206:                             ;   in Loop: Header=BB6_7994 Depth=3
	v_bfe_u32 v0, v1, 23, 8
	v_and_b32_e32 v4, 0x7fffff, v1
	v_sub_nc_u32_e32 v5, 0x70, v0
	v_cmp_gt_u32_e32 vcc_lo, 0x71, v0
	v_or_b32_e32 v6, 0x800000, v4
	v_cndmask_b32_e32 v5, 0, v5, vcc_lo
	v_cmp_eq_u32_e32 vcc_lo, 0, v0
	v_add_nc_u32_e32 v0, 0xffffff91, v0
	v_cndmask_b32_e64 v5, v5, 0x6f, vcc_lo
	v_cndmask_b32_e32 v4, v6, v4, vcc_lo
	v_cndmask_b32_e64 v0, v0, 0xffffff92, vcc_lo
	v_lshl_add_u32 v6, 0x200000, v5, -1
	v_lshrrev_b32_e32 v7, v5, v4
	v_lshlrev_b32_e64 v9, v5, 0x100000
	v_add_nc_u32_e32 v5, v5, v0
	v_and_b32_e32 v4, v6, v4
	v_bfe_u32 v8, v7, 21, 1
	v_cmp_eq_u32_e64 s16, v4, v9
	v_add_nc_u32_e32 v6, -1, v8
	v_cndmask_b32_e64 v4, 0, v6, s16
	v_lshrrev_b32_e32 v6, 23, v7
	s_mov_b32 s16, exec_lo
	v_add_nc_u32_e32 v4, v4, v7
	v_xor_b32_e32 v6, 1, v6
	v_and_b32_e32 v0, 0x1fffff, v4
	v_add_nc_u32_e32 v4, v0, v7
                                        ; implicit-def: $vgpr0
	v_cmpx_ne_u32_e64 v5, v6
	s_xor_b32 s16, exec_lo, s16
; %bb.8207:                             ;   in Loop: Header=BB6_7994 Depth=3
	v_cmp_lt_u32_e32 vcc_lo, 0xffffff, v4
	v_sub_nc_u32_e32 v0, v5, v6
	v_cndmask_b32_e64 v5, 0, 1, vcc_lo
	v_add_co_ci_u32_e64 v0, null, 0, v0, vcc_lo
	v_lshrrev_b32_e32 v4, v5, v4
; %bb.8208:                             ;   in Loop: Header=BB6_7994 Depth=3
	s_andn2_saveexec_b32 s16, s16
; %bb.8209:                             ;   in Loop: Header=BB6_7994 Depth=3
	v_bfe_u32 v0, v4, 23, 1
; %bb.8210:                             ;   in Loop: Header=BB6_7994 Depth=3
	s_or_b32 exec_lo, exec_lo, s16
	v_lshrrev_b32_e32 v4, 21, v4
	v_min_i32_e32 v5, 31, v0
	v_cmp_gt_i32_e32 vcc_lo, 32, v0
	v_and_b32_sdwa v1, v1, v117 dst_sel:DWORD dst_unused:UNUSED_PAD src0_sel:BYTE_3 src1_sel:DWORD
	v_lshlrev_b32_e32 v5, 2, v5
	v_cndmask_b32_e32 v4, 3, v4, vcc_lo
	v_and_b32_e32 v5, 0xfc, v5
	v_and_b32_e32 v6, 3, v4
	v_or_b32_e32 v0, v0, v4
	v_or3_b32 v1, v5, v1, v6
	v_cmp_ne_u32_e32 vcc_lo, 0, v0
	v_cndmask_b32_e32 v0, 0, v1, vcc_lo
.LBB6_8211:                             ;   in Loop: Header=BB6_7994 Depth=3
	s_or_b32 exec_lo, exec_lo, s73
.LBB6_8212:                             ;   in Loop: Header=BB6_7994 Depth=3
	s_or_b32 exec_lo, exec_lo, s72
	v_cmp_gt_i16_sdwa s72, v11, v116 src0_sel:BYTE_3 src1_sel:DWORD
	s_mov_b32 s16, 0
	s_and_saveexec_b32 s73, s72
	s_xor_b32 s72, exec_lo, s73
	s_cbranch_execz .LBB6_10206
; %bb.8213:                             ;   in Loop: Header=BB6_7994 Depth=3
	v_cmp_eq_u16_sdwa s74, v11, v117 src0_sel:BYTE_3 src1_sel:DWORD
	s_mov_b32 s16, -1
	s_and_saveexec_b32 s73, s74
; %bb.8214:                             ;   in Loop: Header=BB6_7994 Depth=3
	s_xor_b32 s16, exec_lo, -1
; %bb.8215:                             ;   in Loop: Header=BB6_7994 Depth=3
	s_or_b32 exec_lo, exec_lo, s73
	s_and_b32 s16, s16, exec_lo
	s_or_saveexec_b32 s72, s72
	v_mov_b32_e32 v1, 0x7f800001
	s_xor_b32 exec_lo, exec_lo, s72
	s_cbranch_execnz .LBB6_10207
.LBB6_8216:                             ;   in Loop: Header=BB6_7994 Depth=3
	s_or_b32 exec_lo, exec_lo, s72
	s_and_saveexec_b32 s72, s16
	s_cbranch_execz .LBB6_8218
.LBB6_8217:                             ;   in Loop: Header=BB6_7994 Depth=3
	v_bfe_u32 v1, v11, 24, 2
	v_bfe_u32 v6, v11, 26, 5
	v_ffbh_u32_e32 v4, v1
	v_cmp_eq_u32_e32 vcc_lo, 0, v6
	v_min_u32_e32 v4, 32, v4
	v_subrev_nc_u32_e32 v5, 29, v4
	v_sub_nc_u32_e32 v4, 30, v4
	v_lshlrev_b32_sdwa v5, v5, v11 dst_sel:DWORD dst_unused:UNUSED_PAD src0_sel:DWORD src1_sel:BYTE_3
	v_cndmask_b32_e32 v4, v6, v4, vcc_lo
	v_and_b32_e32 v5, 3, v5
	v_lshl_add_u32 v4, v4, 23, 0x37800000
	v_cndmask_b32_e32 v1, v1, v5, vcc_lo
	v_and_b32_e32 v5, 0x80000000, v11
	v_lshlrev_b32_e32 v1, 21, v1
	v_or3_b32 v1, v5, v4, v1
.LBB6_8218:                             ;   in Loop: Header=BB6_7994 Depth=3
	s_or_b32 exec_lo, exec_lo, s72
	v_mul_f32_e32 v1, s23, v1
	v_mov_b32_e32 v56, 0x8000
	s_mov_b32 s72, exec_lo
	v_and_b32_e32 v4, 0x7f800000, v1
	v_cmpx_ne_u32_e32 0x7f800000, v4
	s_cbranch_execz .LBB6_8226
; %bb.8219:                             ;   in Loop: Header=BB6_7994 Depth=3
	v_mov_b32_e32 v56, 0
	s_mov_b32 s73, exec_lo
	v_cmpx_ne_u32_e32 0, v1
	s_cbranch_execz .LBB6_8225
; %bb.8220:                             ;   in Loop: Header=BB6_7994 Depth=3
	v_bfe_u32 v4, v1, 23, 8
	v_and_b32_e32 v5, 0x7fffff, v1
	v_sub_nc_u32_e32 v6, 0x70, v4
	v_cmp_gt_u32_e32 vcc_lo, 0x71, v4
	v_or_b32_e32 v7, 0x800000, v5
	v_cndmask_b32_e32 v6, 0, v6, vcc_lo
	v_cmp_eq_u32_e32 vcc_lo, 0, v4
	v_add_nc_u32_e32 v4, 0xffffff91, v4
	v_cndmask_b32_e64 v6, v6, 0x6f, vcc_lo
	v_cndmask_b32_e32 v5, v7, v5, vcc_lo
	v_cndmask_b32_e64 v4, v4, 0xffffff92, vcc_lo
	v_lshl_add_u32 v7, 0x200000, v6, -1
	v_lshrrev_b32_e32 v8, v6, v5
	v_lshlrev_b32_e64 v10, v6, 0x100000
	v_add_nc_u32_e32 v6, v6, v4
	v_and_b32_e32 v5, v7, v5
	v_bfe_u32 v9, v8, 21, 1
	v_cmp_eq_u32_e64 s16, v5, v10
	v_add_nc_u32_e32 v7, -1, v9
	v_cndmask_b32_e64 v5, 0, v7, s16
	v_lshrrev_b32_e32 v7, 23, v8
	s_mov_b32 s16, exec_lo
	v_add_nc_u32_e32 v5, v5, v8
	v_xor_b32_e32 v7, 1, v7
	v_and_b32_e32 v4, 0x1fffff, v5
	v_add_nc_u32_e32 v5, v4, v8
                                        ; implicit-def: $vgpr4
	v_cmpx_ne_u32_e64 v6, v7
	s_xor_b32 s16, exec_lo, s16
; %bb.8221:                             ;   in Loop: Header=BB6_7994 Depth=3
	v_cmp_lt_u32_e32 vcc_lo, 0xffffff, v5
	v_sub_nc_u32_e32 v4, v6, v7
	v_cndmask_b32_e64 v6, 0, 1, vcc_lo
	v_add_co_ci_u32_e64 v4, null, 0, v4, vcc_lo
	v_lshrrev_b32_e32 v5, v6, v5
; %bb.8222:                             ;   in Loop: Header=BB6_7994 Depth=3
	s_andn2_saveexec_b32 s16, s16
; %bb.8223:                             ;   in Loop: Header=BB6_7994 Depth=3
	v_bfe_u32 v4, v5, 23, 1
; %bb.8224:                             ;   in Loop: Header=BB6_7994 Depth=3
	s_or_b32 exec_lo, exec_lo, s16
	v_lshrrev_b32_e32 v5, 21, v5
	v_min_i32_e32 v6, 31, v4
	v_cmp_gt_i32_e32 vcc_lo, 32, v4
	v_and_b32_sdwa v1, v1, v117 dst_sel:DWORD dst_unused:UNUSED_PAD src0_sel:BYTE_3 src1_sel:DWORD
	v_lshlrev_b32_e32 v6, 2, v6
	v_cndmask_b32_e32 v5, 3, v5, vcc_lo
	v_and_b32_e32 v6, 0xfc, v6
	v_and_b32_e32 v7, 3, v5
	v_or_b32_e32 v4, v4, v5
	v_or3_b32 v1, v1, v6, v7
	v_cmp_ne_u32_e32 vcc_lo, 0, v4
	v_lshlrev_b32_e32 v1, 8, v1
	v_cndmask_b32_e32 v56, 0, v1, vcc_lo
.LBB6_8225:                             ;   in Loop: Header=BB6_7994 Depth=3
	s_or_b32 exec_lo, exec_lo, s73
.LBB6_8226:                             ;   in Loop: Header=BB6_7994 Depth=3
	s_or_b32 exec_lo, exec_lo, s72
	global_load_dwordx4 v[8:11], v[96:97], off offset:512 slc
	s_mov_b32 s16, 0
	s_waitcnt vmcnt(0)
	v_cmp_gt_i16_sdwa s72, v8, v116 src0_sel:BYTE_0 src1_sel:DWORD
	s_and_saveexec_b32 s73, s72
	s_xor_b32 s72, exec_lo, s73
	s_cbranch_execz .LBB6_10208
; %bb.8227:                             ;   in Loop: Header=BB6_7994 Depth=3
	v_cmp_eq_u16_sdwa s74, v8, v117 src0_sel:BYTE_0 src1_sel:DWORD
	s_mov_b32 s16, -1
	s_and_saveexec_b32 s73, s74
; %bb.8228:                             ;   in Loop: Header=BB6_7994 Depth=3
	s_xor_b32 s16, exec_lo, -1
; %bb.8229:                             ;   in Loop: Header=BB6_7994 Depth=3
	s_or_b32 exec_lo, exec_lo, s73
	s_and_b32 s16, s16, exec_lo
	s_or_saveexec_b32 s72, s72
	v_mov_b32_e32 v1, 0x7f800001
	s_xor_b32 exec_lo, exec_lo, s72
	s_cbranch_execnz .LBB6_10209
.LBB6_8230:                             ;   in Loop: Header=BB6_7994 Depth=3
	s_or_b32 exec_lo, exec_lo, s72
	s_and_saveexec_b32 s72, s16
	s_cbranch_execz .LBB6_8232
.LBB6_8231:                             ;   in Loop: Header=BB6_7994 Depth=3
	v_and_b32_e32 v1, 3, v8
	v_bfe_u32 v6, v8, 2, 5
	v_lshlrev_b32_e32 v7, 24, v8
	v_ffbh_u32_e32 v4, v1
	v_cmp_eq_u32_e32 vcc_lo, 0, v6
	v_min_u32_e32 v4, 32, v4
	v_subrev_nc_u32_e32 v5, 29, v4
	v_sub_nc_u32_e32 v4, 30, v4
	v_lshlrev_b32_e32 v5, v5, v8
	v_cndmask_b32_e32 v4, v6, v4, vcc_lo
	v_and_b32_e32 v5, 3, v5
	v_lshl_add_u32 v4, v4, 23, 0x37800000
	v_cndmask_b32_e32 v1, v1, v5, vcc_lo
	v_and_b32_e32 v5, 0x80000000, v7
	v_lshlrev_b32_e32 v1, 21, v1
	v_or3_b32 v1, v5, v4, v1
.LBB6_8232:                             ;   in Loop: Header=BB6_7994 Depth=3
	s_or_b32 exec_lo, exec_lo, s72
	v_mul_f32_e32 v1, s23, v1
	v_mov_b32_e32 v73, 0x80
	s_mov_b32 s72, exec_lo
	v_and_b32_e32 v4, 0x7f800000, v1
	v_cmpx_ne_u32_e32 0x7f800000, v4
	s_cbranch_execz .LBB6_8240
; %bb.8233:                             ;   in Loop: Header=BB6_7994 Depth=3
	v_mov_b32_e32 v73, 0
	s_mov_b32 s73, exec_lo
	v_cmpx_ne_u32_e32 0, v1
	s_cbranch_execz .LBB6_8239
; %bb.8234:                             ;   in Loop: Header=BB6_7994 Depth=3
	v_bfe_u32 v4, v1, 23, 8
	v_and_b32_e32 v5, 0x7fffff, v1
	v_sub_nc_u32_e32 v6, 0x70, v4
	v_cmp_gt_u32_e32 vcc_lo, 0x71, v4
	v_or_b32_e32 v7, 0x800000, v5
	v_cndmask_b32_e32 v6, 0, v6, vcc_lo
	v_cmp_eq_u32_e32 vcc_lo, 0, v4
	v_add_nc_u32_e32 v4, 0xffffff91, v4
	v_cndmask_b32_e64 v6, v6, 0x6f, vcc_lo
	v_cndmask_b32_e32 v5, v7, v5, vcc_lo
	v_cndmask_b32_e64 v4, v4, 0xffffff92, vcc_lo
	v_lshl_add_u32 v7, 0x200000, v6, -1
	v_lshrrev_b32_e32 v14, v6, v5
	v_lshlrev_b32_e64 v16, v6, 0x100000
	v_add_nc_u32_e32 v6, v6, v4
	v_and_b32_e32 v5, v7, v5
	v_bfe_u32 v15, v14, 21, 1
	v_cmp_eq_u32_e64 s16, v5, v16
	v_add_nc_u32_e32 v7, -1, v15
	v_cndmask_b32_e64 v5, 0, v7, s16
	v_lshrrev_b32_e32 v7, 23, v14
	s_mov_b32 s16, exec_lo
	v_add_nc_u32_e32 v5, v5, v14
	v_xor_b32_e32 v7, 1, v7
	v_and_b32_e32 v4, 0x1fffff, v5
	v_add_nc_u32_e32 v5, v4, v14
                                        ; implicit-def: $vgpr4
	v_cmpx_ne_u32_e64 v6, v7
	s_xor_b32 s16, exec_lo, s16
; %bb.8235:                             ;   in Loop: Header=BB6_7994 Depth=3
	v_cmp_lt_u32_e32 vcc_lo, 0xffffff, v5
	v_sub_nc_u32_e32 v4, v6, v7
	v_cndmask_b32_e64 v6, 0, 1, vcc_lo
	v_add_co_ci_u32_e64 v4, null, 0, v4, vcc_lo
	v_lshrrev_b32_e32 v5, v6, v5
; %bb.8236:                             ;   in Loop: Header=BB6_7994 Depth=3
	s_andn2_saveexec_b32 s16, s16
; %bb.8237:                             ;   in Loop: Header=BB6_7994 Depth=3
	v_bfe_u32 v4, v5, 23, 1
; %bb.8238:                             ;   in Loop: Header=BB6_7994 Depth=3
	s_or_b32 exec_lo, exec_lo, s16
	v_lshrrev_b32_e32 v5, 21, v5
	v_min_i32_e32 v6, 31, v4
	v_cmp_gt_i32_e32 vcc_lo, 32, v4
	v_and_b32_sdwa v1, v1, v117 dst_sel:DWORD dst_unused:UNUSED_PAD src0_sel:BYTE_3 src1_sel:DWORD
	v_lshlrev_b32_e32 v6, 2, v6
	v_cndmask_b32_e32 v5, 3, v5, vcc_lo
	v_and_b32_e32 v6, 0xfc, v6
	v_and_b32_e32 v7, 3, v5
	v_or_b32_e32 v4, v4, v5
	v_or3_b32 v1, v6, v1, v7
	v_cmp_ne_u32_e32 vcc_lo, 0, v4
	v_cndmask_b32_e32 v73, 0, v1, vcc_lo
.LBB6_8239:                             ;   in Loop: Header=BB6_7994 Depth=3
	s_or_b32 exec_lo, exec_lo, s73
.LBB6_8240:                             ;   in Loop: Header=BB6_7994 Depth=3
	s_or_b32 exec_lo, exec_lo, s72
	v_cmp_gt_i16_sdwa s72, v8, v116 src0_sel:BYTE_1 src1_sel:DWORD
	s_mov_b32 s16, 0
	s_and_saveexec_b32 s73, s72
	s_xor_b32 s72, exec_lo, s73
	s_cbranch_execz .LBB6_10210
; %bb.8241:                             ;   in Loop: Header=BB6_7994 Depth=3
	v_cmp_eq_u16_sdwa s74, v8, v117 src0_sel:BYTE_1 src1_sel:DWORD
	s_mov_b32 s16, -1
	s_and_saveexec_b32 s73, s74
; %bb.8242:                             ;   in Loop: Header=BB6_7994 Depth=3
	s_xor_b32 s16, exec_lo, -1
; %bb.8243:                             ;   in Loop: Header=BB6_7994 Depth=3
	s_or_b32 exec_lo, exec_lo, s73
	s_and_b32 s16, s16, exec_lo
	s_or_saveexec_b32 s72, s72
	v_mov_b32_e32 v1, 0x7f800001
	s_xor_b32 exec_lo, exec_lo, s72
	s_cbranch_execnz .LBB6_10211
.LBB6_8244:                             ;   in Loop: Header=BB6_7994 Depth=3
	s_or_b32 exec_lo, exec_lo, s72
	s_and_saveexec_b32 s72, s16
	s_cbranch_execz .LBB6_8246
.LBB6_8245:                             ;   in Loop: Header=BB6_7994 Depth=3
	v_and_b32_sdwa v1, v118, v8 dst_sel:DWORD dst_unused:UNUSED_PAD src0_sel:DWORD src1_sel:BYTE_1
	v_and_b32_e32 v4, 3, v1
	v_bfe_u32 v7, v1, 2, 5
	v_ffbh_u32_e32 v5, v4
	v_cmp_eq_u32_e32 vcc_lo, 0, v7
	v_min_u32_e32 v5, 32, v5
	v_subrev_nc_u32_e32 v6, 29, v5
	v_sub_nc_u32_e32 v5, 30, v5
	v_lshlrev_b32_e32 v1, v6, v1
	v_lshlrev_b32_sdwa v6, v119, v8 dst_sel:DWORD dst_unused:UNUSED_PAD src0_sel:DWORD src1_sel:BYTE_1
	v_cndmask_b32_e32 v5, v7, v5, vcc_lo
	v_and_b32_e32 v1, 3, v1
	v_lshl_add_u32 v5, v5, 23, 0x37800000
	v_cndmask_b32_e32 v1, v4, v1, vcc_lo
	v_and_b32_e32 v4, 0x80000000, v6
	v_lshlrev_b32_e32 v1, 21, v1
	v_or3_b32 v1, v4, v5, v1
.LBB6_8246:                             ;   in Loop: Header=BB6_7994 Depth=3
	s_or_b32 exec_lo, exec_lo, s72
	v_mul_f32_e32 v1, s23, v1
	v_mov_b32_e32 v59, 0x8000
	s_mov_b32 s72, exec_lo
	v_and_b32_e32 v4, 0x7f800000, v1
	v_cmpx_ne_u32_e32 0x7f800000, v4
	s_cbranch_execz .LBB6_8254
; %bb.8247:                             ;   in Loop: Header=BB6_7994 Depth=3
	v_mov_b32_e32 v59, 0
	s_mov_b32 s73, exec_lo
	v_cmpx_ne_u32_e32 0, v1
	s_cbranch_execz .LBB6_8253
; %bb.8248:                             ;   in Loop: Header=BB6_7994 Depth=3
	v_bfe_u32 v4, v1, 23, 8
	v_and_b32_e32 v5, 0x7fffff, v1
	v_sub_nc_u32_e32 v6, 0x70, v4
	v_cmp_gt_u32_e32 vcc_lo, 0x71, v4
	v_or_b32_e32 v7, 0x800000, v5
	v_cndmask_b32_e32 v6, 0, v6, vcc_lo
	v_cmp_eq_u32_e32 vcc_lo, 0, v4
	v_add_nc_u32_e32 v4, 0xffffff91, v4
	v_cndmask_b32_e64 v6, v6, 0x6f, vcc_lo
	v_cndmask_b32_e32 v5, v7, v5, vcc_lo
	v_cndmask_b32_e64 v4, v4, 0xffffff92, vcc_lo
	v_lshl_add_u32 v7, 0x200000, v6, -1
	v_lshrrev_b32_e32 v14, v6, v5
	v_lshlrev_b32_e64 v16, v6, 0x100000
	v_add_nc_u32_e32 v6, v6, v4
	v_and_b32_e32 v5, v7, v5
	v_bfe_u32 v15, v14, 21, 1
	v_cmp_eq_u32_e64 s16, v5, v16
	v_add_nc_u32_e32 v7, -1, v15
	v_cndmask_b32_e64 v5, 0, v7, s16
	v_lshrrev_b32_e32 v7, 23, v14
	s_mov_b32 s16, exec_lo
	v_add_nc_u32_e32 v5, v5, v14
	v_xor_b32_e32 v7, 1, v7
	v_and_b32_e32 v4, 0x1fffff, v5
	v_add_nc_u32_e32 v5, v4, v14
                                        ; implicit-def: $vgpr4
	v_cmpx_ne_u32_e64 v6, v7
	s_xor_b32 s16, exec_lo, s16
; %bb.8249:                             ;   in Loop: Header=BB6_7994 Depth=3
	v_cmp_lt_u32_e32 vcc_lo, 0xffffff, v5
	v_sub_nc_u32_e32 v4, v6, v7
	v_cndmask_b32_e64 v6, 0, 1, vcc_lo
	v_add_co_ci_u32_e64 v4, null, 0, v4, vcc_lo
	v_lshrrev_b32_e32 v5, v6, v5
; %bb.8250:                             ;   in Loop: Header=BB6_7994 Depth=3
	s_andn2_saveexec_b32 s16, s16
; %bb.8251:                             ;   in Loop: Header=BB6_7994 Depth=3
	v_bfe_u32 v4, v5, 23, 1
; %bb.8252:                             ;   in Loop: Header=BB6_7994 Depth=3
	s_or_b32 exec_lo, exec_lo, s16
	v_lshrrev_b32_e32 v5, 21, v5
	v_min_i32_e32 v6, 31, v4
	v_cmp_gt_i32_e32 vcc_lo, 32, v4
	v_and_b32_sdwa v1, v1, v117 dst_sel:DWORD dst_unused:UNUSED_PAD src0_sel:BYTE_3 src1_sel:DWORD
	v_lshlrev_b32_e32 v6, 2, v6
	v_cndmask_b32_e32 v5, 3, v5, vcc_lo
	v_and_b32_e32 v6, 0xfc, v6
	v_and_b32_e32 v7, 3, v5
	v_or_b32_e32 v4, v4, v5
	v_or3_b32 v1, v1, v6, v7
	v_cmp_ne_u32_e32 vcc_lo, 0, v4
	v_lshlrev_b32_e32 v1, 8, v1
	v_cndmask_b32_e32 v59, 0, v1, vcc_lo
.LBB6_8253:                             ;   in Loop: Header=BB6_7994 Depth=3
	s_or_b32 exec_lo, exec_lo, s73
.LBB6_8254:                             ;   in Loop: Header=BB6_7994 Depth=3
	s_or_b32 exec_lo, exec_lo, s72
	v_and_b32_sdwa v4, v8, v40 dst_sel:DWORD dst_unused:UNUSED_PAD src0_sel:WORD_1 src1_sel:DWORD
	s_mov_b32 s16, 0
	s_mov_b32 s72, exec_lo
	v_cmpx_lt_i16_e32 0x7f, v4
	s_xor_b32 s72, exec_lo, s72
	s_cbranch_execz .LBB6_10212
; %bb.8255:                             ;   in Loop: Header=BB6_7994 Depth=3
	s_mov_b32 s16, -1
	s_mov_b32 s73, exec_lo
	v_cmpx_eq_u16_e32 0x80, v4
; %bb.8256:                             ;   in Loop: Header=BB6_7994 Depth=3
	s_xor_b32 s16, exec_lo, -1
; %bb.8257:                             ;   in Loop: Header=BB6_7994 Depth=3
	s_or_b32 exec_lo, exec_lo, s73
	s_and_b32 s16, s16, exec_lo
                                        ; implicit-def: $vgpr4
	s_or_saveexec_b32 s72, s72
	v_mov_b32_e32 v1, 0x7f800001
	s_xor_b32 exec_lo, exec_lo, s72
	s_cbranch_execnz .LBB6_10213
.LBB6_8258:                             ;   in Loop: Header=BB6_7994 Depth=3
	s_or_b32 exec_lo, exec_lo, s72
	s_and_saveexec_b32 s72, s16
	s_cbranch_execz .LBB6_8260
.LBB6_8259:                             ;   in Loop: Header=BB6_7994 Depth=3
	v_bfe_u32 v1, v8, 16, 2
	v_bfe_u32 v6, v8, 18, 5
	v_lshlrev_b32_e32 v7, 8, v8
	v_ffbh_u32_e32 v4, v1
	v_cmp_eq_u32_e32 vcc_lo, 0, v6
	v_min_u32_e32 v4, 32, v4
	v_subrev_nc_u32_e32 v5, 29, v4
	v_sub_nc_u32_e32 v4, 30, v4
	v_lshlrev_b32_sdwa v5, v5, v8 dst_sel:DWORD dst_unused:UNUSED_PAD src0_sel:DWORD src1_sel:WORD_1
	v_cndmask_b32_e32 v4, v6, v4, vcc_lo
	v_and_b32_e32 v5, 3, v5
	v_lshl_add_u32 v4, v4, 23, 0x37800000
	v_cndmask_b32_e32 v1, v1, v5, vcc_lo
	v_and_b32_e32 v5, 0x80000000, v7
	v_lshlrev_b32_e32 v1, 21, v1
	v_or3_b32 v1, v5, v4, v1
.LBB6_8260:                             ;   in Loop: Header=BB6_7994 Depth=3
	s_or_b32 exec_lo, exec_lo, s72
	v_mul_f32_e32 v1, s23, v1
	v_mov_b32_e32 v61, 0x80
	s_mov_b32 s72, exec_lo
	v_and_b32_e32 v4, 0x7f800000, v1
	v_cmpx_ne_u32_e32 0x7f800000, v4
	s_cbranch_execz .LBB6_8268
; %bb.8261:                             ;   in Loop: Header=BB6_7994 Depth=3
	v_mov_b32_e32 v61, 0
	s_mov_b32 s73, exec_lo
	v_cmpx_ne_u32_e32 0, v1
	s_cbranch_execz .LBB6_8267
; %bb.8262:                             ;   in Loop: Header=BB6_7994 Depth=3
	v_bfe_u32 v4, v1, 23, 8
	v_and_b32_e32 v5, 0x7fffff, v1
	v_sub_nc_u32_e32 v6, 0x70, v4
	v_cmp_gt_u32_e32 vcc_lo, 0x71, v4
	v_or_b32_e32 v7, 0x800000, v5
	v_cndmask_b32_e32 v6, 0, v6, vcc_lo
	v_cmp_eq_u32_e32 vcc_lo, 0, v4
	v_add_nc_u32_e32 v4, 0xffffff91, v4
	v_cndmask_b32_e64 v6, v6, 0x6f, vcc_lo
	v_cndmask_b32_e32 v5, v7, v5, vcc_lo
	v_cndmask_b32_e64 v4, v4, 0xffffff92, vcc_lo
	v_lshl_add_u32 v7, 0x200000, v6, -1
	v_lshrrev_b32_e32 v14, v6, v5
	v_lshlrev_b32_e64 v16, v6, 0x100000
	v_add_nc_u32_e32 v6, v6, v4
	v_and_b32_e32 v5, v7, v5
	v_bfe_u32 v15, v14, 21, 1
	v_cmp_eq_u32_e64 s16, v5, v16
	v_add_nc_u32_e32 v7, -1, v15
	v_cndmask_b32_e64 v5, 0, v7, s16
	v_lshrrev_b32_e32 v7, 23, v14
	s_mov_b32 s16, exec_lo
	v_add_nc_u32_e32 v5, v5, v14
	v_xor_b32_e32 v7, 1, v7
	v_and_b32_e32 v4, 0x1fffff, v5
	v_add_nc_u32_e32 v5, v4, v14
                                        ; implicit-def: $vgpr4
	v_cmpx_ne_u32_e64 v6, v7
	s_xor_b32 s16, exec_lo, s16
; %bb.8263:                             ;   in Loop: Header=BB6_7994 Depth=3
	v_cmp_lt_u32_e32 vcc_lo, 0xffffff, v5
	v_sub_nc_u32_e32 v4, v6, v7
	v_cndmask_b32_e64 v6, 0, 1, vcc_lo
	v_add_co_ci_u32_e64 v4, null, 0, v4, vcc_lo
	v_lshrrev_b32_e32 v5, v6, v5
; %bb.8264:                             ;   in Loop: Header=BB6_7994 Depth=3
	s_andn2_saveexec_b32 s16, s16
; %bb.8265:                             ;   in Loop: Header=BB6_7994 Depth=3
	v_bfe_u32 v4, v5, 23, 1
; %bb.8266:                             ;   in Loop: Header=BB6_7994 Depth=3
	s_or_b32 exec_lo, exec_lo, s16
	v_lshrrev_b32_e32 v5, 21, v5
	v_min_i32_e32 v6, 31, v4
	v_cmp_gt_i32_e32 vcc_lo, 32, v4
	v_and_b32_sdwa v1, v1, v117 dst_sel:DWORD dst_unused:UNUSED_PAD src0_sel:BYTE_3 src1_sel:DWORD
	v_lshlrev_b32_e32 v6, 2, v6
	v_cndmask_b32_e32 v5, 3, v5, vcc_lo
	v_and_b32_e32 v6, 0xfc, v6
	v_and_b32_e32 v7, 3, v5
	v_or_b32_e32 v4, v4, v5
	v_or3_b32 v1, v6, v1, v7
	v_cmp_ne_u32_e32 vcc_lo, 0, v4
	v_cndmask_b32_e32 v61, 0, v1, vcc_lo
.LBB6_8267:                             ;   in Loop: Header=BB6_7994 Depth=3
	s_or_b32 exec_lo, exec_lo, s73
.LBB6_8268:                             ;   in Loop: Header=BB6_7994 Depth=3
	s_or_b32 exec_lo, exec_lo, s72
	v_cmp_gt_i16_sdwa s72, v8, v116 src0_sel:BYTE_3 src1_sel:DWORD
	s_mov_b32 s16, 0
	s_and_saveexec_b32 s73, s72
	s_xor_b32 s72, exec_lo, s73
	s_cbranch_execz .LBB6_10214
; %bb.8269:                             ;   in Loop: Header=BB6_7994 Depth=3
	v_cmp_eq_u16_sdwa s74, v8, v117 src0_sel:BYTE_3 src1_sel:DWORD
	s_mov_b32 s16, -1
	s_and_saveexec_b32 s73, s74
; %bb.8270:                             ;   in Loop: Header=BB6_7994 Depth=3
	s_xor_b32 s16, exec_lo, -1
; %bb.8271:                             ;   in Loop: Header=BB6_7994 Depth=3
	s_or_b32 exec_lo, exec_lo, s73
	s_and_b32 s16, s16, exec_lo
	s_or_saveexec_b32 s72, s72
	v_mov_b32_e32 v1, 0x7f800001
	s_xor_b32 exec_lo, exec_lo, s72
	s_cbranch_execnz .LBB6_10215
.LBB6_8272:                             ;   in Loop: Header=BB6_7994 Depth=3
	s_or_b32 exec_lo, exec_lo, s72
	s_and_saveexec_b32 s72, s16
	s_cbranch_execz .LBB6_8274
.LBB6_8273:                             ;   in Loop: Header=BB6_7994 Depth=3
	v_bfe_u32 v1, v8, 24, 2
	v_bfe_u32 v6, v8, 26, 5
	v_ffbh_u32_e32 v4, v1
	v_cmp_eq_u32_e32 vcc_lo, 0, v6
	v_min_u32_e32 v4, 32, v4
	v_subrev_nc_u32_e32 v5, 29, v4
	v_sub_nc_u32_e32 v4, 30, v4
	v_lshlrev_b32_sdwa v5, v5, v8 dst_sel:DWORD dst_unused:UNUSED_PAD src0_sel:DWORD src1_sel:BYTE_3
	v_cndmask_b32_e32 v4, v6, v4, vcc_lo
	v_and_b32_e32 v5, 3, v5
	v_lshl_add_u32 v4, v4, 23, 0x37800000
	v_cndmask_b32_e32 v1, v1, v5, vcc_lo
	v_and_b32_e32 v5, 0x80000000, v8
	v_lshlrev_b32_e32 v1, 21, v1
	v_or3_b32 v1, v5, v4, v1
.LBB6_8274:                             ;   in Loop: Header=BB6_7994 Depth=3
	s_or_b32 exec_lo, exec_lo, s72
	v_mul_f32_e32 v1, s23, v1
	v_mov_b32_e32 v72, 0x8000
	s_mov_b32 s72, exec_lo
	v_and_b32_e32 v4, 0x7f800000, v1
	v_cmpx_ne_u32_e32 0x7f800000, v4
	s_cbranch_execz .LBB6_8282
; %bb.8275:                             ;   in Loop: Header=BB6_7994 Depth=3
	v_mov_b32_e32 v72, 0
	s_mov_b32 s73, exec_lo
	v_cmpx_ne_u32_e32 0, v1
	s_cbranch_execz .LBB6_8281
; %bb.8276:                             ;   in Loop: Header=BB6_7994 Depth=3
	v_bfe_u32 v4, v1, 23, 8
	v_and_b32_e32 v5, 0x7fffff, v1
	v_sub_nc_u32_e32 v6, 0x70, v4
	v_cmp_gt_u32_e32 vcc_lo, 0x71, v4
	v_or_b32_e32 v7, 0x800000, v5
	v_cndmask_b32_e32 v6, 0, v6, vcc_lo
	v_cmp_eq_u32_e32 vcc_lo, 0, v4
	v_add_nc_u32_e32 v4, 0xffffff91, v4
	v_cndmask_b32_e64 v6, v6, 0x6f, vcc_lo
	v_cndmask_b32_e32 v5, v7, v5, vcc_lo
	v_cndmask_b32_e64 v4, v4, 0xffffff92, vcc_lo
	v_lshl_add_u32 v7, 0x200000, v6, -1
	v_lshrrev_b32_e32 v8, v6, v5
	v_lshlrev_b32_e64 v15, v6, 0x100000
	v_add_nc_u32_e32 v6, v6, v4
	v_and_b32_e32 v5, v7, v5
	v_bfe_u32 v14, v8, 21, 1
	v_cmp_eq_u32_e64 s16, v5, v15
	v_add_nc_u32_e32 v7, -1, v14
	v_cndmask_b32_e64 v5, 0, v7, s16
	v_lshrrev_b32_e32 v7, 23, v8
	s_mov_b32 s16, exec_lo
	v_add_nc_u32_e32 v5, v5, v8
	v_xor_b32_e32 v7, 1, v7
	v_and_b32_e32 v4, 0x1fffff, v5
	v_add_nc_u32_e32 v5, v4, v8
                                        ; implicit-def: $vgpr4
	v_cmpx_ne_u32_e64 v6, v7
	s_xor_b32 s16, exec_lo, s16
; %bb.8277:                             ;   in Loop: Header=BB6_7994 Depth=3
	v_cmp_lt_u32_e32 vcc_lo, 0xffffff, v5
	v_sub_nc_u32_e32 v4, v6, v7
	v_cndmask_b32_e64 v6, 0, 1, vcc_lo
	v_add_co_ci_u32_e64 v4, null, 0, v4, vcc_lo
	v_lshrrev_b32_e32 v5, v6, v5
; %bb.8278:                             ;   in Loop: Header=BB6_7994 Depth=3
	s_andn2_saveexec_b32 s16, s16
; %bb.8279:                             ;   in Loop: Header=BB6_7994 Depth=3
	v_bfe_u32 v4, v5, 23, 1
; %bb.8280:                             ;   in Loop: Header=BB6_7994 Depth=3
	s_or_b32 exec_lo, exec_lo, s16
	v_lshrrev_b32_e32 v5, 21, v5
	v_min_i32_e32 v6, 31, v4
	v_cmp_gt_i32_e32 vcc_lo, 32, v4
	v_and_b32_sdwa v1, v1, v117 dst_sel:DWORD dst_unused:UNUSED_PAD src0_sel:BYTE_3 src1_sel:DWORD
	v_lshlrev_b32_e32 v6, 2, v6
	v_cndmask_b32_e32 v5, 3, v5, vcc_lo
	v_and_b32_e32 v6, 0xfc, v6
	v_and_b32_e32 v7, 3, v5
	v_or_b32_e32 v4, v4, v5
	v_or3_b32 v1, v1, v6, v7
	v_cmp_ne_u32_e32 vcc_lo, 0, v4
	v_lshlrev_b32_e32 v1, 8, v1
	v_cndmask_b32_e32 v72, 0, v1, vcc_lo
.LBB6_8281:                             ;   in Loop: Header=BB6_7994 Depth=3
	s_or_b32 exec_lo, exec_lo, s73
.LBB6_8282:                             ;   in Loop: Header=BB6_7994 Depth=3
	s_or_b32 exec_lo, exec_lo, s72
	v_cmp_gt_i16_sdwa s72, v9, v116 src0_sel:BYTE_0 src1_sel:DWORD
	s_mov_b32 s16, 0
	s_and_saveexec_b32 s73, s72
	s_xor_b32 s72, exec_lo, s73
	s_cbranch_execz .LBB6_10216
; %bb.8283:                             ;   in Loop: Header=BB6_7994 Depth=3
	v_cmp_eq_u16_sdwa s74, v9, v117 src0_sel:BYTE_0 src1_sel:DWORD
	s_mov_b32 s16, -1
	s_and_saveexec_b32 s73, s74
; %bb.8284:                             ;   in Loop: Header=BB6_7994 Depth=3
	s_xor_b32 s16, exec_lo, -1
; %bb.8285:                             ;   in Loop: Header=BB6_7994 Depth=3
	s_or_b32 exec_lo, exec_lo, s73
	s_and_b32 s16, s16, exec_lo
	s_or_saveexec_b32 s72, s72
	v_mov_b32_e32 v1, 0x7f800001
	s_xor_b32 exec_lo, exec_lo, s72
	s_cbranch_execnz .LBB6_10217
.LBB6_8286:                             ;   in Loop: Header=BB6_7994 Depth=3
	s_or_b32 exec_lo, exec_lo, s72
	s_and_saveexec_b32 s72, s16
	s_cbranch_execz .LBB6_8288
.LBB6_8287:                             ;   in Loop: Header=BB6_7994 Depth=3
	v_and_b32_e32 v1, 3, v9
	v_bfe_u32 v6, v9, 2, 5
	v_lshlrev_b32_e32 v7, 24, v9
	v_ffbh_u32_e32 v4, v1
	v_cmp_eq_u32_e32 vcc_lo, 0, v6
	v_min_u32_e32 v4, 32, v4
	v_subrev_nc_u32_e32 v5, 29, v4
	v_sub_nc_u32_e32 v4, 30, v4
	v_lshlrev_b32_e32 v5, v5, v9
	v_cndmask_b32_e32 v4, v6, v4, vcc_lo
	v_and_b32_e32 v5, 3, v5
	v_lshl_add_u32 v4, v4, 23, 0x37800000
	v_cndmask_b32_e32 v1, v1, v5, vcc_lo
	v_and_b32_e32 v5, 0x80000000, v7
	v_lshlrev_b32_e32 v1, 21, v1
	v_or3_b32 v1, v5, v4, v1
.LBB6_8288:                             ;   in Loop: Header=BB6_7994 Depth=3
	s_or_b32 exec_lo, exec_lo, s72
	v_mul_f32_e32 v1, s23, v1
	v_mov_b32_e32 v55, 0x80
	s_mov_b32 s72, exec_lo
	v_and_b32_e32 v4, 0x7f800000, v1
	v_cmpx_ne_u32_e32 0x7f800000, v4
	s_cbranch_execz .LBB6_8296
; %bb.8289:                             ;   in Loop: Header=BB6_7994 Depth=3
	v_mov_b32_e32 v55, 0
	s_mov_b32 s73, exec_lo
	v_cmpx_ne_u32_e32 0, v1
	s_cbranch_execz .LBB6_8295
; %bb.8290:                             ;   in Loop: Header=BB6_7994 Depth=3
	v_bfe_u32 v4, v1, 23, 8
	v_and_b32_e32 v5, 0x7fffff, v1
	v_sub_nc_u32_e32 v6, 0x70, v4
	v_cmp_gt_u32_e32 vcc_lo, 0x71, v4
	v_or_b32_e32 v7, 0x800000, v5
	v_cndmask_b32_e32 v6, 0, v6, vcc_lo
	v_cmp_eq_u32_e32 vcc_lo, 0, v4
	v_add_nc_u32_e32 v4, 0xffffff91, v4
	v_cndmask_b32_e64 v6, v6, 0x6f, vcc_lo
	v_cndmask_b32_e32 v5, v7, v5, vcc_lo
	v_cndmask_b32_e64 v4, v4, 0xffffff92, vcc_lo
	v_lshl_add_u32 v7, 0x200000, v6, -1
	v_lshrrev_b32_e32 v8, v6, v5
	v_lshlrev_b32_e64 v15, v6, 0x100000
	v_add_nc_u32_e32 v6, v6, v4
	v_and_b32_e32 v5, v7, v5
	v_bfe_u32 v14, v8, 21, 1
	v_cmp_eq_u32_e64 s16, v5, v15
	v_add_nc_u32_e32 v7, -1, v14
	v_cndmask_b32_e64 v5, 0, v7, s16
	v_lshrrev_b32_e32 v7, 23, v8
	s_mov_b32 s16, exec_lo
	v_add_nc_u32_e32 v5, v5, v8
	v_xor_b32_e32 v7, 1, v7
	v_and_b32_e32 v4, 0x1fffff, v5
	v_add_nc_u32_e32 v5, v4, v8
                                        ; implicit-def: $vgpr4
	v_cmpx_ne_u32_e64 v6, v7
	s_xor_b32 s16, exec_lo, s16
; %bb.8291:                             ;   in Loop: Header=BB6_7994 Depth=3
	v_cmp_lt_u32_e32 vcc_lo, 0xffffff, v5
	v_sub_nc_u32_e32 v4, v6, v7
	v_cndmask_b32_e64 v6, 0, 1, vcc_lo
	v_add_co_ci_u32_e64 v4, null, 0, v4, vcc_lo
	v_lshrrev_b32_e32 v5, v6, v5
; %bb.8292:                             ;   in Loop: Header=BB6_7994 Depth=3
	s_andn2_saveexec_b32 s16, s16
; %bb.8293:                             ;   in Loop: Header=BB6_7994 Depth=3
	v_bfe_u32 v4, v5, 23, 1
; %bb.8294:                             ;   in Loop: Header=BB6_7994 Depth=3
	s_or_b32 exec_lo, exec_lo, s16
	v_lshrrev_b32_e32 v5, 21, v5
	v_min_i32_e32 v6, 31, v4
	v_cmp_gt_i32_e32 vcc_lo, 32, v4
	v_and_b32_sdwa v1, v1, v117 dst_sel:DWORD dst_unused:UNUSED_PAD src0_sel:BYTE_3 src1_sel:DWORD
	v_lshlrev_b32_e32 v6, 2, v6
	v_cndmask_b32_e32 v5, 3, v5, vcc_lo
	v_and_b32_e32 v6, 0xfc, v6
	v_and_b32_e32 v7, 3, v5
	v_or_b32_e32 v4, v4, v5
	v_or3_b32 v1, v6, v1, v7
	v_cmp_ne_u32_e32 vcc_lo, 0, v4
	v_cndmask_b32_e32 v55, 0, v1, vcc_lo
.LBB6_8295:                             ;   in Loop: Header=BB6_7994 Depth=3
	s_or_b32 exec_lo, exec_lo, s73
.LBB6_8296:                             ;   in Loop: Header=BB6_7994 Depth=3
	s_or_b32 exec_lo, exec_lo, s72
	v_cmp_gt_i16_sdwa s72, v9, v116 src0_sel:BYTE_1 src1_sel:DWORD
	s_mov_b32 s16, 0
	s_and_saveexec_b32 s73, s72
	s_xor_b32 s72, exec_lo, s73
	s_cbranch_execz .LBB6_10218
; %bb.8297:                             ;   in Loop: Header=BB6_7994 Depth=3
	v_cmp_eq_u16_sdwa s74, v9, v117 src0_sel:BYTE_1 src1_sel:DWORD
	s_mov_b32 s16, -1
	s_and_saveexec_b32 s73, s74
; %bb.8298:                             ;   in Loop: Header=BB6_7994 Depth=3
	s_xor_b32 s16, exec_lo, -1
; %bb.8299:                             ;   in Loop: Header=BB6_7994 Depth=3
	s_or_b32 exec_lo, exec_lo, s73
	s_and_b32 s16, s16, exec_lo
	s_or_saveexec_b32 s72, s72
	v_mov_b32_e32 v1, 0x7f800001
	s_xor_b32 exec_lo, exec_lo, s72
	s_cbranch_execnz .LBB6_10219
.LBB6_8300:                             ;   in Loop: Header=BB6_7994 Depth=3
	s_or_b32 exec_lo, exec_lo, s72
	s_and_saveexec_b32 s72, s16
	s_cbranch_execz .LBB6_8302
.LBB6_8301:                             ;   in Loop: Header=BB6_7994 Depth=3
	v_and_b32_sdwa v1, v118, v9 dst_sel:DWORD dst_unused:UNUSED_PAD src0_sel:DWORD src1_sel:BYTE_1
	v_and_b32_e32 v4, 3, v1
	v_bfe_u32 v7, v1, 2, 5
	v_ffbh_u32_e32 v5, v4
	v_cmp_eq_u32_e32 vcc_lo, 0, v7
	v_min_u32_e32 v5, 32, v5
	v_subrev_nc_u32_e32 v6, 29, v5
	v_sub_nc_u32_e32 v5, 30, v5
	v_lshlrev_b32_e32 v1, v6, v1
	v_lshlrev_b32_sdwa v6, v119, v9 dst_sel:DWORD dst_unused:UNUSED_PAD src0_sel:DWORD src1_sel:BYTE_1
	v_cndmask_b32_e32 v5, v7, v5, vcc_lo
	v_and_b32_e32 v1, 3, v1
	v_lshl_add_u32 v5, v5, 23, 0x37800000
	v_cndmask_b32_e32 v1, v4, v1, vcc_lo
	v_and_b32_e32 v4, 0x80000000, v6
	v_lshlrev_b32_e32 v1, 21, v1
	v_or3_b32 v1, v4, v5, v1
.LBB6_8302:                             ;   in Loop: Header=BB6_7994 Depth=3
	s_or_b32 exec_lo, exec_lo, s72
	v_mul_f32_e32 v1, s23, v1
	v_mov_b32_e32 v75, 0x8000
	s_mov_b32 s72, exec_lo
	v_and_b32_e32 v4, 0x7f800000, v1
	v_cmpx_ne_u32_e32 0x7f800000, v4
	s_cbranch_execz .LBB6_8310
; %bb.8303:                             ;   in Loop: Header=BB6_7994 Depth=3
	v_mov_b32_e32 v75, 0
	s_mov_b32 s73, exec_lo
	v_cmpx_ne_u32_e32 0, v1
	s_cbranch_execz .LBB6_8309
; %bb.8304:                             ;   in Loop: Header=BB6_7994 Depth=3
	v_bfe_u32 v4, v1, 23, 8
	v_and_b32_e32 v5, 0x7fffff, v1
	v_sub_nc_u32_e32 v6, 0x70, v4
	v_cmp_gt_u32_e32 vcc_lo, 0x71, v4
	v_or_b32_e32 v7, 0x800000, v5
	v_cndmask_b32_e32 v6, 0, v6, vcc_lo
	v_cmp_eq_u32_e32 vcc_lo, 0, v4
	v_add_nc_u32_e32 v4, 0xffffff91, v4
	v_cndmask_b32_e64 v6, v6, 0x6f, vcc_lo
	v_cndmask_b32_e32 v5, v7, v5, vcc_lo
	v_cndmask_b32_e64 v4, v4, 0xffffff92, vcc_lo
	v_lshl_add_u32 v7, 0x200000, v6, -1
	v_lshrrev_b32_e32 v8, v6, v5
	v_lshlrev_b32_e64 v15, v6, 0x100000
	v_add_nc_u32_e32 v6, v6, v4
	v_and_b32_e32 v5, v7, v5
	v_bfe_u32 v14, v8, 21, 1
	v_cmp_eq_u32_e64 s16, v5, v15
	v_add_nc_u32_e32 v7, -1, v14
	v_cndmask_b32_e64 v5, 0, v7, s16
	v_lshrrev_b32_e32 v7, 23, v8
	s_mov_b32 s16, exec_lo
	v_add_nc_u32_e32 v5, v5, v8
	v_xor_b32_e32 v7, 1, v7
	v_and_b32_e32 v4, 0x1fffff, v5
	v_add_nc_u32_e32 v5, v4, v8
                                        ; implicit-def: $vgpr4
	v_cmpx_ne_u32_e64 v6, v7
	s_xor_b32 s16, exec_lo, s16
; %bb.8305:                             ;   in Loop: Header=BB6_7994 Depth=3
	v_cmp_lt_u32_e32 vcc_lo, 0xffffff, v5
	v_sub_nc_u32_e32 v4, v6, v7
	v_cndmask_b32_e64 v6, 0, 1, vcc_lo
	v_add_co_ci_u32_e64 v4, null, 0, v4, vcc_lo
	v_lshrrev_b32_e32 v5, v6, v5
; %bb.8306:                             ;   in Loop: Header=BB6_7994 Depth=3
	s_andn2_saveexec_b32 s16, s16
; %bb.8307:                             ;   in Loop: Header=BB6_7994 Depth=3
	v_bfe_u32 v4, v5, 23, 1
; %bb.8308:                             ;   in Loop: Header=BB6_7994 Depth=3
	s_or_b32 exec_lo, exec_lo, s16
	v_lshrrev_b32_e32 v5, 21, v5
	v_min_i32_e32 v6, 31, v4
	v_cmp_gt_i32_e32 vcc_lo, 32, v4
	v_and_b32_sdwa v1, v1, v117 dst_sel:DWORD dst_unused:UNUSED_PAD src0_sel:BYTE_3 src1_sel:DWORD
	v_lshlrev_b32_e32 v6, 2, v6
	v_cndmask_b32_e32 v5, 3, v5, vcc_lo
	v_and_b32_e32 v6, 0xfc, v6
	v_and_b32_e32 v7, 3, v5
	v_or_b32_e32 v4, v4, v5
	v_or3_b32 v1, v1, v6, v7
	v_cmp_ne_u32_e32 vcc_lo, 0, v4
	v_lshlrev_b32_e32 v1, 8, v1
	v_cndmask_b32_e32 v75, 0, v1, vcc_lo
.LBB6_8309:                             ;   in Loop: Header=BB6_7994 Depth=3
	s_or_b32 exec_lo, exec_lo, s73
.LBB6_8310:                             ;   in Loop: Header=BB6_7994 Depth=3
	s_or_b32 exec_lo, exec_lo, s72
	v_and_b32_sdwa v4, v9, v40 dst_sel:DWORD dst_unused:UNUSED_PAD src0_sel:WORD_1 src1_sel:DWORD
	s_mov_b32 s16, 0
	s_mov_b32 s72, exec_lo
	v_cmpx_lt_i16_e32 0x7f, v4
	s_xor_b32 s72, exec_lo, s72
	s_cbranch_execz .LBB6_10220
; %bb.8311:                             ;   in Loop: Header=BB6_7994 Depth=3
	s_mov_b32 s16, -1
	s_mov_b32 s73, exec_lo
	v_cmpx_eq_u16_e32 0x80, v4
; %bb.8312:                             ;   in Loop: Header=BB6_7994 Depth=3
	s_xor_b32 s16, exec_lo, -1
; %bb.8313:                             ;   in Loop: Header=BB6_7994 Depth=3
	s_or_b32 exec_lo, exec_lo, s73
	s_and_b32 s16, s16, exec_lo
                                        ; implicit-def: $vgpr4
	s_or_saveexec_b32 s72, s72
	v_mov_b32_e32 v1, 0x7f800001
	s_xor_b32 exec_lo, exec_lo, s72
	s_cbranch_execnz .LBB6_10221
.LBB6_8314:                             ;   in Loop: Header=BB6_7994 Depth=3
	s_or_b32 exec_lo, exec_lo, s72
	s_and_saveexec_b32 s72, s16
	s_cbranch_execz .LBB6_8316
.LBB6_8315:                             ;   in Loop: Header=BB6_7994 Depth=3
	v_bfe_u32 v1, v9, 16, 2
	v_bfe_u32 v6, v9, 18, 5
	v_lshlrev_b32_e32 v7, 8, v9
	v_ffbh_u32_e32 v4, v1
	v_cmp_eq_u32_e32 vcc_lo, 0, v6
	v_min_u32_e32 v4, 32, v4
	v_subrev_nc_u32_e32 v5, 29, v4
	v_sub_nc_u32_e32 v4, 30, v4
	v_lshlrev_b32_sdwa v5, v5, v9 dst_sel:DWORD dst_unused:UNUSED_PAD src0_sel:DWORD src1_sel:WORD_1
	v_cndmask_b32_e32 v4, v6, v4, vcc_lo
	v_and_b32_e32 v5, 3, v5
	v_lshl_add_u32 v4, v4, 23, 0x37800000
	v_cndmask_b32_e32 v1, v1, v5, vcc_lo
	v_and_b32_e32 v5, 0x80000000, v7
	v_lshlrev_b32_e32 v1, 21, v1
	v_or3_b32 v1, v5, v4, v1
.LBB6_8316:                             ;   in Loop: Header=BB6_7994 Depth=3
	s_or_b32 exec_lo, exec_lo, s72
	v_mul_f32_e32 v1, s23, v1
	v_mov_b32_e32 v41, 0x80
	s_mov_b32 s72, exec_lo
	v_and_b32_e32 v4, 0x7f800000, v1
	v_cmpx_ne_u32_e32 0x7f800000, v4
	s_cbranch_execz .LBB6_8324
; %bb.8317:                             ;   in Loop: Header=BB6_7994 Depth=3
	v_mov_b32_e32 v41, 0
	s_mov_b32 s73, exec_lo
	v_cmpx_ne_u32_e32 0, v1
	s_cbranch_execz .LBB6_8323
; %bb.8318:                             ;   in Loop: Header=BB6_7994 Depth=3
	v_bfe_u32 v4, v1, 23, 8
	v_and_b32_e32 v5, 0x7fffff, v1
	v_sub_nc_u32_e32 v6, 0x70, v4
	v_cmp_gt_u32_e32 vcc_lo, 0x71, v4
	v_or_b32_e32 v7, 0x800000, v5
	v_cndmask_b32_e32 v6, 0, v6, vcc_lo
	v_cmp_eq_u32_e32 vcc_lo, 0, v4
	v_add_nc_u32_e32 v4, 0xffffff91, v4
	v_cndmask_b32_e64 v6, v6, 0x6f, vcc_lo
	v_cndmask_b32_e32 v5, v7, v5, vcc_lo
	v_cndmask_b32_e64 v4, v4, 0xffffff92, vcc_lo
	v_lshl_add_u32 v7, 0x200000, v6, -1
	v_lshrrev_b32_e32 v8, v6, v5
	v_lshlrev_b32_e64 v15, v6, 0x100000
	v_add_nc_u32_e32 v6, v6, v4
	v_and_b32_e32 v5, v7, v5
	v_bfe_u32 v14, v8, 21, 1
	v_cmp_eq_u32_e64 s16, v5, v15
	v_add_nc_u32_e32 v7, -1, v14
	v_cndmask_b32_e64 v5, 0, v7, s16
	v_lshrrev_b32_e32 v7, 23, v8
	s_mov_b32 s16, exec_lo
	v_add_nc_u32_e32 v5, v5, v8
	v_xor_b32_e32 v7, 1, v7
	v_and_b32_e32 v4, 0x1fffff, v5
	v_add_nc_u32_e32 v5, v4, v8
                                        ; implicit-def: $vgpr4
	v_cmpx_ne_u32_e64 v6, v7
	s_xor_b32 s16, exec_lo, s16
; %bb.8319:                             ;   in Loop: Header=BB6_7994 Depth=3
	v_cmp_lt_u32_e32 vcc_lo, 0xffffff, v5
	v_sub_nc_u32_e32 v4, v6, v7
	v_cndmask_b32_e64 v6, 0, 1, vcc_lo
	v_add_co_ci_u32_e64 v4, null, 0, v4, vcc_lo
	v_lshrrev_b32_e32 v5, v6, v5
; %bb.8320:                             ;   in Loop: Header=BB6_7994 Depth=3
	s_andn2_saveexec_b32 s16, s16
; %bb.8321:                             ;   in Loop: Header=BB6_7994 Depth=3
	v_bfe_u32 v4, v5, 23, 1
; %bb.8322:                             ;   in Loop: Header=BB6_7994 Depth=3
	s_or_b32 exec_lo, exec_lo, s16
	v_lshrrev_b32_e32 v5, 21, v5
	v_min_i32_e32 v6, 31, v4
	v_cmp_gt_i32_e32 vcc_lo, 32, v4
	v_and_b32_sdwa v1, v1, v117 dst_sel:DWORD dst_unused:UNUSED_PAD src0_sel:BYTE_3 src1_sel:DWORD
	v_lshlrev_b32_e32 v6, 2, v6
	v_cndmask_b32_e32 v5, 3, v5, vcc_lo
	v_and_b32_e32 v6, 0xfc, v6
	v_and_b32_e32 v7, 3, v5
	v_or_b32_e32 v4, v4, v5
	v_or3_b32 v1, v6, v1, v7
	v_cmp_ne_u32_e32 vcc_lo, 0, v4
	v_cndmask_b32_e32 v41, 0, v1, vcc_lo
.LBB6_8323:                             ;   in Loop: Header=BB6_7994 Depth=3
	s_or_b32 exec_lo, exec_lo, s73
.LBB6_8324:                             ;   in Loop: Header=BB6_7994 Depth=3
	s_or_b32 exec_lo, exec_lo, s72
	v_cmp_gt_i16_sdwa s72, v9, v116 src0_sel:BYTE_3 src1_sel:DWORD
	s_mov_b32 s16, 0
	s_and_saveexec_b32 s73, s72
	s_xor_b32 s72, exec_lo, s73
	s_cbranch_execz .LBB6_10222
; %bb.8325:                             ;   in Loop: Header=BB6_7994 Depth=3
	v_cmp_eq_u16_sdwa s74, v9, v117 src0_sel:BYTE_3 src1_sel:DWORD
	s_mov_b32 s16, -1
	s_and_saveexec_b32 s73, s74
; %bb.8326:                             ;   in Loop: Header=BB6_7994 Depth=3
	s_xor_b32 s16, exec_lo, -1
; %bb.8327:                             ;   in Loop: Header=BB6_7994 Depth=3
	s_or_b32 exec_lo, exec_lo, s73
	s_and_b32 s16, s16, exec_lo
	s_or_saveexec_b32 s72, s72
	v_mov_b32_e32 v1, 0x7f800001
	s_xor_b32 exec_lo, exec_lo, s72
	s_cbranch_execnz .LBB6_10223
.LBB6_8328:                             ;   in Loop: Header=BB6_7994 Depth=3
	s_or_b32 exec_lo, exec_lo, s72
	s_and_saveexec_b32 s72, s16
	s_cbranch_execz .LBB6_8330
.LBB6_8329:                             ;   in Loop: Header=BB6_7994 Depth=3
	v_bfe_u32 v1, v9, 24, 2
	v_bfe_u32 v6, v9, 26, 5
	v_ffbh_u32_e32 v4, v1
	v_cmp_eq_u32_e32 vcc_lo, 0, v6
	v_min_u32_e32 v4, 32, v4
	v_subrev_nc_u32_e32 v5, 29, v4
	v_sub_nc_u32_e32 v4, 30, v4
	v_lshlrev_b32_sdwa v5, v5, v9 dst_sel:DWORD dst_unused:UNUSED_PAD src0_sel:DWORD src1_sel:BYTE_3
	v_cndmask_b32_e32 v4, v6, v4, vcc_lo
	v_and_b32_e32 v5, 3, v5
	v_lshl_add_u32 v4, v4, 23, 0x37800000
	v_cndmask_b32_e32 v1, v1, v5, vcc_lo
	v_and_b32_e32 v5, 0x80000000, v9
	v_lshlrev_b32_e32 v1, 21, v1
	v_or3_b32 v1, v5, v4, v1
.LBB6_8330:                             ;   in Loop: Header=BB6_7994 Depth=3
	s_or_b32 exec_lo, exec_lo, s72
	v_mul_f32_e32 v1, s23, v1
	v_mov_b32_e32 v74, 0x8000
	s_mov_b32 s72, exec_lo
	v_and_b32_e32 v4, 0x7f800000, v1
	v_cmpx_ne_u32_e32 0x7f800000, v4
	s_cbranch_execz .LBB6_8338
; %bb.8331:                             ;   in Loop: Header=BB6_7994 Depth=3
	v_mov_b32_e32 v74, 0
	s_mov_b32 s73, exec_lo
	v_cmpx_ne_u32_e32 0, v1
	s_cbranch_execz .LBB6_8337
; %bb.8332:                             ;   in Loop: Header=BB6_7994 Depth=3
	v_bfe_u32 v4, v1, 23, 8
	v_and_b32_e32 v5, 0x7fffff, v1
	v_sub_nc_u32_e32 v6, 0x70, v4
	v_cmp_gt_u32_e32 vcc_lo, 0x71, v4
	v_or_b32_e32 v7, 0x800000, v5
	v_cndmask_b32_e32 v6, 0, v6, vcc_lo
	v_cmp_eq_u32_e32 vcc_lo, 0, v4
	v_add_nc_u32_e32 v4, 0xffffff91, v4
	v_cndmask_b32_e64 v6, v6, 0x6f, vcc_lo
	v_cndmask_b32_e32 v5, v7, v5, vcc_lo
	v_cndmask_b32_e64 v4, v4, 0xffffff92, vcc_lo
	v_lshl_add_u32 v7, 0x200000, v6, -1
	v_lshrrev_b32_e32 v8, v6, v5
	v_lshlrev_b32_e64 v14, v6, 0x100000
	v_add_nc_u32_e32 v6, v6, v4
	v_and_b32_e32 v5, v7, v5
	v_bfe_u32 v9, v8, 21, 1
	v_cmp_eq_u32_e64 s16, v5, v14
	v_add_nc_u32_e32 v7, -1, v9
	v_cndmask_b32_e64 v5, 0, v7, s16
	v_lshrrev_b32_e32 v7, 23, v8
	s_mov_b32 s16, exec_lo
	v_add_nc_u32_e32 v5, v5, v8
	v_xor_b32_e32 v7, 1, v7
	v_and_b32_e32 v4, 0x1fffff, v5
	v_add_nc_u32_e32 v5, v4, v8
                                        ; implicit-def: $vgpr4
	v_cmpx_ne_u32_e64 v6, v7
	s_xor_b32 s16, exec_lo, s16
; %bb.8333:                             ;   in Loop: Header=BB6_7994 Depth=3
	v_cmp_lt_u32_e32 vcc_lo, 0xffffff, v5
	v_sub_nc_u32_e32 v4, v6, v7
	v_cndmask_b32_e64 v6, 0, 1, vcc_lo
	v_add_co_ci_u32_e64 v4, null, 0, v4, vcc_lo
	v_lshrrev_b32_e32 v5, v6, v5
; %bb.8334:                             ;   in Loop: Header=BB6_7994 Depth=3
	s_andn2_saveexec_b32 s16, s16
; %bb.8335:                             ;   in Loop: Header=BB6_7994 Depth=3
	v_bfe_u32 v4, v5, 23, 1
; %bb.8336:                             ;   in Loop: Header=BB6_7994 Depth=3
	s_or_b32 exec_lo, exec_lo, s16
	v_lshrrev_b32_e32 v5, 21, v5
	v_min_i32_e32 v6, 31, v4
	v_cmp_gt_i32_e32 vcc_lo, 32, v4
	v_and_b32_sdwa v1, v1, v117 dst_sel:DWORD dst_unused:UNUSED_PAD src0_sel:BYTE_3 src1_sel:DWORD
	v_lshlrev_b32_e32 v6, 2, v6
	v_cndmask_b32_e32 v5, 3, v5, vcc_lo
	v_and_b32_e32 v6, 0xfc, v6
	v_and_b32_e32 v7, 3, v5
	v_or_b32_e32 v4, v4, v5
	v_or3_b32 v1, v1, v6, v7
	v_cmp_ne_u32_e32 vcc_lo, 0, v4
	v_lshlrev_b32_e32 v1, 8, v1
	v_cndmask_b32_e32 v74, 0, v1, vcc_lo
.LBB6_8337:                             ;   in Loop: Header=BB6_7994 Depth=3
	s_or_b32 exec_lo, exec_lo, s73
.LBB6_8338:                             ;   in Loop: Header=BB6_7994 Depth=3
	s_or_b32 exec_lo, exec_lo, s72
	v_cmp_gt_i16_sdwa s72, v10, v116 src0_sel:BYTE_0 src1_sel:DWORD
	s_mov_b32 s16, 0
	s_and_saveexec_b32 s73, s72
	s_xor_b32 s72, exec_lo, s73
	s_cbranch_execz .LBB6_10224
; %bb.8339:                             ;   in Loop: Header=BB6_7994 Depth=3
	v_cmp_eq_u16_sdwa s74, v10, v117 src0_sel:BYTE_0 src1_sel:DWORD
	s_mov_b32 s16, -1
	s_and_saveexec_b32 s73, s74
; %bb.8340:                             ;   in Loop: Header=BB6_7994 Depth=3
	s_xor_b32 s16, exec_lo, -1
; %bb.8341:                             ;   in Loop: Header=BB6_7994 Depth=3
	s_or_b32 exec_lo, exec_lo, s73
	s_and_b32 s16, s16, exec_lo
	s_or_saveexec_b32 s72, s72
	v_mov_b32_e32 v1, 0x7f800001
	s_xor_b32 exec_lo, exec_lo, s72
	s_cbranch_execnz .LBB6_10225
.LBB6_8342:                             ;   in Loop: Header=BB6_7994 Depth=3
	s_or_b32 exec_lo, exec_lo, s72
	s_and_saveexec_b32 s72, s16
	s_cbranch_execz .LBB6_8344
.LBB6_8343:                             ;   in Loop: Header=BB6_7994 Depth=3
	v_and_b32_e32 v1, 3, v10
	v_bfe_u32 v6, v10, 2, 5
	v_lshlrev_b32_e32 v7, 24, v10
	v_ffbh_u32_e32 v4, v1
	v_cmp_eq_u32_e32 vcc_lo, 0, v6
	v_min_u32_e32 v4, 32, v4
	v_subrev_nc_u32_e32 v5, 29, v4
	v_sub_nc_u32_e32 v4, 30, v4
	v_lshlrev_b32_e32 v5, v5, v10
	v_cndmask_b32_e32 v4, v6, v4, vcc_lo
	v_and_b32_e32 v5, 3, v5
	v_lshl_add_u32 v4, v4, 23, 0x37800000
	v_cndmask_b32_e32 v1, v1, v5, vcc_lo
	v_and_b32_e32 v5, 0x80000000, v7
	v_lshlrev_b32_e32 v1, 21, v1
	v_or3_b32 v1, v5, v4, v1
.LBB6_8344:                             ;   in Loop: Header=BB6_7994 Depth=3
	s_or_b32 exec_lo, exec_lo, s72
	v_mul_f32_e32 v1, s23, v1
	v_mov_b32_e32 v57, 0x80
	s_mov_b32 s72, exec_lo
	v_and_b32_e32 v4, 0x7f800000, v1
	v_cmpx_ne_u32_e32 0x7f800000, v4
	s_cbranch_execz .LBB6_8352
; %bb.8345:                             ;   in Loop: Header=BB6_7994 Depth=3
	v_mov_b32_e32 v57, 0
	s_mov_b32 s73, exec_lo
	v_cmpx_ne_u32_e32 0, v1
	s_cbranch_execz .LBB6_8351
; %bb.8346:                             ;   in Loop: Header=BB6_7994 Depth=3
	v_bfe_u32 v4, v1, 23, 8
	v_and_b32_e32 v5, 0x7fffff, v1
	v_sub_nc_u32_e32 v6, 0x70, v4
	v_cmp_gt_u32_e32 vcc_lo, 0x71, v4
	v_or_b32_e32 v7, 0x800000, v5
	v_cndmask_b32_e32 v6, 0, v6, vcc_lo
	v_cmp_eq_u32_e32 vcc_lo, 0, v4
	v_add_nc_u32_e32 v4, 0xffffff91, v4
	v_cndmask_b32_e64 v6, v6, 0x6f, vcc_lo
	v_cndmask_b32_e32 v5, v7, v5, vcc_lo
	v_cndmask_b32_e64 v4, v4, 0xffffff92, vcc_lo
	v_lshl_add_u32 v7, 0x200000, v6, -1
	v_lshrrev_b32_e32 v8, v6, v5
	v_lshlrev_b32_e64 v14, v6, 0x100000
	v_add_nc_u32_e32 v6, v6, v4
	v_and_b32_e32 v5, v7, v5
	v_bfe_u32 v9, v8, 21, 1
	v_cmp_eq_u32_e64 s16, v5, v14
	v_add_nc_u32_e32 v7, -1, v9
	v_cndmask_b32_e64 v5, 0, v7, s16
	v_lshrrev_b32_e32 v7, 23, v8
	s_mov_b32 s16, exec_lo
	v_add_nc_u32_e32 v5, v5, v8
	v_xor_b32_e32 v7, 1, v7
	v_and_b32_e32 v4, 0x1fffff, v5
	v_add_nc_u32_e32 v5, v4, v8
                                        ; implicit-def: $vgpr4
	v_cmpx_ne_u32_e64 v6, v7
	s_xor_b32 s16, exec_lo, s16
; %bb.8347:                             ;   in Loop: Header=BB6_7994 Depth=3
	v_cmp_lt_u32_e32 vcc_lo, 0xffffff, v5
	v_sub_nc_u32_e32 v4, v6, v7
	v_cndmask_b32_e64 v6, 0, 1, vcc_lo
	v_add_co_ci_u32_e64 v4, null, 0, v4, vcc_lo
	v_lshrrev_b32_e32 v5, v6, v5
; %bb.8348:                             ;   in Loop: Header=BB6_7994 Depth=3
	s_andn2_saveexec_b32 s16, s16
; %bb.8349:                             ;   in Loop: Header=BB6_7994 Depth=3
	v_bfe_u32 v4, v5, 23, 1
; %bb.8350:                             ;   in Loop: Header=BB6_7994 Depth=3
	s_or_b32 exec_lo, exec_lo, s16
	v_lshrrev_b32_e32 v5, 21, v5
	v_min_i32_e32 v6, 31, v4
	v_cmp_gt_i32_e32 vcc_lo, 32, v4
	v_and_b32_sdwa v1, v1, v117 dst_sel:DWORD dst_unused:UNUSED_PAD src0_sel:BYTE_3 src1_sel:DWORD
	v_lshlrev_b32_e32 v6, 2, v6
	v_cndmask_b32_e32 v5, 3, v5, vcc_lo
	v_and_b32_e32 v6, 0xfc, v6
	v_and_b32_e32 v7, 3, v5
	v_or_b32_e32 v4, v4, v5
	v_or3_b32 v1, v6, v1, v7
	v_cmp_ne_u32_e32 vcc_lo, 0, v4
	v_cndmask_b32_e32 v57, 0, v1, vcc_lo
.LBB6_8351:                             ;   in Loop: Header=BB6_7994 Depth=3
	s_or_b32 exec_lo, exec_lo, s73
.LBB6_8352:                             ;   in Loop: Header=BB6_7994 Depth=3
	s_or_b32 exec_lo, exec_lo, s72
	v_cmp_gt_i16_sdwa s72, v10, v116 src0_sel:BYTE_1 src1_sel:DWORD
	s_mov_b32 s16, 0
	s_and_saveexec_b32 s73, s72
	s_xor_b32 s72, exec_lo, s73
	s_cbranch_execz .LBB6_10226
; %bb.8353:                             ;   in Loop: Header=BB6_7994 Depth=3
	v_cmp_eq_u16_sdwa s74, v10, v117 src0_sel:BYTE_1 src1_sel:DWORD
	s_mov_b32 s16, -1
	s_and_saveexec_b32 s73, s74
; %bb.8354:                             ;   in Loop: Header=BB6_7994 Depth=3
	s_xor_b32 s16, exec_lo, -1
; %bb.8355:                             ;   in Loop: Header=BB6_7994 Depth=3
	s_or_b32 exec_lo, exec_lo, s73
	s_and_b32 s16, s16, exec_lo
	s_or_saveexec_b32 s72, s72
	v_mov_b32_e32 v1, 0x7f800001
	s_xor_b32 exec_lo, exec_lo, s72
	s_cbranch_execnz .LBB6_10227
.LBB6_8356:                             ;   in Loop: Header=BB6_7994 Depth=3
	s_or_b32 exec_lo, exec_lo, s72
	s_and_saveexec_b32 s72, s16
	s_cbranch_execz .LBB6_8358
.LBB6_8357:                             ;   in Loop: Header=BB6_7994 Depth=3
	v_and_b32_sdwa v1, v118, v10 dst_sel:DWORD dst_unused:UNUSED_PAD src0_sel:DWORD src1_sel:BYTE_1
	v_and_b32_e32 v4, 3, v1
	v_bfe_u32 v7, v1, 2, 5
	v_ffbh_u32_e32 v5, v4
	v_cmp_eq_u32_e32 vcc_lo, 0, v7
	v_min_u32_e32 v5, 32, v5
	v_subrev_nc_u32_e32 v6, 29, v5
	v_sub_nc_u32_e32 v5, 30, v5
	v_lshlrev_b32_e32 v1, v6, v1
	v_lshlrev_b32_sdwa v6, v119, v10 dst_sel:DWORD dst_unused:UNUSED_PAD src0_sel:DWORD src1_sel:BYTE_1
	v_cndmask_b32_e32 v5, v7, v5, vcc_lo
	v_and_b32_e32 v1, 3, v1
	v_lshl_add_u32 v5, v5, 23, 0x37800000
	v_cndmask_b32_e32 v1, v4, v1, vcc_lo
	v_and_b32_e32 v4, 0x80000000, v6
	v_lshlrev_b32_e32 v1, 21, v1
	v_or3_b32 v1, v4, v5, v1
.LBB6_8358:                             ;   in Loop: Header=BB6_7994 Depth=3
	s_or_b32 exec_lo, exec_lo, s72
	v_mul_f32_e32 v1, s23, v1
	v_mov_b32_e32 v43, 0x8000
	s_mov_b32 s72, exec_lo
	v_and_b32_e32 v4, 0x7f800000, v1
	v_cmpx_ne_u32_e32 0x7f800000, v4
	s_cbranch_execz .LBB6_8366
; %bb.8359:                             ;   in Loop: Header=BB6_7994 Depth=3
	v_mov_b32_e32 v43, 0
	s_mov_b32 s73, exec_lo
	v_cmpx_ne_u32_e32 0, v1
	s_cbranch_execz .LBB6_8365
; %bb.8360:                             ;   in Loop: Header=BB6_7994 Depth=3
	v_bfe_u32 v4, v1, 23, 8
	v_and_b32_e32 v5, 0x7fffff, v1
	v_sub_nc_u32_e32 v6, 0x70, v4
	v_cmp_gt_u32_e32 vcc_lo, 0x71, v4
	v_or_b32_e32 v7, 0x800000, v5
	v_cndmask_b32_e32 v6, 0, v6, vcc_lo
	v_cmp_eq_u32_e32 vcc_lo, 0, v4
	v_add_nc_u32_e32 v4, 0xffffff91, v4
	v_cndmask_b32_e64 v6, v6, 0x6f, vcc_lo
	v_cndmask_b32_e32 v5, v7, v5, vcc_lo
	v_cndmask_b32_e64 v4, v4, 0xffffff92, vcc_lo
	v_lshl_add_u32 v7, 0x200000, v6, -1
	v_lshrrev_b32_e32 v8, v6, v5
	v_lshlrev_b32_e64 v14, v6, 0x100000
	v_add_nc_u32_e32 v6, v6, v4
	v_and_b32_e32 v5, v7, v5
	v_bfe_u32 v9, v8, 21, 1
	v_cmp_eq_u32_e64 s16, v5, v14
	v_add_nc_u32_e32 v7, -1, v9
	v_cndmask_b32_e64 v5, 0, v7, s16
	v_lshrrev_b32_e32 v7, 23, v8
	s_mov_b32 s16, exec_lo
	v_add_nc_u32_e32 v5, v5, v8
	v_xor_b32_e32 v7, 1, v7
	v_and_b32_e32 v4, 0x1fffff, v5
	v_add_nc_u32_e32 v5, v4, v8
                                        ; implicit-def: $vgpr4
	v_cmpx_ne_u32_e64 v6, v7
	s_xor_b32 s16, exec_lo, s16
; %bb.8361:                             ;   in Loop: Header=BB6_7994 Depth=3
	v_cmp_lt_u32_e32 vcc_lo, 0xffffff, v5
	v_sub_nc_u32_e32 v4, v6, v7
	v_cndmask_b32_e64 v6, 0, 1, vcc_lo
	v_add_co_ci_u32_e64 v4, null, 0, v4, vcc_lo
	v_lshrrev_b32_e32 v5, v6, v5
; %bb.8362:                             ;   in Loop: Header=BB6_7994 Depth=3
	s_andn2_saveexec_b32 s16, s16
; %bb.8363:                             ;   in Loop: Header=BB6_7994 Depth=3
	v_bfe_u32 v4, v5, 23, 1
; %bb.8364:                             ;   in Loop: Header=BB6_7994 Depth=3
	s_or_b32 exec_lo, exec_lo, s16
	v_lshrrev_b32_e32 v5, 21, v5
	v_min_i32_e32 v6, 31, v4
	v_cmp_gt_i32_e32 vcc_lo, 32, v4
	v_and_b32_sdwa v1, v1, v117 dst_sel:DWORD dst_unused:UNUSED_PAD src0_sel:BYTE_3 src1_sel:DWORD
	v_lshlrev_b32_e32 v6, 2, v6
	v_cndmask_b32_e32 v5, 3, v5, vcc_lo
	v_and_b32_e32 v6, 0xfc, v6
	v_and_b32_e32 v7, 3, v5
	v_or_b32_e32 v4, v4, v5
	v_or3_b32 v1, v1, v6, v7
	v_cmp_ne_u32_e32 vcc_lo, 0, v4
	v_lshlrev_b32_e32 v1, 8, v1
	v_cndmask_b32_e32 v43, 0, v1, vcc_lo
.LBB6_8365:                             ;   in Loop: Header=BB6_7994 Depth=3
	s_or_b32 exec_lo, exec_lo, s73
.LBB6_8366:                             ;   in Loop: Header=BB6_7994 Depth=3
	s_or_b32 exec_lo, exec_lo, s72
	v_and_b32_sdwa v4, v10, v40 dst_sel:DWORD dst_unused:UNUSED_PAD src0_sel:WORD_1 src1_sel:DWORD
	s_mov_b32 s16, 0
	s_mov_b32 s72, exec_lo
	v_cmpx_lt_i16_e32 0x7f, v4
	s_xor_b32 s72, exec_lo, s72
	s_cbranch_execz .LBB6_10228
; %bb.8367:                             ;   in Loop: Header=BB6_7994 Depth=3
	s_mov_b32 s16, -1
	s_mov_b32 s73, exec_lo
	v_cmpx_eq_u16_e32 0x80, v4
; %bb.8368:                             ;   in Loop: Header=BB6_7994 Depth=3
	s_xor_b32 s16, exec_lo, -1
; %bb.8369:                             ;   in Loop: Header=BB6_7994 Depth=3
	s_or_b32 exec_lo, exec_lo, s73
	s_and_b32 s16, s16, exec_lo
                                        ; implicit-def: $vgpr4
	s_or_saveexec_b32 s72, s72
	v_mov_b32_e32 v1, 0x7f800001
	s_xor_b32 exec_lo, exec_lo, s72
	s_cbranch_execnz .LBB6_10229
.LBB6_8370:                             ;   in Loop: Header=BB6_7994 Depth=3
	s_or_b32 exec_lo, exec_lo, s72
	s_and_saveexec_b32 s72, s16
	s_cbranch_execz .LBB6_8372
.LBB6_8371:                             ;   in Loop: Header=BB6_7994 Depth=3
	v_bfe_u32 v1, v10, 16, 2
	v_bfe_u32 v6, v10, 18, 5
	v_lshlrev_b32_e32 v7, 8, v10
	v_ffbh_u32_e32 v4, v1
	v_cmp_eq_u32_e32 vcc_lo, 0, v6
	v_min_u32_e32 v4, 32, v4
	v_subrev_nc_u32_e32 v5, 29, v4
	v_sub_nc_u32_e32 v4, 30, v4
	v_lshlrev_b32_sdwa v5, v5, v10 dst_sel:DWORD dst_unused:UNUSED_PAD src0_sel:DWORD src1_sel:WORD_1
	v_cndmask_b32_e32 v4, v6, v4, vcc_lo
	v_and_b32_e32 v5, 3, v5
	v_lshl_add_u32 v4, v4, 23, 0x37800000
	v_cndmask_b32_e32 v1, v1, v5, vcc_lo
	v_and_b32_e32 v5, 0x80000000, v7
	v_lshlrev_b32_e32 v1, 21, v1
	v_or3_b32 v1, v5, v4, v1
.LBB6_8372:                             ;   in Loop: Header=BB6_7994 Depth=3
	s_or_b32 exec_lo, exec_lo, s72
	v_mul_f32_e32 v1, s23, v1
	v_mov_b32_e32 v67, 0x80
	s_mov_b32 s72, exec_lo
	v_and_b32_e32 v4, 0x7f800000, v1
	v_cmpx_ne_u32_e32 0x7f800000, v4
	s_cbranch_execz .LBB6_8380
; %bb.8373:                             ;   in Loop: Header=BB6_7994 Depth=3
	v_mov_b32_e32 v67, 0
	s_mov_b32 s73, exec_lo
	v_cmpx_ne_u32_e32 0, v1
	s_cbranch_execz .LBB6_8379
; %bb.8374:                             ;   in Loop: Header=BB6_7994 Depth=3
	v_bfe_u32 v4, v1, 23, 8
	v_and_b32_e32 v5, 0x7fffff, v1
	v_sub_nc_u32_e32 v6, 0x70, v4
	v_cmp_gt_u32_e32 vcc_lo, 0x71, v4
	v_or_b32_e32 v7, 0x800000, v5
	v_cndmask_b32_e32 v6, 0, v6, vcc_lo
	v_cmp_eq_u32_e32 vcc_lo, 0, v4
	v_add_nc_u32_e32 v4, 0xffffff91, v4
	v_cndmask_b32_e64 v6, v6, 0x6f, vcc_lo
	v_cndmask_b32_e32 v5, v7, v5, vcc_lo
	v_cndmask_b32_e64 v4, v4, 0xffffff92, vcc_lo
	v_lshl_add_u32 v7, 0x200000, v6, -1
	v_lshrrev_b32_e32 v8, v6, v5
	v_lshlrev_b32_e64 v14, v6, 0x100000
	v_add_nc_u32_e32 v6, v6, v4
	v_and_b32_e32 v5, v7, v5
	v_bfe_u32 v9, v8, 21, 1
	v_cmp_eq_u32_e64 s16, v5, v14
	v_add_nc_u32_e32 v7, -1, v9
	v_cndmask_b32_e64 v5, 0, v7, s16
	v_lshrrev_b32_e32 v7, 23, v8
	s_mov_b32 s16, exec_lo
	v_add_nc_u32_e32 v5, v5, v8
	v_xor_b32_e32 v7, 1, v7
	v_and_b32_e32 v4, 0x1fffff, v5
	v_add_nc_u32_e32 v5, v4, v8
                                        ; implicit-def: $vgpr4
	v_cmpx_ne_u32_e64 v6, v7
	s_xor_b32 s16, exec_lo, s16
; %bb.8375:                             ;   in Loop: Header=BB6_7994 Depth=3
	v_cmp_lt_u32_e32 vcc_lo, 0xffffff, v5
	v_sub_nc_u32_e32 v4, v6, v7
	v_cndmask_b32_e64 v6, 0, 1, vcc_lo
	v_add_co_ci_u32_e64 v4, null, 0, v4, vcc_lo
	v_lshrrev_b32_e32 v5, v6, v5
; %bb.8376:                             ;   in Loop: Header=BB6_7994 Depth=3
	s_andn2_saveexec_b32 s16, s16
; %bb.8377:                             ;   in Loop: Header=BB6_7994 Depth=3
	v_bfe_u32 v4, v5, 23, 1
; %bb.8378:                             ;   in Loop: Header=BB6_7994 Depth=3
	s_or_b32 exec_lo, exec_lo, s16
	v_lshrrev_b32_e32 v5, 21, v5
	v_min_i32_e32 v6, 31, v4
	v_cmp_gt_i32_e32 vcc_lo, 32, v4
	v_and_b32_sdwa v1, v1, v117 dst_sel:DWORD dst_unused:UNUSED_PAD src0_sel:BYTE_3 src1_sel:DWORD
	v_lshlrev_b32_e32 v6, 2, v6
	v_cndmask_b32_e32 v5, 3, v5, vcc_lo
	v_and_b32_e32 v6, 0xfc, v6
	v_and_b32_e32 v7, 3, v5
	v_or_b32_e32 v4, v4, v5
	v_or3_b32 v1, v6, v1, v7
	v_cmp_ne_u32_e32 vcc_lo, 0, v4
	v_cndmask_b32_e32 v67, 0, v1, vcc_lo
.LBB6_8379:                             ;   in Loop: Header=BB6_7994 Depth=3
	s_or_b32 exec_lo, exec_lo, s73
.LBB6_8380:                             ;   in Loop: Header=BB6_7994 Depth=3
	s_or_b32 exec_lo, exec_lo, s72
	v_cmp_gt_i16_sdwa s72, v10, v116 src0_sel:BYTE_3 src1_sel:DWORD
	s_mov_b32 s16, 0
	s_and_saveexec_b32 s73, s72
	s_xor_b32 s72, exec_lo, s73
	s_cbranch_execz .LBB6_10230
; %bb.8381:                             ;   in Loop: Header=BB6_7994 Depth=3
	v_cmp_eq_u16_sdwa s74, v10, v117 src0_sel:BYTE_3 src1_sel:DWORD
	s_mov_b32 s16, -1
	s_and_saveexec_b32 s73, s74
; %bb.8382:                             ;   in Loop: Header=BB6_7994 Depth=3
	s_xor_b32 s16, exec_lo, -1
; %bb.8383:                             ;   in Loop: Header=BB6_7994 Depth=3
	s_or_b32 exec_lo, exec_lo, s73
	s_and_b32 s16, s16, exec_lo
	s_or_saveexec_b32 s72, s72
	v_mov_b32_e32 v1, 0x7f800001
	s_xor_b32 exec_lo, exec_lo, s72
	s_cbranch_execnz .LBB6_10231
.LBB6_8384:                             ;   in Loop: Header=BB6_7994 Depth=3
	s_or_b32 exec_lo, exec_lo, s72
	s_and_saveexec_b32 s72, s16
	s_cbranch_execz .LBB6_8386
.LBB6_8385:                             ;   in Loop: Header=BB6_7994 Depth=3
	v_bfe_u32 v1, v10, 24, 2
	v_bfe_u32 v6, v10, 26, 5
	v_ffbh_u32_e32 v4, v1
	v_cmp_eq_u32_e32 vcc_lo, 0, v6
	v_min_u32_e32 v4, 32, v4
	v_subrev_nc_u32_e32 v5, 29, v4
	v_sub_nc_u32_e32 v4, 30, v4
	v_lshlrev_b32_sdwa v5, v5, v10 dst_sel:DWORD dst_unused:UNUSED_PAD src0_sel:DWORD src1_sel:BYTE_3
	v_cndmask_b32_e32 v4, v6, v4, vcc_lo
	v_and_b32_e32 v5, 3, v5
	v_lshl_add_u32 v4, v4, 23, 0x37800000
	v_cndmask_b32_e32 v1, v1, v5, vcc_lo
	v_and_b32_e32 v5, 0x80000000, v10
	v_lshlrev_b32_e32 v1, 21, v1
	v_or3_b32 v1, v5, v4, v1
.LBB6_8386:                             ;   in Loop: Header=BB6_7994 Depth=3
	s_or_b32 exec_lo, exec_lo, s72
	v_mul_f32_e32 v1, s23, v1
	v_mov_b32_e32 v81, 0x8000
	s_mov_b32 s72, exec_lo
	v_and_b32_e32 v4, 0x7f800000, v1
	v_cmpx_ne_u32_e32 0x7f800000, v4
	s_cbranch_execz .LBB6_8394
; %bb.8387:                             ;   in Loop: Header=BB6_7994 Depth=3
	v_mov_b32_e32 v81, 0
	s_mov_b32 s73, exec_lo
	v_cmpx_ne_u32_e32 0, v1
	s_cbranch_execz .LBB6_8393
; %bb.8388:                             ;   in Loop: Header=BB6_7994 Depth=3
	v_bfe_u32 v4, v1, 23, 8
	v_and_b32_e32 v5, 0x7fffff, v1
	v_sub_nc_u32_e32 v6, 0x70, v4
	v_cmp_gt_u32_e32 vcc_lo, 0x71, v4
	v_or_b32_e32 v7, 0x800000, v5
	v_cndmask_b32_e32 v6, 0, v6, vcc_lo
	v_cmp_eq_u32_e32 vcc_lo, 0, v4
	v_add_nc_u32_e32 v4, 0xffffff91, v4
	v_cndmask_b32_e64 v6, v6, 0x6f, vcc_lo
	v_cndmask_b32_e32 v5, v7, v5, vcc_lo
	v_cndmask_b32_e64 v4, v4, 0xffffff92, vcc_lo
	v_lshl_add_u32 v7, 0x200000, v6, -1
	v_lshrrev_b32_e32 v8, v6, v5
	v_lshlrev_b32_e64 v10, v6, 0x100000
	v_add_nc_u32_e32 v6, v6, v4
	v_and_b32_e32 v5, v7, v5
	v_bfe_u32 v9, v8, 21, 1
	v_cmp_eq_u32_e64 s16, v5, v10
	v_add_nc_u32_e32 v7, -1, v9
	v_cndmask_b32_e64 v5, 0, v7, s16
	v_lshrrev_b32_e32 v7, 23, v8
	s_mov_b32 s16, exec_lo
	v_add_nc_u32_e32 v5, v5, v8
	v_xor_b32_e32 v7, 1, v7
	v_and_b32_e32 v4, 0x1fffff, v5
	v_add_nc_u32_e32 v5, v4, v8
                                        ; implicit-def: $vgpr4
	v_cmpx_ne_u32_e64 v6, v7
	s_xor_b32 s16, exec_lo, s16
; %bb.8389:                             ;   in Loop: Header=BB6_7994 Depth=3
	v_cmp_lt_u32_e32 vcc_lo, 0xffffff, v5
	v_sub_nc_u32_e32 v4, v6, v7
	v_cndmask_b32_e64 v6, 0, 1, vcc_lo
	v_add_co_ci_u32_e64 v4, null, 0, v4, vcc_lo
	v_lshrrev_b32_e32 v5, v6, v5
; %bb.8390:                             ;   in Loop: Header=BB6_7994 Depth=3
	s_andn2_saveexec_b32 s16, s16
; %bb.8391:                             ;   in Loop: Header=BB6_7994 Depth=3
	v_bfe_u32 v4, v5, 23, 1
; %bb.8392:                             ;   in Loop: Header=BB6_7994 Depth=3
	s_or_b32 exec_lo, exec_lo, s16
	v_lshrrev_b32_e32 v5, 21, v5
	v_min_i32_e32 v6, 31, v4
	v_cmp_gt_i32_e32 vcc_lo, 32, v4
	v_and_b32_sdwa v1, v1, v117 dst_sel:DWORD dst_unused:UNUSED_PAD src0_sel:BYTE_3 src1_sel:DWORD
	v_lshlrev_b32_e32 v6, 2, v6
	v_cndmask_b32_e32 v5, 3, v5, vcc_lo
	v_and_b32_e32 v6, 0xfc, v6
	v_and_b32_e32 v7, 3, v5
	v_or_b32_e32 v4, v4, v5
	v_or3_b32 v1, v1, v6, v7
	v_cmp_ne_u32_e32 vcc_lo, 0, v4
	v_lshlrev_b32_e32 v1, 8, v1
	v_cndmask_b32_e32 v81, 0, v1, vcc_lo
.LBB6_8393:                             ;   in Loop: Header=BB6_7994 Depth=3
	s_or_b32 exec_lo, exec_lo, s73
.LBB6_8394:                             ;   in Loop: Header=BB6_7994 Depth=3
	s_or_b32 exec_lo, exec_lo, s72
	v_cmp_gt_i16_sdwa s72, v11, v116 src0_sel:BYTE_0 src1_sel:DWORD
	s_mov_b32 s16, 0
	s_and_saveexec_b32 s73, s72
	s_xor_b32 s72, exec_lo, s73
	s_cbranch_execz .LBB6_10232
; %bb.8395:                             ;   in Loop: Header=BB6_7994 Depth=3
	v_cmp_eq_u16_sdwa s74, v11, v117 src0_sel:BYTE_0 src1_sel:DWORD
	s_mov_b32 s16, -1
	s_and_saveexec_b32 s73, s74
; %bb.8396:                             ;   in Loop: Header=BB6_7994 Depth=3
	s_xor_b32 s16, exec_lo, -1
; %bb.8397:                             ;   in Loop: Header=BB6_7994 Depth=3
	s_or_b32 exec_lo, exec_lo, s73
	s_and_b32 s16, s16, exec_lo
	s_or_saveexec_b32 s72, s72
	v_mov_b32_e32 v1, 0x7f800001
	s_xor_b32 exec_lo, exec_lo, s72
	s_cbranch_execnz .LBB6_10233
.LBB6_8398:                             ;   in Loop: Header=BB6_7994 Depth=3
	s_or_b32 exec_lo, exec_lo, s72
	s_and_saveexec_b32 s72, s16
	s_cbranch_execz .LBB6_8400
.LBB6_8399:                             ;   in Loop: Header=BB6_7994 Depth=3
	v_and_b32_e32 v1, 3, v11
	v_bfe_u32 v6, v11, 2, 5
	v_lshlrev_b32_e32 v7, 24, v11
	v_ffbh_u32_e32 v4, v1
	v_cmp_eq_u32_e32 vcc_lo, 0, v6
	v_min_u32_e32 v4, 32, v4
	v_subrev_nc_u32_e32 v5, 29, v4
	v_sub_nc_u32_e32 v4, 30, v4
	v_lshlrev_b32_e32 v5, v5, v11
	v_cndmask_b32_e32 v4, v6, v4, vcc_lo
	v_and_b32_e32 v5, 3, v5
	v_lshl_add_u32 v4, v4, 23, 0x37800000
	v_cndmask_b32_e32 v1, v1, v5, vcc_lo
	v_and_b32_e32 v5, 0x80000000, v7
	v_lshlrev_b32_e32 v1, 21, v1
	v_or3_b32 v1, v5, v4, v1
.LBB6_8400:                             ;   in Loop: Header=BB6_7994 Depth=3
	s_or_b32 exec_lo, exec_lo, s72
	v_mul_f32_e32 v1, s23, v1
	v_mov_b32_e32 v78, 0x80
	s_mov_b32 s72, exec_lo
	v_and_b32_e32 v4, 0x7f800000, v1
	v_cmpx_ne_u32_e32 0x7f800000, v4
	s_cbranch_execz .LBB6_8408
; %bb.8401:                             ;   in Loop: Header=BB6_7994 Depth=3
	v_mov_b32_e32 v78, 0
	s_mov_b32 s73, exec_lo
	v_cmpx_ne_u32_e32 0, v1
	s_cbranch_execz .LBB6_8407
; %bb.8402:                             ;   in Loop: Header=BB6_7994 Depth=3
	v_bfe_u32 v4, v1, 23, 8
	v_and_b32_e32 v5, 0x7fffff, v1
	v_sub_nc_u32_e32 v6, 0x70, v4
	v_cmp_gt_u32_e32 vcc_lo, 0x71, v4
	v_or_b32_e32 v7, 0x800000, v5
	v_cndmask_b32_e32 v6, 0, v6, vcc_lo
	v_cmp_eq_u32_e32 vcc_lo, 0, v4
	v_add_nc_u32_e32 v4, 0xffffff91, v4
	v_cndmask_b32_e64 v6, v6, 0x6f, vcc_lo
	v_cndmask_b32_e32 v5, v7, v5, vcc_lo
	v_cndmask_b32_e64 v4, v4, 0xffffff92, vcc_lo
	v_lshl_add_u32 v7, 0x200000, v6, -1
	v_lshrrev_b32_e32 v8, v6, v5
	v_lshlrev_b32_e64 v10, v6, 0x100000
	v_add_nc_u32_e32 v6, v6, v4
	v_and_b32_e32 v5, v7, v5
	v_bfe_u32 v9, v8, 21, 1
	v_cmp_eq_u32_e64 s16, v5, v10
	v_add_nc_u32_e32 v7, -1, v9
	v_cndmask_b32_e64 v5, 0, v7, s16
	v_lshrrev_b32_e32 v7, 23, v8
	s_mov_b32 s16, exec_lo
	v_add_nc_u32_e32 v5, v5, v8
	v_xor_b32_e32 v7, 1, v7
	v_and_b32_e32 v4, 0x1fffff, v5
	v_add_nc_u32_e32 v5, v4, v8
                                        ; implicit-def: $vgpr4
	v_cmpx_ne_u32_e64 v6, v7
	s_xor_b32 s16, exec_lo, s16
; %bb.8403:                             ;   in Loop: Header=BB6_7994 Depth=3
	v_cmp_lt_u32_e32 vcc_lo, 0xffffff, v5
	v_sub_nc_u32_e32 v4, v6, v7
	v_cndmask_b32_e64 v6, 0, 1, vcc_lo
	v_add_co_ci_u32_e64 v4, null, 0, v4, vcc_lo
	v_lshrrev_b32_e32 v5, v6, v5
; %bb.8404:                             ;   in Loop: Header=BB6_7994 Depth=3
	s_andn2_saveexec_b32 s16, s16
; %bb.8405:                             ;   in Loop: Header=BB6_7994 Depth=3
	v_bfe_u32 v4, v5, 23, 1
; %bb.8406:                             ;   in Loop: Header=BB6_7994 Depth=3
	s_or_b32 exec_lo, exec_lo, s16
	v_lshrrev_b32_e32 v5, 21, v5
	v_min_i32_e32 v6, 31, v4
	v_cmp_gt_i32_e32 vcc_lo, 32, v4
	v_and_b32_sdwa v1, v1, v117 dst_sel:DWORD dst_unused:UNUSED_PAD src0_sel:BYTE_3 src1_sel:DWORD
	v_lshlrev_b32_e32 v6, 2, v6
	v_cndmask_b32_e32 v5, 3, v5, vcc_lo
	v_and_b32_e32 v6, 0xfc, v6
	v_and_b32_e32 v7, 3, v5
	v_or_b32_e32 v4, v4, v5
	v_or3_b32 v1, v6, v1, v7
	v_cmp_ne_u32_e32 vcc_lo, 0, v4
	v_cndmask_b32_e32 v78, 0, v1, vcc_lo
.LBB6_8407:                             ;   in Loop: Header=BB6_7994 Depth=3
	s_or_b32 exec_lo, exec_lo, s73
.LBB6_8408:                             ;   in Loop: Header=BB6_7994 Depth=3
	s_or_b32 exec_lo, exec_lo, s72
	v_cmp_gt_i16_sdwa s72, v11, v116 src0_sel:BYTE_1 src1_sel:DWORD
	s_mov_b32 s16, 0
	s_and_saveexec_b32 s73, s72
	s_xor_b32 s72, exec_lo, s73
	s_cbranch_execz .LBB6_10234
; %bb.8409:                             ;   in Loop: Header=BB6_7994 Depth=3
	v_cmp_eq_u16_sdwa s74, v11, v117 src0_sel:BYTE_1 src1_sel:DWORD
	s_mov_b32 s16, -1
	s_and_saveexec_b32 s73, s74
; %bb.8410:                             ;   in Loop: Header=BB6_7994 Depth=3
	s_xor_b32 s16, exec_lo, -1
; %bb.8411:                             ;   in Loop: Header=BB6_7994 Depth=3
	s_or_b32 exec_lo, exec_lo, s73
	s_and_b32 s16, s16, exec_lo
	s_or_saveexec_b32 s72, s72
	v_mov_b32_e32 v1, 0x7f800001
	s_xor_b32 exec_lo, exec_lo, s72
	s_cbranch_execnz .LBB6_10235
.LBB6_8412:                             ;   in Loop: Header=BB6_7994 Depth=3
	s_or_b32 exec_lo, exec_lo, s72
	s_and_saveexec_b32 s72, s16
	s_cbranch_execz .LBB6_8414
.LBB6_8413:                             ;   in Loop: Header=BB6_7994 Depth=3
	v_and_b32_sdwa v1, v118, v11 dst_sel:DWORD dst_unused:UNUSED_PAD src0_sel:DWORD src1_sel:BYTE_1
	v_and_b32_e32 v4, 3, v1
	v_bfe_u32 v7, v1, 2, 5
	v_ffbh_u32_e32 v5, v4
	v_cmp_eq_u32_e32 vcc_lo, 0, v7
	v_min_u32_e32 v5, 32, v5
	v_subrev_nc_u32_e32 v6, 29, v5
	v_sub_nc_u32_e32 v5, 30, v5
	v_lshlrev_b32_e32 v1, v6, v1
	v_lshlrev_b32_sdwa v6, v119, v11 dst_sel:DWORD dst_unused:UNUSED_PAD src0_sel:DWORD src1_sel:BYTE_1
	v_cndmask_b32_e32 v5, v7, v5, vcc_lo
	v_and_b32_e32 v1, 3, v1
	v_lshl_add_u32 v5, v5, 23, 0x37800000
	v_cndmask_b32_e32 v1, v4, v1, vcc_lo
	v_and_b32_e32 v4, 0x80000000, v6
	v_lshlrev_b32_e32 v1, 21, v1
	v_or3_b32 v1, v4, v5, v1
.LBB6_8414:                             ;   in Loop: Header=BB6_7994 Depth=3
	s_or_b32 exec_lo, exec_lo, s72
	v_mul_f32_e32 v1, s23, v1
	v_mov_b32_e32 v80, 0x8000
	s_mov_b32 s72, exec_lo
	v_and_b32_e32 v4, 0x7f800000, v1
	v_cmpx_ne_u32_e32 0x7f800000, v4
	s_cbranch_execz .LBB6_8422
; %bb.8415:                             ;   in Loop: Header=BB6_7994 Depth=3
	v_mov_b32_e32 v80, 0
	s_mov_b32 s73, exec_lo
	v_cmpx_ne_u32_e32 0, v1
	s_cbranch_execz .LBB6_8421
; %bb.8416:                             ;   in Loop: Header=BB6_7994 Depth=3
	v_bfe_u32 v5, v1, 23, 8
	v_and_b32_e32 v4, 0x7fffff, v1
	v_cmp_gt_u32_e64 s16, 0x71, v5
	v_sub_nc_u32_e32 v6, 0x70, v5
	v_cmp_eq_u32_e32 vcc_lo, 0, v5
	v_or_b32_e32 v7, 0x800000, v4
	v_cndmask_b32_e64 v6, 0, v6, s16
	v_cndmask_b32_e32 v4, v7, v4, vcc_lo
	v_cndmask_b32_e64 v6, v6, 0x6f, vcc_lo
	v_lshl_add_u32 v7, 0x200000, v6, -1
	v_lshlrev_b32_e64 v8, v6, 0x100000
	v_and_b32_e32 v7, v7, v4
	v_cmp_eq_u32_e64 s16, v7, v8
	v_lshrrev_b32_e32 v7, v6, v4
	v_add_nc_u32_e32 v4, 0xffffff91, v5
	v_lshrrev_b32_e32 v5, 23, v7
	v_cndmask_b32_e64 v4, v4, 0xffffff92, vcc_lo
	v_xor_b32_e32 v5, 1, v5
	v_add_nc_u32_e32 v4, v6, v4
	v_bfe_u32 v6, v7, 21, 1
	v_add_nc_u32_e32 v6, -1, v6
	v_cndmask_b32_e64 v6, 0, v6, s16
	s_mov_b32 s16, exec_lo
	v_add_nc_u32_e32 v6, v6, v7
	v_and_b32_e32 v6, 0x1fffff, v6
	v_add_nc_u32_e32 v7, v6, v7
                                        ; implicit-def: $vgpr6
	v_cmpx_ne_u32_e64 v4, v5
	s_xor_b32 s16, exec_lo, s16
; %bb.8417:                             ;   in Loop: Header=BB6_7994 Depth=3
	v_cmp_lt_u32_e32 vcc_lo, 0xffffff, v7
	v_sub_nc_u32_e32 v4, v4, v5
	v_cndmask_b32_e64 v5, 0, 1, vcc_lo
	v_add_co_ci_u32_e64 v6, null, 0, v4, vcc_lo
	v_lshrrev_b32_e32 v7, v5, v7
; %bb.8418:                             ;   in Loop: Header=BB6_7994 Depth=3
	s_andn2_saveexec_b32 s16, s16
; %bb.8419:                             ;   in Loop: Header=BB6_7994 Depth=3
	v_bfe_u32 v6, v7, 23, 1
; %bb.8420:                             ;   in Loop: Header=BB6_7994 Depth=3
	s_or_b32 exec_lo, exec_lo, s16
	v_lshrrev_b32_e32 v4, 21, v7
	v_min_i32_e32 v5, 31, v6
	v_cmp_gt_i32_e32 vcc_lo, 32, v6
	v_and_b32_sdwa v1, v1, v117 dst_sel:DWORD dst_unused:UNUSED_PAD src0_sel:BYTE_3 src1_sel:DWORD
	v_lshlrev_b32_e32 v5, 2, v5
	v_cndmask_b32_e32 v4, 3, v4, vcc_lo
	v_and_b32_e32 v5, 0xfc, v5
	v_and_b32_e32 v7, 3, v4
	v_or_b32_e32 v4, v6, v4
	v_or3_b32 v1, v1, v5, v7
	v_cmp_ne_u32_e32 vcc_lo, 0, v4
	v_lshlrev_b32_e32 v1, 8, v1
	v_cndmask_b32_e32 v80, 0, v1, vcc_lo
.LBB6_8421:                             ;   in Loop: Header=BB6_7994 Depth=3
	s_or_b32 exec_lo, exec_lo, s73
.LBB6_8422:                             ;   in Loop: Header=BB6_7994 Depth=3
	s_or_b32 exec_lo, exec_lo, s72
	v_and_b32_sdwa v4, v11, v40 dst_sel:DWORD dst_unused:UNUSED_PAD src0_sel:WORD_1 src1_sel:DWORD
	s_mov_b32 s16, 0
	s_mov_b32 s72, exec_lo
	v_cmpx_lt_i16_e32 0x7f, v4
	s_xor_b32 s72, exec_lo, s72
	s_cbranch_execz .LBB6_10236
; %bb.8423:                             ;   in Loop: Header=BB6_7994 Depth=3
	s_mov_b32 s16, -1
	s_mov_b32 s73, exec_lo
	v_cmpx_eq_u16_e32 0x80, v4
; %bb.8424:                             ;   in Loop: Header=BB6_7994 Depth=3
	s_xor_b32 s16, exec_lo, -1
; %bb.8425:                             ;   in Loop: Header=BB6_7994 Depth=3
	s_or_b32 exec_lo, exec_lo, s73
	s_and_b32 s16, s16, exec_lo
                                        ; implicit-def: $vgpr4
	s_or_saveexec_b32 s72, s72
	v_mov_b32_e32 v1, 0x7f800001
	s_xor_b32 exec_lo, exec_lo, s72
	s_cbranch_execnz .LBB6_10237
.LBB6_8426:                             ;   in Loop: Header=BB6_7994 Depth=3
	s_or_b32 exec_lo, exec_lo, s72
	s_and_saveexec_b32 s72, s16
	s_cbranch_execz .LBB6_8428
.LBB6_8427:                             ;   in Loop: Header=BB6_7994 Depth=3
	v_bfe_u32 v1, v11, 16, 2
	v_bfe_u32 v6, v11, 18, 5
	v_lshlrev_b32_e32 v7, 8, v11
	v_ffbh_u32_e32 v4, v1
	v_cmp_eq_u32_e32 vcc_lo, 0, v6
	v_min_u32_e32 v4, 32, v4
	v_subrev_nc_u32_e32 v5, 29, v4
	v_sub_nc_u32_e32 v4, 30, v4
	v_lshlrev_b32_sdwa v5, v5, v11 dst_sel:DWORD dst_unused:UNUSED_PAD src0_sel:DWORD src1_sel:WORD_1
	v_cndmask_b32_e32 v4, v6, v4, vcc_lo
	v_and_b32_e32 v5, 3, v5
	v_lshl_add_u32 v4, v4, 23, 0x37800000
	v_cndmask_b32_e32 v1, v1, v5, vcc_lo
	v_and_b32_e32 v5, 0x80000000, v7
	v_lshlrev_b32_e32 v1, 21, v1
	v_or3_b32 v1, v5, v4, v1
.LBB6_8428:                             ;   in Loop: Header=BB6_7994 Depth=3
	s_or_b32 exec_lo, exec_lo, s72
	v_mul_f32_e32 v1, s23, v1
	v_mov_b32_e32 v113, 0x80
	s_mov_b32 s72, exec_lo
	v_and_b32_e32 v4, 0x7f800000, v1
	v_cmpx_ne_u32_e32 0x7f800000, v4
	s_cbranch_execz .LBB6_8436
; %bb.8429:                             ;   in Loop: Header=BB6_7994 Depth=3
	v_mov_b32_e32 v113, 0
	s_mov_b32 s73, exec_lo
	v_cmpx_ne_u32_e32 0, v1
	s_cbranch_execz .LBB6_8435
; %bb.8430:                             ;   in Loop: Header=BB6_7994 Depth=3
	v_bfe_u32 v5, v1, 23, 8
	v_and_b32_e32 v4, 0x7fffff, v1
	v_cmp_gt_u32_e64 s16, 0x71, v5
	v_sub_nc_u32_e32 v6, 0x70, v5
	v_cmp_eq_u32_e32 vcc_lo, 0, v5
	v_or_b32_e32 v7, 0x800000, v4
	v_cndmask_b32_e64 v6, 0, v6, s16
	v_cndmask_b32_e32 v4, v7, v4, vcc_lo
	v_cndmask_b32_e64 v6, v6, 0x6f, vcc_lo
	v_lshl_add_u32 v7, 0x200000, v6, -1
	v_lshlrev_b32_e64 v8, v6, 0x100000
	v_and_b32_e32 v7, v7, v4
	v_cmp_eq_u32_e64 s16, v7, v8
	v_lshrrev_b32_e32 v7, v6, v4
	v_add_nc_u32_e32 v4, 0xffffff91, v5
	v_lshrrev_b32_e32 v5, 23, v7
	v_cndmask_b32_e64 v4, v4, 0xffffff92, vcc_lo
	v_xor_b32_e32 v5, 1, v5
	v_add_nc_u32_e32 v4, v6, v4
	v_bfe_u32 v6, v7, 21, 1
	v_add_nc_u32_e32 v6, -1, v6
	v_cndmask_b32_e64 v6, 0, v6, s16
	s_mov_b32 s16, exec_lo
	v_add_nc_u32_e32 v6, v6, v7
	v_and_b32_e32 v6, 0x1fffff, v6
	v_add_nc_u32_e32 v7, v6, v7
                                        ; implicit-def: $vgpr6
	v_cmpx_ne_u32_e64 v4, v5
	s_xor_b32 s16, exec_lo, s16
; %bb.8431:                             ;   in Loop: Header=BB6_7994 Depth=3
	v_cmp_lt_u32_e32 vcc_lo, 0xffffff, v7
	v_sub_nc_u32_e32 v4, v4, v5
	v_cndmask_b32_e64 v5, 0, 1, vcc_lo
	v_add_co_ci_u32_e64 v6, null, 0, v4, vcc_lo
	v_lshrrev_b32_e32 v7, v5, v7
; %bb.8432:                             ;   in Loop: Header=BB6_7994 Depth=3
	s_andn2_saveexec_b32 s16, s16
; %bb.8433:                             ;   in Loop: Header=BB6_7994 Depth=3
	v_bfe_u32 v6, v7, 23, 1
; %bb.8434:                             ;   in Loop: Header=BB6_7994 Depth=3
	s_or_b32 exec_lo, exec_lo, s16
	v_lshrrev_b32_e32 v4, 21, v7
	v_min_i32_e32 v5, 31, v6
	v_cmp_gt_i32_e32 vcc_lo, 32, v6
	v_and_b32_sdwa v1, v1, v117 dst_sel:DWORD dst_unused:UNUSED_PAD src0_sel:BYTE_3 src1_sel:DWORD
	v_lshlrev_b32_e32 v5, 2, v5
	v_cndmask_b32_e32 v4, 3, v4, vcc_lo
	v_and_b32_e32 v5, 0xfc, v5
	v_and_b32_e32 v7, 3, v4
	v_or_b32_e32 v4, v6, v4
	v_or3_b32 v1, v5, v1, v7
	v_cmp_ne_u32_e32 vcc_lo, 0, v4
	v_cndmask_b32_e32 v113, 0, v1, vcc_lo
.LBB6_8435:                             ;   in Loop: Header=BB6_7994 Depth=3
	s_or_b32 exec_lo, exec_lo, s73
.LBB6_8436:                             ;   in Loop: Header=BB6_7994 Depth=3
	s_or_b32 exec_lo, exec_lo, s72
	v_cmp_gt_i16_sdwa s72, v11, v116 src0_sel:BYTE_3 src1_sel:DWORD
	s_mov_b32 s16, 0
	s_and_saveexec_b32 s73, s72
	s_xor_b32 s72, exec_lo, s73
	s_cbranch_execz .LBB6_10238
; %bb.8437:                             ;   in Loop: Header=BB6_7994 Depth=3
	v_cmp_eq_u16_sdwa s74, v11, v117 src0_sel:BYTE_3 src1_sel:DWORD
	s_mov_b32 s16, -1
	s_and_saveexec_b32 s73, s74
; %bb.8438:                             ;   in Loop: Header=BB6_7994 Depth=3
	s_xor_b32 s16, exec_lo, -1
; %bb.8439:                             ;   in Loop: Header=BB6_7994 Depth=3
	s_or_b32 exec_lo, exec_lo, s73
	s_and_b32 s16, s16, exec_lo
	s_or_saveexec_b32 s72, s72
	v_mov_b32_e32 v1, 0x7f800001
	s_xor_b32 exec_lo, exec_lo, s72
	s_cbranch_execnz .LBB6_10239
.LBB6_8440:                             ;   in Loop: Header=BB6_7994 Depth=3
	s_or_b32 exec_lo, exec_lo, s72
	s_and_saveexec_b32 s72, s16
	s_cbranch_execz .LBB6_8442
.LBB6_8441:                             ;   in Loop: Header=BB6_7994 Depth=3
	v_bfe_u32 v1, v11, 24, 2
	v_bfe_u32 v6, v11, 26, 5
	v_ffbh_u32_e32 v4, v1
	v_cmp_eq_u32_e32 vcc_lo, 0, v6
	v_min_u32_e32 v4, 32, v4
	v_subrev_nc_u32_e32 v5, 29, v4
	v_sub_nc_u32_e32 v4, 30, v4
	v_lshlrev_b32_sdwa v5, v5, v11 dst_sel:DWORD dst_unused:UNUSED_PAD src0_sel:DWORD src1_sel:BYTE_3
	v_cndmask_b32_e32 v4, v6, v4, vcc_lo
	v_and_b32_e32 v5, 3, v5
	v_lshl_add_u32 v4, v4, 23, 0x37800000
	v_cndmask_b32_e32 v1, v1, v5, vcc_lo
	v_and_b32_e32 v5, 0x80000000, v11
	v_lshlrev_b32_e32 v1, 21, v1
	v_or3_b32 v1, v5, v4, v1
.LBB6_8442:                             ;   in Loop: Header=BB6_7994 Depth=3
	s_or_b32 exec_lo, exec_lo, s72
	v_mul_f32_e32 v1, s23, v1
	v_mov_b32_e32 v77, 0x8000
	s_mov_b32 s72, exec_lo
	v_and_b32_e32 v4, 0x7f800000, v1
	v_cmpx_ne_u32_e32 0x7f800000, v4
	s_cbranch_execz .LBB6_8450
; %bb.8443:                             ;   in Loop: Header=BB6_7994 Depth=3
	v_mov_b32_e32 v77, 0
	s_mov_b32 s73, exec_lo
	v_cmpx_ne_u32_e32 0, v1
	s_cbranch_execz .LBB6_8449
; %bb.8444:                             ;   in Loop: Header=BB6_7994 Depth=3
	v_bfe_u32 v5, v1, 23, 8
	v_and_b32_e32 v4, 0x7fffff, v1
	v_cmp_gt_u32_e64 s16, 0x71, v5
	v_sub_nc_u32_e32 v6, 0x70, v5
	v_cmp_eq_u32_e32 vcc_lo, 0, v5
	v_or_b32_e32 v7, 0x800000, v4
	v_cndmask_b32_e64 v6, 0, v6, s16
	v_cndmask_b32_e32 v4, v7, v4, vcc_lo
	v_cndmask_b32_e64 v6, v6, 0x6f, vcc_lo
	v_lshl_add_u32 v7, 0x200000, v6, -1
	v_lshlrev_b32_e64 v8, v6, 0x100000
	v_and_b32_e32 v7, v7, v4
	v_cmp_eq_u32_e64 s16, v7, v8
	v_lshrrev_b32_e32 v7, v6, v4
	v_add_nc_u32_e32 v4, 0xffffff91, v5
	v_lshrrev_b32_e32 v5, 23, v7
	v_cndmask_b32_e64 v4, v4, 0xffffff92, vcc_lo
	v_xor_b32_e32 v5, 1, v5
	v_add_nc_u32_e32 v4, v6, v4
	v_bfe_u32 v6, v7, 21, 1
	v_add_nc_u32_e32 v6, -1, v6
	v_cndmask_b32_e64 v6, 0, v6, s16
	s_mov_b32 s16, exec_lo
	v_add_nc_u32_e32 v6, v6, v7
	v_and_b32_e32 v6, 0x1fffff, v6
	v_add_nc_u32_e32 v7, v6, v7
                                        ; implicit-def: $vgpr6
	v_cmpx_ne_u32_e64 v4, v5
	s_xor_b32 s16, exec_lo, s16
; %bb.8445:                             ;   in Loop: Header=BB6_7994 Depth=3
	v_cmp_lt_u32_e32 vcc_lo, 0xffffff, v7
	v_sub_nc_u32_e32 v4, v4, v5
	v_cndmask_b32_e64 v5, 0, 1, vcc_lo
	v_add_co_ci_u32_e64 v6, null, 0, v4, vcc_lo
	v_lshrrev_b32_e32 v7, v5, v7
; %bb.8446:                             ;   in Loop: Header=BB6_7994 Depth=3
	s_andn2_saveexec_b32 s16, s16
; %bb.8447:                             ;   in Loop: Header=BB6_7994 Depth=3
	v_bfe_u32 v6, v7, 23, 1
; %bb.8448:                             ;   in Loop: Header=BB6_7994 Depth=3
	s_or_b32 exec_lo, exec_lo, s16
	v_lshrrev_b32_e32 v4, 21, v7
	v_min_i32_e32 v5, 31, v6
	v_cmp_gt_i32_e32 vcc_lo, 32, v6
	v_and_b32_sdwa v1, v1, v117 dst_sel:DWORD dst_unused:UNUSED_PAD src0_sel:BYTE_3 src1_sel:DWORD
	v_lshlrev_b32_e32 v5, 2, v5
	v_cndmask_b32_e32 v4, 3, v4, vcc_lo
	v_and_b32_e32 v5, 0xfc, v5
	v_and_b32_e32 v7, 3, v4
	v_or_b32_e32 v4, v6, v4
	v_or3_b32 v1, v1, v5, v7
	v_cmp_ne_u32_e32 vcc_lo, 0, v4
	v_lshlrev_b32_e32 v1, 8, v1
	v_cndmask_b32_e32 v77, 0, v1, vcc_lo
.LBB6_8449:                             ;   in Loop: Header=BB6_7994 Depth=3
	s_or_b32 exec_lo, exec_lo, s73
.LBB6_8450:                             ;   in Loop: Header=BB6_7994 Depth=3
	s_or_b32 exec_lo, exec_lo, s72
	global_load_dwordx4 v[8:11], v[96:97], off offset:1024 slc
	s_mov_b32 s72, 0
	s_waitcnt vmcnt(0)
	v_cmp_gt_i16_sdwa s16, v8, v116 src0_sel:BYTE_0 src1_sel:DWORD
	s_and_saveexec_b32 s73, s16
	s_xor_b32 s16, exec_lo, s73
	s_cbranch_execz .LBB6_10240
; %bb.8451:                             ;   in Loop: Header=BB6_7994 Depth=3
	v_cmp_eq_u16_sdwa s74, v8, v117 src0_sel:BYTE_0 src1_sel:DWORD
	s_mov_b32 s72, -1
	s_and_saveexec_b32 s73, s74
; %bb.8452:                             ;   in Loop: Header=BB6_7994 Depth=3
	s_xor_b32 s72, exec_lo, -1
; %bb.8453:                             ;   in Loop: Header=BB6_7994 Depth=3
	s_or_b32 exec_lo, exec_lo, s73
	s_and_b32 s72, s72, exec_lo
	s_or_saveexec_b32 s16, s16
	v_mov_b32_e32 v1, 0x7f800001
	s_xor_b32 exec_lo, exec_lo, s16
	s_cbranch_execnz .LBB6_10241
.LBB6_8454:                             ;   in Loop: Header=BB6_7994 Depth=3
	s_or_b32 exec_lo, exec_lo, s16
	s_and_saveexec_b32 s16, s72
	s_cbranch_execz .LBB6_8456
.LBB6_8455:                             ;   in Loop: Header=BB6_7994 Depth=3
	v_and_b32_e32 v1, 3, v8
	v_bfe_u32 v4, v8, 2, 5
	v_ffbh_u32_e32 v5, v1
	v_cmp_eq_u32_e32 vcc_lo, 0, v4
	v_min_u32_e32 v5, 32, v5
	v_subrev_nc_u32_e32 v6, 29, v5
	v_sub_nc_u32_e32 v5, 30, v5
	v_lshlrev_b32_e32 v6, v6, v8
	v_cndmask_b32_e32 v4, v4, v5, vcc_lo
	v_lshlrev_b32_e32 v5, 24, v8
	v_and_b32_e32 v6, 3, v6
	v_lshl_add_u32 v4, v4, 23, 0x37800000
	v_and_b32_e32 v5, 0x80000000, v5
	v_cndmask_b32_e32 v1, v1, v6, vcc_lo
	v_lshlrev_b32_e32 v1, 21, v1
	v_or3_b32 v1, v5, v4, v1
.LBB6_8456:                             ;   in Loop: Header=BB6_7994 Depth=3
	s_or_b32 exec_lo, exec_lo, s16
	v_mul_f32_e32 v1, s23, v1
	v_mov_b32_e32 v124, 0x80
	s_mov_b32 s72, exec_lo
	v_and_b32_e32 v4, 0x7f800000, v1
	v_cmpx_ne_u32_e32 0x7f800000, v4
	s_cbranch_execz .LBB6_8464
; %bb.8457:                             ;   in Loop: Header=BB6_7994 Depth=3
	v_mov_b32_e32 v124, 0
	s_mov_b32 s73, exec_lo
	v_cmpx_ne_u32_e32 0, v1
	s_cbranch_execz .LBB6_8463
; %bb.8458:                             ;   in Loop: Header=BB6_7994 Depth=3
	v_bfe_u32 v5, v1, 23, 8
	v_and_b32_e32 v4, 0x7fffff, v1
	v_cmp_gt_u32_e64 s16, 0x71, v5
	v_sub_nc_u32_e32 v6, 0x70, v5
	v_cmp_eq_u32_e32 vcc_lo, 0, v5
	v_or_b32_e32 v7, 0x800000, v4
	v_cndmask_b32_e64 v6, 0, v6, s16
	v_cndmask_b32_e32 v4, v7, v4, vcc_lo
	v_cndmask_b32_e64 v6, v6, 0x6f, vcc_lo
	v_lshl_add_u32 v7, 0x200000, v6, -1
	v_lshlrev_b32_e64 v14, v6, 0x100000
	v_and_b32_e32 v7, v7, v4
	v_cmp_eq_u32_e64 s16, v7, v14
	v_lshrrev_b32_e32 v7, v6, v4
	v_add_nc_u32_e32 v4, 0xffffff91, v5
	v_lshrrev_b32_e32 v5, 23, v7
	v_cndmask_b32_e64 v4, v4, 0xffffff92, vcc_lo
	v_xor_b32_e32 v5, 1, v5
	v_add_nc_u32_e32 v4, v6, v4
	v_bfe_u32 v6, v7, 21, 1
	v_add_nc_u32_e32 v6, -1, v6
	v_cndmask_b32_e64 v6, 0, v6, s16
	s_mov_b32 s16, exec_lo
	v_add_nc_u32_e32 v6, v6, v7
	v_and_b32_e32 v6, 0x1fffff, v6
	v_add_nc_u32_e32 v6, v6, v7
                                        ; implicit-def: $vgpr7
	v_cmpx_ne_u32_e64 v4, v5
	s_xor_b32 s16, exec_lo, s16
; %bb.8459:                             ;   in Loop: Header=BB6_7994 Depth=3
	v_cmp_lt_u32_e32 vcc_lo, 0xffffff, v6
	v_sub_nc_u32_e32 v4, v4, v5
	v_cndmask_b32_e64 v5, 0, 1, vcc_lo
	v_add_co_ci_u32_e64 v7, null, 0, v4, vcc_lo
	v_lshrrev_b32_e32 v6, v5, v6
; %bb.8460:                             ;   in Loop: Header=BB6_7994 Depth=3
	s_andn2_saveexec_b32 s16, s16
; %bb.8461:                             ;   in Loop: Header=BB6_7994 Depth=3
	v_bfe_u32 v7, v6, 23, 1
; %bb.8462:                             ;   in Loop: Header=BB6_7994 Depth=3
	s_or_b32 exec_lo, exec_lo, s16
	v_lshrrev_b32_e32 v4, 21, v6
	v_min_i32_e32 v5, 31, v7
	v_cmp_gt_i32_e32 vcc_lo, 32, v7
	v_and_b32_sdwa v1, v1, v117 dst_sel:DWORD dst_unused:UNUSED_PAD src0_sel:BYTE_3 src1_sel:DWORD
	v_lshlrev_b32_e32 v5, 2, v5
	v_cndmask_b32_e32 v4, 3, v4, vcc_lo
	v_and_b32_e32 v5, 0xfc, v5
	v_or_b32_e32 v6, v7, v4
	v_and_b32_e32 v4, 3, v4
	v_cmp_ne_u32_e32 vcc_lo, 0, v6
	v_or3_b32 v1, v5, v1, v4
	v_cndmask_b32_e32 v124, 0, v1, vcc_lo
.LBB6_8463:                             ;   in Loop: Header=BB6_7994 Depth=3
	s_or_b32 exec_lo, exec_lo, s73
.LBB6_8464:                             ;   in Loop: Header=BB6_7994 Depth=3
	s_or_b32 exec_lo, exec_lo, s72
	v_cmp_gt_i16_sdwa s72, v8, v116 src0_sel:BYTE_1 src1_sel:DWORD
	s_mov_b32 s16, 0
	s_and_saveexec_b32 s73, s72
	s_xor_b32 s72, exec_lo, s73
	s_cbranch_execz .LBB6_10242
; %bb.8465:                             ;   in Loop: Header=BB6_7994 Depth=3
	v_cmp_eq_u16_sdwa s74, v8, v117 src0_sel:BYTE_1 src1_sel:DWORD
	s_mov_b32 s16, -1
	s_and_saveexec_b32 s73, s74
; %bb.8466:                             ;   in Loop: Header=BB6_7994 Depth=3
	s_xor_b32 s16, exec_lo, -1
; %bb.8467:                             ;   in Loop: Header=BB6_7994 Depth=3
	s_or_b32 exec_lo, exec_lo, s73
	s_and_b32 s16, s16, exec_lo
	s_or_saveexec_b32 s72, s72
	v_mov_b32_e32 v1, 0x7f800001
	s_xor_b32 exec_lo, exec_lo, s72
	s_cbranch_execnz .LBB6_10243
.LBB6_8468:                             ;   in Loop: Header=BB6_7994 Depth=3
	s_or_b32 exec_lo, exec_lo, s72
	s_and_saveexec_b32 s72, s16
	s_cbranch_execz .LBB6_8470
.LBB6_8469:                             ;   in Loop: Header=BB6_7994 Depth=3
	v_and_b32_sdwa v1, v118, v8 dst_sel:DWORD dst_unused:UNUSED_PAD src0_sel:DWORD src1_sel:BYTE_1
	v_and_b32_e32 v4, 3, v1
	v_bfe_u32 v7, v1, 2, 5
	v_ffbh_u32_e32 v5, v4
	v_cmp_eq_u32_e32 vcc_lo, 0, v7
	v_min_u32_e32 v5, 32, v5
	v_subrev_nc_u32_e32 v6, 29, v5
	v_sub_nc_u32_e32 v5, 30, v5
	v_lshlrev_b32_e32 v1, v6, v1
	v_lshlrev_b32_sdwa v6, v119, v8 dst_sel:DWORD dst_unused:UNUSED_PAD src0_sel:DWORD src1_sel:BYTE_1
	v_cndmask_b32_e32 v5, v7, v5, vcc_lo
	v_and_b32_e32 v1, 3, v1
	v_lshl_add_u32 v5, v5, 23, 0x37800000
	v_cndmask_b32_e32 v1, v4, v1, vcc_lo
	v_and_b32_e32 v4, 0x80000000, v6
	v_lshlrev_b32_e32 v1, 21, v1
	v_or3_b32 v1, v4, v5, v1
.LBB6_8470:                             ;   in Loop: Header=BB6_7994 Depth=3
	s_or_b32 exec_lo, exec_lo, s72
	v_mul_f32_e32 v1, s23, v1
	v_mov_b32_e32 v88, 0x8000
	s_mov_b32 s72, exec_lo
	v_and_b32_e32 v4, 0x7f800000, v1
	v_cmpx_ne_u32_e32 0x7f800000, v4
	s_cbranch_execz .LBB6_8478
; %bb.8471:                             ;   in Loop: Header=BB6_7994 Depth=3
	v_mov_b32_e32 v88, 0
	s_mov_b32 s73, exec_lo
	v_cmpx_ne_u32_e32 0, v1
	s_cbranch_execz .LBB6_8477
; %bb.8472:                             ;   in Loop: Header=BB6_7994 Depth=3
	v_bfe_u32 v5, v1, 23, 8
	v_and_b32_e32 v4, 0x7fffff, v1
	v_cmp_gt_u32_e64 s16, 0x71, v5
	v_sub_nc_u32_e32 v6, 0x70, v5
	v_cmp_eq_u32_e32 vcc_lo, 0, v5
	v_or_b32_e32 v7, 0x800000, v4
	v_cndmask_b32_e64 v6, 0, v6, s16
	v_cndmask_b32_e32 v4, v7, v4, vcc_lo
	v_cndmask_b32_e64 v6, v6, 0x6f, vcc_lo
	v_lshl_add_u32 v7, 0x200000, v6, -1
	v_lshlrev_b32_e64 v14, v6, 0x100000
	v_and_b32_e32 v7, v7, v4
	v_cmp_eq_u32_e64 s16, v7, v14
	v_lshrrev_b32_e32 v7, v6, v4
	v_add_nc_u32_e32 v4, 0xffffff91, v5
	v_lshrrev_b32_e32 v5, 23, v7
	v_cndmask_b32_e64 v4, v4, 0xffffff92, vcc_lo
	v_xor_b32_e32 v5, 1, v5
	v_add_nc_u32_e32 v4, v6, v4
	v_bfe_u32 v6, v7, 21, 1
	v_add_nc_u32_e32 v6, -1, v6
	v_cndmask_b32_e64 v6, 0, v6, s16
	s_mov_b32 s16, exec_lo
	v_add_nc_u32_e32 v6, v6, v7
	v_and_b32_e32 v6, 0x1fffff, v6
	v_add_nc_u32_e32 v6, v6, v7
                                        ; implicit-def: $vgpr7
	v_cmpx_ne_u32_e64 v4, v5
	s_xor_b32 s16, exec_lo, s16
; %bb.8473:                             ;   in Loop: Header=BB6_7994 Depth=3
	v_cmp_lt_u32_e32 vcc_lo, 0xffffff, v6
	v_sub_nc_u32_e32 v4, v4, v5
	v_cndmask_b32_e64 v5, 0, 1, vcc_lo
	v_add_co_ci_u32_e64 v7, null, 0, v4, vcc_lo
	v_lshrrev_b32_e32 v6, v5, v6
; %bb.8474:                             ;   in Loop: Header=BB6_7994 Depth=3
	s_andn2_saveexec_b32 s16, s16
; %bb.8475:                             ;   in Loop: Header=BB6_7994 Depth=3
	v_bfe_u32 v7, v6, 23, 1
; %bb.8476:                             ;   in Loop: Header=BB6_7994 Depth=3
	s_or_b32 exec_lo, exec_lo, s16
	v_lshrrev_b32_e32 v4, 21, v6
	v_min_i32_e32 v5, 31, v7
	v_cmp_gt_i32_e32 vcc_lo, 32, v7
	v_and_b32_sdwa v1, v1, v117 dst_sel:DWORD dst_unused:UNUSED_PAD src0_sel:BYTE_3 src1_sel:DWORD
	v_lshlrev_b32_e32 v5, 2, v5
	v_cndmask_b32_e32 v4, 3, v4, vcc_lo
	v_and_b32_e32 v5, 0xfc, v5
	v_or_b32_e32 v6, v7, v4
	v_and_b32_e32 v4, 3, v4
	v_cmp_ne_u32_e32 vcc_lo, 0, v6
	v_or3_b32 v1, v1, v5, v4
	v_lshlrev_b32_e32 v1, 8, v1
	v_cndmask_b32_e32 v88, 0, v1, vcc_lo
.LBB6_8477:                             ;   in Loop: Header=BB6_7994 Depth=3
	s_or_b32 exec_lo, exec_lo, s73
.LBB6_8478:                             ;   in Loop: Header=BB6_7994 Depth=3
	s_or_b32 exec_lo, exec_lo, s72
	v_and_b32_sdwa v4, v8, v40 dst_sel:DWORD dst_unused:UNUSED_PAD src0_sel:WORD_1 src1_sel:DWORD
	s_mov_b32 s72, 0
	s_mov_b32 s16, exec_lo
	v_cmpx_lt_i16_e32 0x7f, v4
	s_xor_b32 s16, exec_lo, s16
	s_cbranch_execz .LBB6_10244
; %bb.8479:                             ;   in Loop: Header=BB6_7994 Depth=3
	s_mov_b32 s72, -1
	s_mov_b32 s73, exec_lo
	v_cmpx_eq_u16_e32 0x80, v4
; %bb.8480:                             ;   in Loop: Header=BB6_7994 Depth=3
	s_xor_b32 s72, exec_lo, -1
; %bb.8481:                             ;   in Loop: Header=BB6_7994 Depth=3
	s_or_b32 exec_lo, exec_lo, s73
	s_and_b32 s72, s72, exec_lo
                                        ; implicit-def: $vgpr4
	s_or_saveexec_b32 s16, s16
	v_mov_b32_e32 v1, 0x7f800001
	s_xor_b32 exec_lo, exec_lo, s16
	s_cbranch_execnz .LBB6_10245
.LBB6_8482:                             ;   in Loop: Header=BB6_7994 Depth=3
	s_or_b32 exec_lo, exec_lo, s16
	s_and_saveexec_b32 s16, s72
	s_cbranch_execz .LBB6_8484
.LBB6_8483:                             ;   in Loop: Header=BB6_7994 Depth=3
	v_bfe_u32 v1, v8, 16, 2
	v_bfe_u32 v4, v8, 18, 5
	v_ffbh_u32_e32 v5, v1
	v_cmp_eq_u32_e32 vcc_lo, 0, v4
	v_min_u32_e32 v5, 32, v5
	v_subrev_nc_u32_e32 v6, 29, v5
	v_sub_nc_u32_e32 v5, 30, v5
	v_lshlrev_b32_sdwa v6, v6, v8 dst_sel:DWORD dst_unused:UNUSED_PAD src0_sel:DWORD src1_sel:WORD_1
	v_cndmask_b32_e32 v4, v4, v5, vcc_lo
	v_lshlrev_b32_e32 v5, 8, v8
	v_and_b32_e32 v6, 3, v6
	v_lshl_add_u32 v4, v4, 23, 0x37800000
	v_and_b32_e32 v5, 0x80000000, v5
	v_cndmask_b32_e32 v1, v1, v6, vcc_lo
	v_lshlrev_b32_e32 v1, 21, v1
	v_or3_b32 v1, v5, v4, v1
.LBB6_8484:                             ;   in Loop: Header=BB6_7994 Depth=3
	s_or_b32 exec_lo, exec_lo, s16
	v_mul_f32_e32 v1, s23, v1
	v_mov_b32_e32 v123, 0x80
	s_mov_b32 s72, exec_lo
	v_and_b32_e32 v4, 0x7f800000, v1
	v_cmpx_ne_u32_e32 0x7f800000, v4
	s_cbranch_execz .LBB6_8492
; %bb.8485:                             ;   in Loop: Header=BB6_7994 Depth=3
	v_mov_b32_e32 v123, 0
	s_mov_b32 s73, exec_lo
	v_cmpx_ne_u32_e32 0, v1
	s_cbranch_execz .LBB6_8491
; %bb.8486:                             ;   in Loop: Header=BB6_7994 Depth=3
	v_bfe_u32 v5, v1, 23, 8
	v_and_b32_e32 v4, 0x7fffff, v1
	v_cmp_gt_u32_e64 s16, 0x71, v5
	v_sub_nc_u32_e32 v6, 0x70, v5
	v_cmp_eq_u32_e32 vcc_lo, 0, v5
	v_or_b32_e32 v7, 0x800000, v4
	v_cndmask_b32_e64 v6, 0, v6, s16
	v_cndmask_b32_e32 v4, v7, v4, vcc_lo
	v_cndmask_b32_e64 v6, v6, 0x6f, vcc_lo
	v_lshl_add_u32 v7, 0x200000, v6, -1
	v_lshlrev_b32_e64 v14, v6, 0x100000
	v_and_b32_e32 v7, v7, v4
	v_cmp_eq_u32_e64 s16, v7, v14
	v_lshrrev_b32_e32 v7, v6, v4
	v_add_nc_u32_e32 v4, 0xffffff91, v5
	v_lshrrev_b32_e32 v5, 23, v7
	v_cndmask_b32_e64 v4, v4, 0xffffff92, vcc_lo
	v_xor_b32_e32 v5, 1, v5
	v_add_nc_u32_e32 v4, v6, v4
	v_bfe_u32 v6, v7, 21, 1
	v_add_nc_u32_e32 v6, -1, v6
	v_cndmask_b32_e64 v6, 0, v6, s16
	s_mov_b32 s16, exec_lo
	v_add_nc_u32_e32 v6, v6, v7
	v_and_b32_e32 v6, 0x1fffff, v6
	v_add_nc_u32_e32 v6, v6, v7
                                        ; implicit-def: $vgpr7
	v_cmpx_ne_u32_e64 v4, v5
	s_xor_b32 s16, exec_lo, s16
; %bb.8487:                             ;   in Loop: Header=BB6_7994 Depth=3
	v_cmp_lt_u32_e32 vcc_lo, 0xffffff, v6
	v_sub_nc_u32_e32 v4, v4, v5
	v_cndmask_b32_e64 v5, 0, 1, vcc_lo
	v_add_co_ci_u32_e64 v7, null, 0, v4, vcc_lo
	v_lshrrev_b32_e32 v6, v5, v6
; %bb.8488:                             ;   in Loop: Header=BB6_7994 Depth=3
	s_andn2_saveexec_b32 s16, s16
; %bb.8489:                             ;   in Loop: Header=BB6_7994 Depth=3
	v_bfe_u32 v7, v6, 23, 1
; %bb.8490:                             ;   in Loop: Header=BB6_7994 Depth=3
	s_or_b32 exec_lo, exec_lo, s16
	v_lshrrev_b32_e32 v4, 21, v6
	v_min_i32_e32 v5, 31, v7
	v_cmp_gt_i32_e32 vcc_lo, 32, v7
	v_and_b32_sdwa v1, v1, v117 dst_sel:DWORD dst_unused:UNUSED_PAD src0_sel:BYTE_3 src1_sel:DWORD
	v_lshlrev_b32_e32 v5, 2, v5
	v_cndmask_b32_e32 v4, 3, v4, vcc_lo
	v_and_b32_e32 v5, 0xfc, v5
	v_or_b32_e32 v6, v7, v4
	v_and_b32_e32 v4, 3, v4
	v_cmp_ne_u32_e32 vcc_lo, 0, v6
	v_or3_b32 v1, v5, v1, v4
	v_cndmask_b32_e32 v123, 0, v1, vcc_lo
.LBB6_8491:                             ;   in Loop: Header=BB6_7994 Depth=3
	s_or_b32 exec_lo, exec_lo, s73
.LBB6_8492:                             ;   in Loop: Header=BB6_7994 Depth=3
	s_or_b32 exec_lo, exec_lo, s72
	v_cmp_gt_i16_sdwa s72, v8, v116 src0_sel:BYTE_3 src1_sel:DWORD
	s_mov_b32 s16, 0
	s_and_saveexec_b32 s73, s72
	s_xor_b32 s72, exec_lo, s73
	s_cbranch_execz .LBB6_10246
; %bb.8493:                             ;   in Loop: Header=BB6_7994 Depth=3
	v_cmp_eq_u16_sdwa s74, v8, v117 src0_sel:BYTE_3 src1_sel:DWORD
	s_mov_b32 s16, -1
	s_and_saveexec_b32 s73, s74
; %bb.8494:                             ;   in Loop: Header=BB6_7994 Depth=3
	s_xor_b32 s16, exec_lo, -1
; %bb.8495:                             ;   in Loop: Header=BB6_7994 Depth=3
	s_or_b32 exec_lo, exec_lo, s73
	s_and_b32 s16, s16, exec_lo
	s_or_saveexec_b32 s72, s72
	v_mov_b32_e32 v1, 0x7f800001
	s_xor_b32 exec_lo, exec_lo, s72
	s_cbranch_execnz .LBB6_10247
.LBB6_8496:                             ;   in Loop: Header=BB6_7994 Depth=3
	s_or_b32 exec_lo, exec_lo, s72
	s_and_saveexec_b32 s72, s16
	s_cbranch_execz .LBB6_8498
.LBB6_8497:                             ;   in Loop: Header=BB6_7994 Depth=3
	v_bfe_u32 v1, v8, 24, 2
	v_bfe_u32 v6, v8, 26, 5
	v_ffbh_u32_e32 v4, v1
	v_cmp_eq_u32_e32 vcc_lo, 0, v6
	v_min_u32_e32 v4, 32, v4
	v_subrev_nc_u32_e32 v5, 29, v4
	v_sub_nc_u32_e32 v4, 30, v4
	v_lshlrev_b32_sdwa v5, v5, v8 dst_sel:DWORD dst_unused:UNUSED_PAD src0_sel:DWORD src1_sel:BYTE_3
	v_cndmask_b32_e32 v4, v6, v4, vcc_lo
	v_and_b32_e32 v5, 3, v5
	v_lshl_add_u32 v4, v4, 23, 0x37800000
	v_cndmask_b32_e32 v1, v1, v5, vcc_lo
	v_and_b32_e32 v5, 0x80000000, v8
	v_lshlrev_b32_e32 v1, 21, v1
	v_or3_b32 v1, v5, v4, v1
.LBB6_8498:                             ;   in Loop: Header=BB6_7994 Depth=3
	s_or_b32 exec_lo, exec_lo, s72
	v_mul_f32_e32 v1, s23, v1
	v_mov_b32_e32 v126, 0x8000
	s_mov_b32 s72, exec_lo
	v_and_b32_e32 v4, 0x7f800000, v1
	v_cmpx_ne_u32_e32 0x7f800000, v4
	s_cbranch_execz .LBB6_8506
; %bb.8499:                             ;   in Loop: Header=BB6_7994 Depth=3
	v_mov_b32_e32 v126, 0
	s_mov_b32 s73, exec_lo
	v_cmpx_ne_u32_e32 0, v1
	s_cbranch_execz .LBB6_8505
; %bb.8500:                             ;   in Loop: Header=BB6_7994 Depth=3
	v_bfe_u32 v5, v1, 23, 8
	v_and_b32_e32 v4, 0x7fffff, v1
	v_cmp_gt_u32_e64 s16, 0x71, v5
	v_sub_nc_u32_e32 v6, 0x70, v5
	v_cmp_eq_u32_e32 vcc_lo, 0, v5
	v_or_b32_e32 v7, 0x800000, v4
	v_cndmask_b32_e64 v6, 0, v6, s16
	v_cndmask_b32_e32 v4, v7, v4, vcc_lo
	v_cndmask_b32_e64 v6, v6, 0x6f, vcc_lo
	v_lshl_add_u32 v7, 0x200000, v6, -1
	v_lshlrev_b32_e64 v8, v6, 0x100000
	v_and_b32_e32 v7, v7, v4
	v_cmp_eq_u32_e64 s16, v7, v8
	v_lshrrev_b32_e32 v7, v6, v4
	v_add_nc_u32_e32 v4, 0xffffff91, v5
	v_lshrrev_b32_e32 v5, 23, v7
	v_cndmask_b32_e64 v4, v4, 0xffffff92, vcc_lo
	v_xor_b32_e32 v5, 1, v5
	v_add_nc_u32_e32 v4, v6, v4
	v_bfe_u32 v6, v7, 21, 1
	v_add_nc_u32_e32 v6, -1, v6
	v_cndmask_b32_e64 v6, 0, v6, s16
	s_mov_b32 s16, exec_lo
	v_add_nc_u32_e32 v6, v6, v7
	v_and_b32_e32 v6, 0x1fffff, v6
	v_add_nc_u32_e32 v6, v6, v7
                                        ; implicit-def: $vgpr7
	v_cmpx_ne_u32_e64 v4, v5
	s_xor_b32 s16, exec_lo, s16
; %bb.8501:                             ;   in Loop: Header=BB6_7994 Depth=3
	v_cmp_lt_u32_e32 vcc_lo, 0xffffff, v6
	v_sub_nc_u32_e32 v4, v4, v5
	v_cndmask_b32_e64 v5, 0, 1, vcc_lo
	v_add_co_ci_u32_e64 v7, null, 0, v4, vcc_lo
	v_lshrrev_b32_e32 v6, v5, v6
; %bb.8502:                             ;   in Loop: Header=BB6_7994 Depth=3
	s_andn2_saveexec_b32 s16, s16
; %bb.8503:                             ;   in Loop: Header=BB6_7994 Depth=3
	v_bfe_u32 v7, v6, 23, 1
; %bb.8504:                             ;   in Loop: Header=BB6_7994 Depth=3
	s_or_b32 exec_lo, exec_lo, s16
	v_lshrrev_b32_e32 v4, 21, v6
	v_min_i32_e32 v5, 31, v7
	v_cmp_gt_i32_e32 vcc_lo, 32, v7
	v_and_b32_sdwa v1, v1, v117 dst_sel:DWORD dst_unused:UNUSED_PAD src0_sel:BYTE_3 src1_sel:DWORD
	v_lshlrev_b32_e32 v5, 2, v5
	v_cndmask_b32_e32 v4, 3, v4, vcc_lo
	v_and_b32_e32 v5, 0xfc, v5
	v_or_b32_e32 v6, v7, v4
	v_and_b32_e32 v4, 3, v4
	v_cmp_ne_u32_e32 vcc_lo, 0, v6
	v_or3_b32 v1, v1, v5, v4
	v_lshlrev_b32_e32 v1, 8, v1
	v_cndmask_b32_e32 v126, 0, v1, vcc_lo
.LBB6_8505:                             ;   in Loop: Header=BB6_7994 Depth=3
	s_or_b32 exec_lo, exec_lo, s73
.LBB6_8506:                             ;   in Loop: Header=BB6_7994 Depth=3
	s_or_b32 exec_lo, exec_lo, s72
	v_cmp_gt_i16_sdwa s16, v9, v116 src0_sel:BYTE_0 src1_sel:DWORD
	s_mov_b32 s72, 0
	s_and_saveexec_b32 s73, s16
	s_xor_b32 s16, exec_lo, s73
	s_cbranch_execz .LBB6_10248
; %bb.8507:                             ;   in Loop: Header=BB6_7994 Depth=3
	v_cmp_eq_u16_sdwa s74, v9, v117 src0_sel:BYTE_0 src1_sel:DWORD
	s_mov_b32 s72, -1
	s_and_saveexec_b32 s73, s74
; %bb.8508:                             ;   in Loop: Header=BB6_7994 Depth=3
	s_xor_b32 s72, exec_lo, -1
; %bb.8509:                             ;   in Loop: Header=BB6_7994 Depth=3
	s_or_b32 exec_lo, exec_lo, s73
	s_and_b32 s72, s72, exec_lo
	s_or_saveexec_b32 s16, s16
	v_mov_b32_e32 v1, 0x7f800001
	s_xor_b32 exec_lo, exec_lo, s16
	s_cbranch_execnz .LBB6_10249
.LBB6_8510:                             ;   in Loop: Header=BB6_7994 Depth=3
	s_or_b32 exec_lo, exec_lo, s16
	s_and_saveexec_b32 s16, s72
	s_cbranch_execz .LBB6_8512
.LBB6_8511:                             ;   in Loop: Header=BB6_7994 Depth=3
	v_and_b32_e32 v1, 3, v9
	v_bfe_u32 v4, v9, 2, 5
	v_ffbh_u32_e32 v5, v1
	v_cmp_eq_u32_e32 vcc_lo, 0, v4
	v_min_u32_e32 v5, 32, v5
	v_subrev_nc_u32_e32 v6, 29, v5
	v_sub_nc_u32_e32 v5, 30, v5
	v_lshlrev_b32_e32 v6, v6, v9
	v_cndmask_b32_e32 v4, v4, v5, vcc_lo
	v_lshlrev_b32_e32 v5, 24, v9
	v_and_b32_e32 v6, 3, v6
	v_lshl_add_u32 v4, v4, 23, 0x37800000
	v_and_b32_e32 v5, 0x80000000, v5
	v_cndmask_b32_e32 v1, v1, v6, vcc_lo
	v_lshlrev_b32_e32 v1, 21, v1
	v_or3_b32 v1, v5, v4, v1
.LBB6_8512:                             ;   in Loop: Header=BB6_7994 Depth=3
	s_or_b32 exec_lo, exec_lo, s16
	v_mul_f32_e32 v1, s23, v1
	v_mov_b32_e32 v31, 0x80
	s_mov_b32 s72, exec_lo
	v_and_b32_e32 v4, 0x7f800000, v1
	v_cmpx_ne_u32_e32 0x7f800000, v4
	s_cbranch_execz .LBB6_8520
; %bb.8513:                             ;   in Loop: Header=BB6_7994 Depth=3
	v_mov_b32_e32 v31, 0
	s_mov_b32 s73, exec_lo
	v_cmpx_ne_u32_e32 0, v1
	s_cbranch_execz .LBB6_8519
; %bb.8514:                             ;   in Loop: Header=BB6_7994 Depth=3
	v_bfe_u32 v5, v1, 23, 8
	v_and_b32_e32 v4, 0x7fffff, v1
	v_cmp_gt_u32_e64 s16, 0x71, v5
	v_sub_nc_u32_e32 v6, 0x70, v5
	v_cmp_eq_u32_e32 vcc_lo, 0, v5
	v_or_b32_e32 v7, 0x800000, v4
	v_cndmask_b32_e64 v6, 0, v6, s16
	v_cndmask_b32_e32 v4, v7, v4, vcc_lo
	v_cndmask_b32_e64 v6, v6, 0x6f, vcc_lo
	v_lshl_add_u32 v7, 0x200000, v6, -1
	v_lshlrev_b32_e64 v8, v6, 0x100000
	v_and_b32_e32 v7, v7, v4
	v_cmp_eq_u32_e64 s16, v7, v8
	v_lshrrev_b32_e32 v7, v6, v4
	v_add_nc_u32_e32 v4, 0xffffff91, v5
	v_lshrrev_b32_e32 v5, 23, v7
	v_cndmask_b32_e64 v4, v4, 0xffffff92, vcc_lo
	v_xor_b32_e32 v5, 1, v5
	v_add_nc_u32_e32 v4, v6, v4
	v_bfe_u32 v6, v7, 21, 1
	v_add_nc_u32_e32 v6, -1, v6
	v_cndmask_b32_e64 v6, 0, v6, s16
	s_mov_b32 s16, exec_lo
	v_add_nc_u32_e32 v6, v6, v7
	v_and_b32_e32 v6, 0x1fffff, v6
	v_add_nc_u32_e32 v6, v6, v7
                                        ; implicit-def: $vgpr7
	v_cmpx_ne_u32_e64 v4, v5
	s_xor_b32 s16, exec_lo, s16
; %bb.8515:                             ;   in Loop: Header=BB6_7994 Depth=3
	v_cmp_lt_u32_e32 vcc_lo, 0xffffff, v6
	v_sub_nc_u32_e32 v4, v4, v5
	v_cndmask_b32_e64 v5, 0, 1, vcc_lo
	v_add_co_ci_u32_e64 v7, null, 0, v4, vcc_lo
	v_lshrrev_b32_e32 v6, v5, v6
; %bb.8516:                             ;   in Loop: Header=BB6_7994 Depth=3
	s_andn2_saveexec_b32 s16, s16
; %bb.8517:                             ;   in Loop: Header=BB6_7994 Depth=3
	v_bfe_u32 v7, v6, 23, 1
; %bb.8518:                             ;   in Loop: Header=BB6_7994 Depth=3
	s_or_b32 exec_lo, exec_lo, s16
	v_lshrrev_b32_e32 v4, 21, v6
	v_min_i32_e32 v5, 31, v7
	v_cmp_gt_i32_e32 vcc_lo, 32, v7
	v_and_b32_sdwa v1, v1, v117 dst_sel:DWORD dst_unused:UNUSED_PAD src0_sel:BYTE_3 src1_sel:DWORD
	v_lshlrev_b32_e32 v5, 2, v5
	v_cndmask_b32_e32 v4, 3, v4, vcc_lo
	v_and_b32_e32 v5, 0xfc, v5
	v_or_b32_e32 v6, v7, v4
	v_and_b32_e32 v4, 3, v4
	v_cmp_ne_u32_e32 vcc_lo, 0, v6
	v_or3_b32 v1, v5, v1, v4
	v_cndmask_b32_e32 v31, 0, v1, vcc_lo
.LBB6_8519:                             ;   in Loop: Header=BB6_7994 Depth=3
	s_or_b32 exec_lo, exec_lo, s73
.LBB6_8520:                             ;   in Loop: Header=BB6_7994 Depth=3
	s_or_b32 exec_lo, exec_lo, s72
	v_cmp_gt_i16_sdwa s72, v9, v116 src0_sel:BYTE_1 src1_sel:DWORD
	s_mov_b32 s16, 0
	s_and_saveexec_b32 s73, s72
	s_xor_b32 s72, exec_lo, s73
	s_cbranch_execz .LBB6_10250
; %bb.8521:                             ;   in Loop: Header=BB6_7994 Depth=3
	v_cmp_eq_u16_sdwa s74, v9, v117 src0_sel:BYTE_1 src1_sel:DWORD
	s_mov_b32 s16, -1
	s_and_saveexec_b32 s73, s74
; %bb.8522:                             ;   in Loop: Header=BB6_7994 Depth=3
	s_xor_b32 s16, exec_lo, -1
; %bb.8523:                             ;   in Loop: Header=BB6_7994 Depth=3
	s_or_b32 exec_lo, exec_lo, s73
	s_and_b32 s16, s16, exec_lo
	s_or_saveexec_b32 s72, s72
	v_mov_b32_e32 v1, 0x7f800001
	s_xor_b32 exec_lo, exec_lo, s72
	s_cbranch_execnz .LBB6_10251
.LBB6_8524:                             ;   in Loop: Header=BB6_7994 Depth=3
	s_or_b32 exec_lo, exec_lo, s72
	s_and_saveexec_b32 s72, s16
	s_cbranch_execz .LBB6_8526
.LBB6_8525:                             ;   in Loop: Header=BB6_7994 Depth=3
	v_and_b32_sdwa v1, v118, v9 dst_sel:DWORD dst_unused:UNUSED_PAD src0_sel:DWORD src1_sel:BYTE_1
	v_and_b32_e32 v4, 3, v1
	v_bfe_u32 v7, v1, 2, 5
	v_ffbh_u32_e32 v5, v4
	v_cmp_eq_u32_e32 vcc_lo, 0, v7
	v_min_u32_e32 v5, 32, v5
	v_subrev_nc_u32_e32 v6, 29, v5
	v_sub_nc_u32_e32 v5, 30, v5
	v_lshlrev_b32_e32 v1, v6, v1
	v_lshlrev_b32_sdwa v6, v119, v9 dst_sel:DWORD dst_unused:UNUSED_PAD src0_sel:DWORD src1_sel:BYTE_1
	v_cndmask_b32_e32 v5, v7, v5, vcc_lo
	v_and_b32_e32 v1, 3, v1
	v_lshl_add_u32 v5, v5, 23, 0x37800000
	v_cndmask_b32_e32 v1, v4, v1, vcc_lo
	v_and_b32_e32 v4, 0x80000000, v6
	v_lshlrev_b32_e32 v1, 21, v1
	v_or3_b32 v1, v4, v5, v1
.LBB6_8526:                             ;   in Loop: Header=BB6_7994 Depth=3
	s_or_b32 exec_lo, exec_lo, s72
	v_mul_f32_e32 v4, s23, v1
	v_and_b32_e32 v1, 0x7f800000, v4
	v_cmp_ne_u32_e32 vcc_lo, 0x7f800000, v1
	v_mov_b32_e32 v1, 0x8000
	s_and_saveexec_b32 s72, vcc_lo
	s_cbranch_execz .LBB6_8534
; %bb.8527:                             ;   in Loop: Header=BB6_7994 Depth=3
	v_mov_b32_e32 v1, 0
	s_mov_b32 s73, exec_lo
	v_cmpx_ne_u32_e32 0, v4
	s_cbranch_execz .LBB6_8533
; %bb.8528:                             ;   in Loop: Header=BB6_7994 Depth=3
	v_bfe_u32 v5, v4, 23, 8
	v_and_b32_e32 v1, 0x7fffff, v4
	v_cmp_gt_u32_e64 s16, 0x71, v5
	v_sub_nc_u32_e32 v6, 0x70, v5
	v_cmp_eq_u32_e32 vcc_lo, 0, v5
	v_or_b32_e32 v7, 0x800000, v1
	v_cndmask_b32_e64 v6, 0, v6, s16
	v_cndmask_b32_e32 v1, v7, v1, vcc_lo
	v_cndmask_b32_e64 v6, v6, 0x6f, vcc_lo
	v_lshl_add_u32 v7, 0x200000, v6, -1
	v_lshlrev_b32_e64 v8, v6, 0x100000
	v_and_b32_e32 v7, v7, v1
	v_cmp_eq_u32_e64 s16, v7, v8
	v_lshrrev_b32_e32 v7, v6, v1
	v_add_nc_u32_e32 v1, 0xffffff91, v5
	v_lshrrev_b32_e32 v5, 23, v7
	v_cndmask_b32_e64 v1, v1, 0xffffff92, vcc_lo
	v_xor_b32_e32 v5, 1, v5
	v_add_nc_u32_e32 v1, v6, v1
	v_bfe_u32 v6, v7, 21, 1
	v_add_nc_u32_e32 v6, -1, v6
	v_cndmask_b32_e64 v6, 0, v6, s16
	s_mov_b32 s16, exec_lo
	v_add_nc_u32_e32 v6, v6, v7
	v_and_b32_e32 v6, 0x1fffff, v6
	v_add_nc_u32_e32 v6, v6, v7
                                        ; implicit-def: $vgpr7
	v_cmpx_ne_u32_e64 v1, v5
	s_xor_b32 s16, exec_lo, s16
; %bb.8529:                             ;   in Loop: Header=BB6_7994 Depth=3
	v_cmp_lt_u32_e32 vcc_lo, 0xffffff, v6
	v_sub_nc_u32_e32 v1, v1, v5
	v_cndmask_b32_e64 v5, 0, 1, vcc_lo
	v_add_co_ci_u32_e64 v7, null, 0, v1, vcc_lo
	v_lshrrev_b32_e32 v6, v5, v6
; %bb.8530:                             ;   in Loop: Header=BB6_7994 Depth=3
	s_andn2_saveexec_b32 s16, s16
; %bb.8531:                             ;   in Loop: Header=BB6_7994 Depth=3
	v_bfe_u32 v7, v6, 23, 1
; %bb.8532:                             ;   in Loop: Header=BB6_7994 Depth=3
	s_or_b32 exec_lo, exec_lo, s16
	v_and_b32_sdwa v1, v4, v117 dst_sel:DWORD dst_unused:UNUSED_PAD src0_sel:BYTE_3 src1_sel:DWORD
	v_lshrrev_b32_e32 v4, 21, v6
	v_min_i32_e32 v5, 31, v7
	v_cmp_gt_i32_e32 vcc_lo, 32, v7
	v_lshlrev_b32_e32 v5, 2, v5
	v_cndmask_b32_e32 v4, 3, v4, vcc_lo
	v_and_b32_e32 v5, 0xfc, v5
	v_or_b32_e32 v6, v7, v4
	v_and_b32_e32 v4, 3, v4
	v_cmp_ne_u32_e32 vcc_lo, 0, v6
	v_or3_b32 v1, v1, v5, v4
	v_lshlrev_b32_e32 v1, 8, v1
	v_cndmask_b32_e32 v1, 0, v1, vcc_lo
.LBB6_8533:                             ;   in Loop: Header=BB6_7994 Depth=3
	s_or_b32 exec_lo, exec_lo, s73
.LBB6_8534:                             ;   in Loop: Header=BB6_7994 Depth=3
	s_or_b32 exec_lo, exec_lo, s72
	v_and_b32_sdwa v5, v9, v40 dst_sel:DWORD dst_unused:UNUSED_PAD src0_sel:WORD_1 src1_sel:DWORD
	s_mov_b32 s72, 0
	s_mov_b32 s16, exec_lo
	v_cmpx_lt_i16_e32 0x7f, v5
	s_xor_b32 s16, exec_lo, s16
	s_cbranch_execz .LBB6_10252
; %bb.8535:                             ;   in Loop: Header=BB6_7994 Depth=3
	s_mov_b32 s72, -1
	s_mov_b32 s73, exec_lo
	v_cmpx_eq_u16_e32 0x80, v5
; %bb.8536:                             ;   in Loop: Header=BB6_7994 Depth=3
	s_xor_b32 s72, exec_lo, -1
; %bb.8537:                             ;   in Loop: Header=BB6_7994 Depth=3
	s_or_b32 exec_lo, exec_lo, s73
	s_and_b32 s72, s72, exec_lo
                                        ; implicit-def: $vgpr5
	s_or_saveexec_b32 s16, s16
	v_mov_b32_e32 v4, 0x7f800001
	s_xor_b32 exec_lo, exec_lo, s16
	s_cbranch_execnz .LBB6_10253
.LBB6_8538:                             ;   in Loop: Header=BB6_7994 Depth=3
	s_or_b32 exec_lo, exec_lo, s16
	s_and_saveexec_b32 s16, s72
	s_cbranch_execz .LBB6_8540
.LBB6_8539:                             ;   in Loop: Header=BB6_7994 Depth=3
	v_bfe_u32 v4, v9, 16, 2
	v_bfe_u32 v5, v9, 18, 5
	v_ffbh_u32_e32 v6, v4
	v_cmp_eq_u32_e32 vcc_lo, 0, v5
	v_min_u32_e32 v6, 32, v6
	v_subrev_nc_u32_e32 v7, 29, v6
	v_sub_nc_u32_e32 v6, 30, v6
	v_lshlrev_b32_sdwa v7, v7, v9 dst_sel:DWORD dst_unused:UNUSED_PAD src0_sel:DWORD src1_sel:WORD_1
	v_cndmask_b32_e32 v5, v5, v6, vcc_lo
	v_lshlrev_b32_e32 v6, 8, v9
	v_and_b32_e32 v7, 3, v7
	v_lshl_add_u32 v5, v5, 23, 0x37800000
	v_and_b32_e32 v6, 0x80000000, v6
	v_cndmask_b32_e32 v4, v4, v7, vcc_lo
	v_lshlrev_b32_e32 v4, 21, v4
	v_or3_b32 v4, v6, v5, v4
.LBB6_8540:                             ;   in Loop: Header=BB6_7994 Depth=3
	s_or_b32 exec_lo, exec_lo, s16
	v_mul_f32_e32 v4, s23, v4
	v_mov_b32_e32 v120, 0x80
	s_mov_b32 s72, exec_lo
	v_and_b32_e32 v5, 0x7f800000, v4
	v_cmpx_ne_u32_e32 0x7f800000, v5
	s_cbranch_execz .LBB6_8548
; %bb.8541:                             ;   in Loop: Header=BB6_7994 Depth=3
	v_mov_b32_e32 v120, 0
	s_mov_b32 s73, exec_lo
	v_cmpx_ne_u32_e32 0, v4
	s_cbranch_execz .LBB6_8547
; %bb.8542:                             ;   in Loop: Header=BB6_7994 Depth=3
	v_bfe_u32 v6, v4, 23, 8
	v_and_b32_e32 v5, 0x7fffff, v4
	v_cmp_gt_u32_e64 s16, 0x71, v6
	v_sub_nc_u32_e32 v7, 0x70, v6
	v_cmp_eq_u32_e32 vcc_lo, 0, v6
	v_or_b32_e32 v8, 0x800000, v5
	v_cndmask_b32_e64 v7, 0, v7, s16
	v_cndmask_b32_e32 v5, v8, v5, vcc_lo
	v_cndmask_b32_e64 v7, v7, 0x6f, vcc_lo
	v_lshl_add_u32 v8, 0x200000, v7, -1
	v_lshlrev_b32_e64 v14, v7, 0x100000
	v_and_b32_e32 v8, v8, v5
	v_cmp_eq_u32_e64 s16, v8, v14
	v_lshrrev_b32_e32 v8, v7, v5
	v_add_nc_u32_e32 v5, 0xffffff91, v6
	v_lshrrev_b32_e32 v6, 23, v8
	v_cndmask_b32_e64 v5, v5, 0xffffff92, vcc_lo
	v_xor_b32_e32 v6, 1, v6
	v_add_nc_u32_e32 v5, v7, v5
	v_bfe_u32 v7, v8, 21, 1
	v_add_nc_u32_e32 v7, -1, v7
	v_cndmask_b32_e64 v7, 0, v7, s16
	s_mov_b32 s16, exec_lo
	v_add_nc_u32_e32 v7, v7, v8
	v_and_b32_e32 v7, 0x1fffff, v7
	v_add_nc_u32_e32 v7, v7, v8
                                        ; implicit-def: $vgpr8
	v_cmpx_ne_u32_e64 v5, v6
	s_xor_b32 s16, exec_lo, s16
; %bb.8543:                             ;   in Loop: Header=BB6_7994 Depth=3
	v_cmp_lt_u32_e32 vcc_lo, 0xffffff, v7
	v_sub_nc_u32_e32 v5, v5, v6
	v_cndmask_b32_e64 v6, 0, 1, vcc_lo
	v_add_co_ci_u32_e64 v8, null, 0, v5, vcc_lo
	v_lshrrev_b32_e32 v7, v6, v7
; %bb.8544:                             ;   in Loop: Header=BB6_7994 Depth=3
	s_andn2_saveexec_b32 s16, s16
; %bb.8545:                             ;   in Loop: Header=BB6_7994 Depth=3
	v_bfe_u32 v8, v7, 23, 1
; %bb.8546:                             ;   in Loop: Header=BB6_7994 Depth=3
	s_or_b32 exec_lo, exec_lo, s16
	v_lshrrev_b32_e32 v5, 21, v7
	v_min_i32_e32 v6, 31, v8
	v_cmp_gt_i32_e32 vcc_lo, 32, v8
	v_and_b32_sdwa v4, v4, v117 dst_sel:DWORD dst_unused:UNUSED_PAD src0_sel:BYTE_3 src1_sel:DWORD
	v_lshlrev_b32_e32 v6, 2, v6
	v_cndmask_b32_e32 v5, 3, v5, vcc_lo
	v_and_b32_e32 v6, 0xfc, v6
	v_or_b32_e32 v7, v8, v5
	v_and_b32_e32 v5, 3, v5
	v_cmp_ne_u32_e32 vcc_lo, 0, v7
	v_or3_b32 v4, v6, v4, v5
	v_cndmask_b32_e32 v120, 0, v4, vcc_lo
.LBB6_8547:                             ;   in Loop: Header=BB6_7994 Depth=3
	s_or_b32 exec_lo, exec_lo, s73
.LBB6_8548:                             ;   in Loop: Header=BB6_7994 Depth=3
	s_or_b32 exec_lo, exec_lo, s72
	v_cmp_gt_i16_sdwa s72, v9, v116 src0_sel:BYTE_3 src1_sel:DWORD
	s_mov_b32 s16, 0
	s_and_saveexec_b32 s73, s72
	s_xor_b32 s72, exec_lo, s73
	s_cbranch_execz .LBB6_10254
; %bb.8549:                             ;   in Loop: Header=BB6_7994 Depth=3
	v_cmp_eq_u16_sdwa s74, v9, v117 src0_sel:BYTE_3 src1_sel:DWORD
	s_mov_b32 s16, -1
	s_and_saveexec_b32 s73, s74
; %bb.8550:                             ;   in Loop: Header=BB6_7994 Depth=3
	s_xor_b32 s16, exec_lo, -1
; %bb.8551:                             ;   in Loop: Header=BB6_7994 Depth=3
	s_or_b32 exec_lo, exec_lo, s73
	s_and_b32 s16, s16, exec_lo
	s_or_saveexec_b32 s72, s72
	v_mov_b32_e32 v4, 0x7f800001
	s_xor_b32 exec_lo, exec_lo, s72
	s_cbranch_execnz .LBB6_10255
.LBB6_8552:                             ;   in Loop: Header=BB6_7994 Depth=3
	s_or_b32 exec_lo, exec_lo, s72
	s_and_saveexec_b32 s72, s16
	s_cbranch_execz .LBB6_8554
.LBB6_8553:                             ;   in Loop: Header=BB6_7994 Depth=3
	v_bfe_u32 v4, v9, 24, 2
	v_bfe_u32 v7, v9, 26, 5
	v_ffbh_u32_e32 v5, v4
	v_cmp_eq_u32_e32 vcc_lo, 0, v7
	v_min_u32_e32 v5, 32, v5
	v_subrev_nc_u32_e32 v6, 29, v5
	v_sub_nc_u32_e32 v5, 30, v5
	v_lshlrev_b32_sdwa v6, v6, v9 dst_sel:DWORD dst_unused:UNUSED_PAD src0_sel:DWORD src1_sel:BYTE_3
	v_cndmask_b32_e32 v5, v7, v5, vcc_lo
	v_and_b32_e32 v6, 3, v6
	v_lshl_add_u32 v5, v5, 23, 0x37800000
	v_cndmask_b32_e32 v4, v4, v6, vcc_lo
	v_and_b32_e32 v6, 0x80000000, v9
	v_lshlrev_b32_e32 v4, 21, v4
	v_or3_b32 v4, v6, v5, v4
.LBB6_8554:                             ;   in Loop: Header=BB6_7994 Depth=3
	s_or_b32 exec_lo, exec_lo, s72
	v_mul_f32_e32 v4, s23, v4
	v_mov_b32_e32 v122, 0x8000
	s_mov_b32 s72, exec_lo
	v_and_b32_e32 v5, 0x7f800000, v4
	v_cmpx_ne_u32_e32 0x7f800000, v5
	s_cbranch_execz .LBB6_8562
; %bb.8555:                             ;   in Loop: Header=BB6_7994 Depth=3
	v_mov_b32_e32 v122, 0
	s_mov_b32 s73, exec_lo
	v_cmpx_ne_u32_e32 0, v4
	s_cbranch_execz .LBB6_8561
; %bb.8556:                             ;   in Loop: Header=BB6_7994 Depth=3
	v_bfe_u32 v6, v4, 23, 8
	v_and_b32_e32 v5, 0x7fffff, v4
	v_cmp_gt_u32_e64 s16, 0x71, v6
	v_sub_nc_u32_e32 v7, 0x70, v6
	v_cmp_eq_u32_e32 vcc_lo, 0, v6
	v_or_b32_e32 v8, 0x800000, v5
	v_cndmask_b32_e64 v7, 0, v7, s16
	v_cndmask_b32_e32 v5, v8, v5, vcc_lo
	v_cndmask_b32_e64 v7, v7, 0x6f, vcc_lo
	v_lshl_add_u32 v8, 0x200000, v7, -1
	v_lshlrev_b32_e64 v9, v7, 0x100000
	v_and_b32_e32 v8, v8, v5
	v_cmp_eq_u32_e64 s16, v8, v9
	v_lshrrev_b32_e32 v8, v7, v5
	v_add_nc_u32_e32 v5, 0xffffff91, v6
	v_lshrrev_b32_e32 v6, 23, v8
	v_cndmask_b32_e64 v5, v5, 0xffffff92, vcc_lo
	v_xor_b32_e32 v6, 1, v6
	v_add_nc_u32_e32 v5, v7, v5
	v_bfe_u32 v7, v8, 21, 1
	v_add_nc_u32_e32 v7, -1, v7
	v_cndmask_b32_e64 v7, 0, v7, s16
	s_mov_b32 s16, exec_lo
	v_add_nc_u32_e32 v7, v7, v8
	v_and_b32_e32 v7, 0x1fffff, v7
	v_add_nc_u32_e32 v7, v7, v8
                                        ; implicit-def: $vgpr8
	v_cmpx_ne_u32_e64 v5, v6
	s_xor_b32 s16, exec_lo, s16
; %bb.8557:                             ;   in Loop: Header=BB6_7994 Depth=3
	v_cmp_lt_u32_e32 vcc_lo, 0xffffff, v7
	v_sub_nc_u32_e32 v5, v5, v6
	v_cndmask_b32_e64 v6, 0, 1, vcc_lo
	v_add_co_ci_u32_e64 v8, null, 0, v5, vcc_lo
	v_lshrrev_b32_e32 v7, v6, v7
; %bb.8558:                             ;   in Loop: Header=BB6_7994 Depth=3
	s_andn2_saveexec_b32 s16, s16
; %bb.8559:                             ;   in Loop: Header=BB6_7994 Depth=3
	v_bfe_u32 v8, v7, 23, 1
; %bb.8560:                             ;   in Loop: Header=BB6_7994 Depth=3
	s_or_b32 exec_lo, exec_lo, s16
	v_lshrrev_b32_e32 v5, 21, v7
	v_min_i32_e32 v6, 31, v8
	v_cmp_gt_i32_e32 vcc_lo, 32, v8
	v_and_b32_sdwa v4, v4, v117 dst_sel:DWORD dst_unused:UNUSED_PAD src0_sel:BYTE_3 src1_sel:DWORD
	v_lshlrev_b32_e32 v6, 2, v6
	v_cndmask_b32_e32 v5, 3, v5, vcc_lo
	v_and_b32_e32 v6, 0xfc, v6
	v_or_b32_e32 v7, v8, v5
	v_and_b32_e32 v5, 3, v5
	v_cmp_ne_u32_e32 vcc_lo, 0, v7
	v_or3_b32 v4, v4, v6, v5
	v_lshlrev_b32_e32 v4, 8, v4
	v_cndmask_b32_e32 v122, 0, v4, vcc_lo
.LBB6_8561:                             ;   in Loop: Header=BB6_7994 Depth=3
	s_or_b32 exec_lo, exec_lo, s73
.LBB6_8562:                             ;   in Loop: Header=BB6_7994 Depth=3
	s_or_b32 exec_lo, exec_lo, s72
	v_cmp_gt_i16_sdwa s16, v10, v116 src0_sel:BYTE_0 src1_sel:DWORD
	s_mov_b32 s72, 0
	s_and_saveexec_b32 s73, s16
	s_xor_b32 s16, exec_lo, s73
	s_cbranch_execz .LBB6_10256
; %bb.8563:                             ;   in Loop: Header=BB6_7994 Depth=3
	v_cmp_eq_u16_sdwa s74, v10, v117 src0_sel:BYTE_0 src1_sel:DWORD
	s_mov_b32 s72, -1
	s_and_saveexec_b32 s73, s74
; %bb.8564:                             ;   in Loop: Header=BB6_7994 Depth=3
	s_xor_b32 s72, exec_lo, -1
; %bb.8565:                             ;   in Loop: Header=BB6_7994 Depth=3
	s_or_b32 exec_lo, exec_lo, s73
	s_and_b32 s72, s72, exec_lo
	s_or_saveexec_b32 s16, s16
	v_mov_b32_e32 v4, 0x7f800001
	s_xor_b32 exec_lo, exec_lo, s16
	s_cbranch_execnz .LBB6_10257
.LBB6_8566:                             ;   in Loop: Header=BB6_7994 Depth=3
	s_or_b32 exec_lo, exec_lo, s16
	s_and_saveexec_b32 s16, s72
	s_cbranch_execz .LBB6_8568
.LBB6_8567:                             ;   in Loop: Header=BB6_7994 Depth=3
	v_and_b32_e32 v4, 3, v10
	v_bfe_u32 v5, v10, 2, 5
	v_ffbh_u32_e32 v6, v4
	v_cmp_eq_u32_e32 vcc_lo, 0, v5
	v_min_u32_e32 v6, 32, v6
	v_subrev_nc_u32_e32 v7, 29, v6
	v_sub_nc_u32_e32 v6, 30, v6
	v_lshlrev_b32_e32 v7, v7, v10
	v_cndmask_b32_e32 v5, v5, v6, vcc_lo
	v_lshlrev_b32_e32 v6, 24, v10
	v_and_b32_e32 v7, 3, v7
	v_lshl_add_u32 v5, v5, 23, 0x37800000
	v_and_b32_e32 v6, 0x80000000, v6
	v_cndmask_b32_e32 v4, v4, v7, vcc_lo
	v_lshlrev_b32_e32 v4, 21, v4
	v_or3_b32 v4, v6, v5, v4
.LBB6_8568:                             ;   in Loop: Header=BB6_7994 Depth=3
	s_or_b32 exec_lo, exec_lo, s16
	v_mul_f32_e32 v4, s23, v4
	v_mov_b32_e32 v110, 0x80
	s_mov_b32 s72, exec_lo
	v_and_b32_e32 v5, 0x7f800000, v4
	v_cmpx_ne_u32_e32 0x7f800000, v5
	s_cbranch_execz .LBB6_8576
; %bb.8569:                             ;   in Loop: Header=BB6_7994 Depth=3
	v_mov_b32_e32 v110, 0
	s_mov_b32 s73, exec_lo
	v_cmpx_ne_u32_e32 0, v4
	s_cbranch_execz .LBB6_8575
; %bb.8570:                             ;   in Loop: Header=BB6_7994 Depth=3
	v_bfe_u32 v6, v4, 23, 8
	v_and_b32_e32 v5, 0x7fffff, v4
	v_cmp_gt_u32_e64 s16, 0x71, v6
	v_sub_nc_u32_e32 v7, 0x70, v6
	v_cmp_eq_u32_e32 vcc_lo, 0, v6
	v_or_b32_e32 v8, 0x800000, v5
	v_cndmask_b32_e64 v7, 0, v7, s16
	v_cndmask_b32_e32 v5, v8, v5, vcc_lo
	v_cndmask_b32_e64 v7, v7, 0x6f, vcc_lo
	v_lshl_add_u32 v8, 0x200000, v7, -1
	v_lshlrev_b32_e64 v9, v7, 0x100000
	v_and_b32_e32 v8, v8, v5
	v_cmp_eq_u32_e64 s16, v8, v9
	v_lshrrev_b32_e32 v8, v7, v5
	v_add_nc_u32_e32 v5, 0xffffff91, v6
	v_lshrrev_b32_e32 v6, 23, v8
	v_cndmask_b32_e64 v5, v5, 0xffffff92, vcc_lo
	v_xor_b32_e32 v6, 1, v6
	v_add_nc_u32_e32 v5, v7, v5
	v_bfe_u32 v7, v8, 21, 1
	v_add_nc_u32_e32 v7, -1, v7
	v_cndmask_b32_e64 v7, 0, v7, s16
	s_mov_b32 s16, exec_lo
	v_add_nc_u32_e32 v7, v7, v8
	v_and_b32_e32 v7, 0x1fffff, v7
	v_add_nc_u32_e32 v7, v7, v8
                                        ; implicit-def: $vgpr8
	v_cmpx_ne_u32_e64 v5, v6
	s_xor_b32 s16, exec_lo, s16
; %bb.8571:                             ;   in Loop: Header=BB6_7994 Depth=3
	v_cmp_lt_u32_e32 vcc_lo, 0xffffff, v7
	v_sub_nc_u32_e32 v5, v5, v6
	v_cndmask_b32_e64 v6, 0, 1, vcc_lo
	v_add_co_ci_u32_e64 v8, null, 0, v5, vcc_lo
	v_lshrrev_b32_e32 v7, v6, v7
; %bb.8572:                             ;   in Loop: Header=BB6_7994 Depth=3
	s_andn2_saveexec_b32 s16, s16
; %bb.8573:                             ;   in Loop: Header=BB6_7994 Depth=3
	v_bfe_u32 v8, v7, 23, 1
; %bb.8574:                             ;   in Loop: Header=BB6_7994 Depth=3
	s_or_b32 exec_lo, exec_lo, s16
	v_lshrrev_b32_e32 v5, 21, v7
	v_min_i32_e32 v6, 31, v8
	v_cmp_gt_i32_e32 vcc_lo, 32, v8
	v_and_b32_sdwa v4, v4, v117 dst_sel:DWORD dst_unused:UNUSED_PAD src0_sel:BYTE_3 src1_sel:DWORD
	v_lshlrev_b32_e32 v6, 2, v6
	v_cndmask_b32_e32 v5, 3, v5, vcc_lo
	v_and_b32_e32 v6, 0xfc, v6
	v_or_b32_e32 v7, v8, v5
	v_and_b32_e32 v5, 3, v5
	v_cmp_ne_u32_e32 vcc_lo, 0, v7
	v_or3_b32 v4, v6, v4, v5
	v_cndmask_b32_e32 v110, 0, v4, vcc_lo
.LBB6_8575:                             ;   in Loop: Header=BB6_7994 Depth=3
	s_or_b32 exec_lo, exec_lo, s73
.LBB6_8576:                             ;   in Loop: Header=BB6_7994 Depth=3
	s_or_b32 exec_lo, exec_lo, s72
	v_cmp_gt_i16_sdwa s72, v10, v116 src0_sel:BYTE_1 src1_sel:DWORD
	s_mov_b32 s16, 0
	s_and_saveexec_b32 s73, s72
	s_xor_b32 s72, exec_lo, s73
	s_cbranch_execz .LBB6_10258
; %bb.8577:                             ;   in Loop: Header=BB6_7994 Depth=3
	v_cmp_eq_u16_sdwa s74, v10, v117 src0_sel:BYTE_1 src1_sel:DWORD
	s_mov_b32 s16, -1
	s_and_saveexec_b32 s73, s74
; %bb.8578:                             ;   in Loop: Header=BB6_7994 Depth=3
	s_xor_b32 s16, exec_lo, -1
; %bb.8579:                             ;   in Loop: Header=BB6_7994 Depth=3
	s_or_b32 exec_lo, exec_lo, s73
	s_and_b32 s16, s16, exec_lo
	s_or_saveexec_b32 s72, s72
	v_mov_b32_e32 v4, 0x7f800001
	s_xor_b32 exec_lo, exec_lo, s72
	s_cbranch_execnz .LBB6_10259
.LBB6_8580:                             ;   in Loop: Header=BB6_7994 Depth=3
	s_or_b32 exec_lo, exec_lo, s72
	s_and_saveexec_b32 s72, s16
	s_cbranch_execz .LBB6_8582
.LBB6_8581:                             ;   in Loop: Header=BB6_7994 Depth=3
	v_and_b32_sdwa v4, v118, v10 dst_sel:DWORD dst_unused:UNUSED_PAD src0_sel:DWORD src1_sel:BYTE_1
	v_and_b32_e32 v5, 3, v4
	v_bfe_u32 v8, v4, 2, 5
	v_ffbh_u32_e32 v6, v5
	v_cmp_eq_u32_e32 vcc_lo, 0, v8
	v_min_u32_e32 v6, 32, v6
	v_subrev_nc_u32_e32 v7, 29, v6
	v_sub_nc_u32_e32 v6, 30, v6
	v_lshlrev_b32_e32 v4, v7, v4
	v_lshlrev_b32_sdwa v7, v119, v10 dst_sel:DWORD dst_unused:UNUSED_PAD src0_sel:DWORD src1_sel:BYTE_1
	v_cndmask_b32_e32 v6, v8, v6, vcc_lo
	v_and_b32_e32 v4, 3, v4
	v_lshl_add_u32 v6, v6, 23, 0x37800000
	v_cndmask_b32_e32 v4, v5, v4, vcc_lo
	v_and_b32_e32 v5, 0x80000000, v7
	v_lshlrev_b32_e32 v4, 21, v4
	v_or3_b32 v4, v5, v6, v4
.LBB6_8582:                             ;   in Loop: Header=BB6_7994 Depth=3
	s_or_b32 exec_lo, exec_lo, s72
	v_mul_f32_e32 v4, s23, v4
	v_mov_b32_e32 v121, 0x8000
	s_mov_b32 s72, exec_lo
	v_and_b32_e32 v5, 0x7f800000, v4
	v_cmpx_ne_u32_e32 0x7f800000, v5
	s_cbranch_execz .LBB6_8590
; %bb.8583:                             ;   in Loop: Header=BB6_7994 Depth=3
	v_mov_b32_e32 v121, 0
	s_mov_b32 s73, exec_lo
	v_cmpx_ne_u32_e32 0, v4
	s_cbranch_execz .LBB6_8589
; %bb.8584:                             ;   in Loop: Header=BB6_7994 Depth=3
	v_bfe_u32 v6, v4, 23, 8
	v_and_b32_e32 v5, 0x7fffff, v4
	v_cmp_gt_u32_e64 s16, 0x71, v6
	v_sub_nc_u32_e32 v7, 0x70, v6
	v_cmp_eq_u32_e32 vcc_lo, 0, v6
	v_or_b32_e32 v8, 0x800000, v5
	v_cndmask_b32_e64 v7, 0, v7, s16
	v_cndmask_b32_e32 v5, v8, v5, vcc_lo
	v_cndmask_b32_e64 v7, v7, 0x6f, vcc_lo
	v_lshl_add_u32 v8, 0x200000, v7, -1
	v_lshlrev_b32_e64 v9, v7, 0x100000
	v_and_b32_e32 v8, v8, v5
	v_cmp_eq_u32_e64 s16, v8, v9
	v_lshrrev_b32_e32 v8, v7, v5
	v_add_nc_u32_e32 v5, 0xffffff91, v6
	v_lshrrev_b32_e32 v6, 23, v8
	v_cndmask_b32_e64 v5, v5, 0xffffff92, vcc_lo
	v_xor_b32_e32 v6, 1, v6
	v_add_nc_u32_e32 v5, v7, v5
	v_bfe_u32 v7, v8, 21, 1
	v_add_nc_u32_e32 v7, -1, v7
	v_cndmask_b32_e64 v7, 0, v7, s16
	s_mov_b32 s16, exec_lo
	v_add_nc_u32_e32 v7, v7, v8
	v_and_b32_e32 v7, 0x1fffff, v7
	v_add_nc_u32_e32 v7, v7, v8
                                        ; implicit-def: $vgpr8
	v_cmpx_ne_u32_e64 v5, v6
	s_xor_b32 s16, exec_lo, s16
; %bb.8585:                             ;   in Loop: Header=BB6_7994 Depth=3
	v_cmp_lt_u32_e32 vcc_lo, 0xffffff, v7
	v_sub_nc_u32_e32 v5, v5, v6
	v_cndmask_b32_e64 v6, 0, 1, vcc_lo
	v_add_co_ci_u32_e64 v8, null, 0, v5, vcc_lo
	v_lshrrev_b32_e32 v7, v6, v7
; %bb.8586:                             ;   in Loop: Header=BB6_7994 Depth=3
	s_andn2_saveexec_b32 s16, s16
; %bb.8587:                             ;   in Loop: Header=BB6_7994 Depth=3
	v_bfe_u32 v8, v7, 23, 1
; %bb.8588:                             ;   in Loop: Header=BB6_7994 Depth=3
	s_or_b32 exec_lo, exec_lo, s16
	v_lshrrev_b32_e32 v5, 21, v7
	v_min_i32_e32 v6, 31, v8
	v_cmp_gt_i32_e32 vcc_lo, 32, v8
	v_and_b32_sdwa v4, v4, v117 dst_sel:DWORD dst_unused:UNUSED_PAD src0_sel:BYTE_3 src1_sel:DWORD
	v_lshlrev_b32_e32 v6, 2, v6
	v_cndmask_b32_e32 v5, 3, v5, vcc_lo
	v_and_b32_e32 v6, 0xfc, v6
	v_or_b32_e32 v7, v8, v5
	v_and_b32_e32 v5, 3, v5
	v_cmp_ne_u32_e32 vcc_lo, 0, v7
	v_or3_b32 v4, v4, v6, v5
	v_lshlrev_b32_e32 v4, 8, v4
	v_cndmask_b32_e32 v121, 0, v4, vcc_lo
.LBB6_8589:                             ;   in Loop: Header=BB6_7994 Depth=3
	s_or_b32 exec_lo, exec_lo, s73
.LBB6_8590:                             ;   in Loop: Header=BB6_7994 Depth=3
	s_or_b32 exec_lo, exec_lo, s72
	v_and_b32_sdwa v5, v10, v40 dst_sel:DWORD dst_unused:UNUSED_PAD src0_sel:WORD_1 src1_sel:DWORD
	s_mov_b32 s72, 0
	s_mov_b32 s16, exec_lo
	v_cmpx_lt_i16_e32 0x7f, v5
	s_xor_b32 s16, exec_lo, s16
	s_cbranch_execz .LBB6_10260
; %bb.8591:                             ;   in Loop: Header=BB6_7994 Depth=3
	s_mov_b32 s72, -1
	s_mov_b32 s73, exec_lo
	v_cmpx_eq_u16_e32 0x80, v5
; %bb.8592:                             ;   in Loop: Header=BB6_7994 Depth=3
	s_xor_b32 s72, exec_lo, -1
; %bb.8593:                             ;   in Loop: Header=BB6_7994 Depth=3
	s_or_b32 exec_lo, exec_lo, s73
	s_and_b32 s72, s72, exec_lo
                                        ; implicit-def: $vgpr5
	s_or_saveexec_b32 s16, s16
	v_mov_b32_e32 v4, 0x7f800001
	s_xor_b32 exec_lo, exec_lo, s16
	s_cbranch_execnz .LBB6_10261
.LBB6_8594:                             ;   in Loop: Header=BB6_7994 Depth=3
	s_or_b32 exec_lo, exec_lo, s16
	s_and_saveexec_b32 s16, s72
	s_cbranch_execz .LBB6_8596
.LBB6_8595:                             ;   in Loop: Header=BB6_7994 Depth=3
	v_bfe_u32 v4, v10, 16, 2
	v_bfe_u32 v5, v10, 18, 5
	v_ffbh_u32_e32 v6, v4
	v_cmp_eq_u32_e32 vcc_lo, 0, v5
	v_min_u32_e32 v6, 32, v6
	v_subrev_nc_u32_e32 v7, 29, v6
	v_sub_nc_u32_e32 v6, 30, v6
	v_lshlrev_b32_sdwa v7, v7, v10 dst_sel:DWORD dst_unused:UNUSED_PAD src0_sel:DWORD src1_sel:WORD_1
	v_cndmask_b32_e32 v5, v5, v6, vcc_lo
	v_lshlrev_b32_e32 v6, 8, v10
	v_and_b32_e32 v7, 3, v7
	v_lshl_add_u32 v5, v5, 23, 0x37800000
	v_and_b32_e32 v6, 0x80000000, v6
	v_cndmask_b32_e32 v4, v4, v7, vcc_lo
	v_lshlrev_b32_e32 v4, 21, v4
	v_or3_b32 v4, v6, v5, v4
.LBB6_8596:                             ;   in Loop: Header=BB6_7994 Depth=3
	s_or_b32 exec_lo, exec_lo, s16
	v_mul_f32_e32 v4, s23, v4
	v_mov_b32_e32 v108, 0x80
	s_mov_b32 s72, exec_lo
	v_and_b32_e32 v5, 0x7f800000, v4
	v_cmpx_ne_u32_e32 0x7f800000, v5
	s_cbranch_execz .LBB6_8604
; %bb.8597:                             ;   in Loop: Header=BB6_7994 Depth=3
	v_mov_b32_e32 v108, 0
	s_mov_b32 s73, exec_lo
	v_cmpx_ne_u32_e32 0, v4
	s_cbranch_execz .LBB6_8603
; %bb.8598:                             ;   in Loop: Header=BB6_7994 Depth=3
	v_bfe_u32 v6, v4, 23, 8
	v_and_b32_e32 v5, 0x7fffff, v4
	v_cmp_gt_u32_e64 s16, 0x71, v6
	v_sub_nc_u32_e32 v7, 0x70, v6
	v_cmp_eq_u32_e32 vcc_lo, 0, v6
	v_or_b32_e32 v8, 0x800000, v5
	v_cndmask_b32_e64 v7, 0, v7, s16
	v_cndmask_b32_e32 v5, v8, v5, vcc_lo
	v_cndmask_b32_e64 v7, v7, 0x6f, vcc_lo
	v_lshl_add_u32 v8, 0x200000, v7, -1
	v_lshlrev_b32_e64 v9, v7, 0x100000
	v_and_b32_e32 v8, v8, v5
	v_cmp_eq_u32_e64 s16, v8, v9
	v_lshrrev_b32_e32 v8, v7, v5
	v_add_nc_u32_e32 v5, 0xffffff91, v6
	v_lshrrev_b32_e32 v6, 23, v8
	v_cndmask_b32_e64 v5, v5, 0xffffff92, vcc_lo
	v_xor_b32_e32 v6, 1, v6
	v_add_nc_u32_e32 v5, v7, v5
	v_bfe_u32 v7, v8, 21, 1
	v_add_nc_u32_e32 v7, -1, v7
	v_cndmask_b32_e64 v7, 0, v7, s16
	s_mov_b32 s16, exec_lo
	v_add_nc_u32_e32 v7, v7, v8
	v_and_b32_e32 v7, 0x1fffff, v7
	v_add_nc_u32_e32 v7, v7, v8
                                        ; implicit-def: $vgpr8
	v_cmpx_ne_u32_e64 v5, v6
	s_xor_b32 s16, exec_lo, s16
; %bb.8599:                             ;   in Loop: Header=BB6_7994 Depth=3
	v_cmp_lt_u32_e32 vcc_lo, 0xffffff, v7
	v_sub_nc_u32_e32 v5, v5, v6
	v_cndmask_b32_e64 v6, 0, 1, vcc_lo
	v_add_co_ci_u32_e64 v8, null, 0, v5, vcc_lo
	v_lshrrev_b32_e32 v7, v6, v7
; %bb.8600:                             ;   in Loop: Header=BB6_7994 Depth=3
	s_andn2_saveexec_b32 s16, s16
; %bb.8601:                             ;   in Loop: Header=BB6_7994 Depth=3
	v_bfe_u32 v8, v7, 23, 1
; %bb.8602:                             ;   in Loop: Header=BB6_7994 Depth=3
	s_or_b32 exec_lo, exec_lo, s16
	v_lshrrev_b32_e32 v5, 21, v7
	v_min_i32_e32 v6, 31, v8
	v_cmp_gt_i32_e32 vcc_lo, 32, v8
	v_and_b32_sdwa v4, v4, v117 dst_sel:DWORD dst_unused:UNUSED_PAD src0_sel:BYTE_3 src1_sel:DWORD
	v_lshlrev_b32_e32 v6, 2, v6
	v_cndmask_b32_e32 v5, 3, v5, vcc_lo
	v_and_b32_e32 v6, 0xfc, v6
	v_or_b32_e32 v7, v8, v5
	v_and_b32_e32 v5, 3, v5
	v_cmp_ne_u32_e32 vcc_lo, 0, v7
	v_or3_b32 v4, v6, v4, v5
	v_cndmask_b32_e32 v108, 0, v4, vcc_lo
.LBB6_8603:                             ;   in Loop: Header=BB6_7994 Depth=3
	s_or_b32 exec_lo, exec_lo, s73
.LBB6_8604:                             ;   in Loop: Header=BB6_7994 Depth=3
	s_or_b32 exec_lo, exec_lo, s72
	v_cmp_gt_i16_sdwa s72, v10, v116 src0_sel:BYTE_3 src1_sel:DWORD
	s_mov_b32 s16, 0
	s_and_saveexec_b32 s73, s72
	s_xor_b32 s72, exec_lo, s73
	s_cbranch_execz .LBB6_10262
; %bb.8605:                             ;   in Loop: Header=BB6_7994 Depth=3
	v_cmp_eq_u16_sdwa s74, v10, v117 src0_sel:BYTE_3 src1_sel:DWORD
	s_mov_b32 s16, -1
	s_and_saveexec_b32 s73, s74
; %bb.8606:                             ;   in Loop: Header=BB6_7994 Depth=3
	s_xor_b32 s16, exec_lo, -1
; %bb.8607:                             ;   in Loop: Header=BB6_7994 Depth=3
	s_or_b32 exec_lo, exec_lo, s73
	s_and_b32 s16, s16, exec_lo
	s_or_saveexec_b32 s72, s72
	v_mov_b32_e32 v4, 0x7f800001
	s_xor_b32 exec_lo, exec_lo, s72
	s_cbranch_execnz .LBB6_10263
.LBB6_8608:                             ;   in Loop: Header=BB6_7994 Depth=3
	s_or_b32 exec_lo, exec_lo, s72
	s_and_saveexec_b32 s72, s16
	s_cbranch_execz .LBB6_8610
.LBB6_8609:                             ;   in Loop: Header=BB6_7994 Depth=3
	v_bfe_u32 v4, v10, 24, 2
	v_bfe_u32 v7, v10, 26, 5
	v_ffbh_u32_e32 v5, v4
	v_cmp_eq_u32_e32 vcc_lo, 0, v7
	v_min_u32_e32 v5, 32, v5
	v_subrev_nc_u32_e32 v6, 29, v5
	v_sub_nc_u32_e32 v5, 30, v5
	v_lshlrev_b32_sdwa v6, v6, v10 dst_sel:DWORD dst_unused:UNUSED_PAD src0_sel:DWORD src1_sel:BYTE_3
	v_cndmask_b32_e32 v5, v7, v5, vcc_lo
	v_and_b32_e32 v6, 3, v6
	v_lshl_add_u32 v5, v5, 23, 0x37800000
	v_cndmask_b32_e32 v4, v4, v6, vcc_lo
	v_and_b32_e32 v6, 0x80000000, v10
	v_lshlrev_b32_e32 v4, 21, v4
	v_or3_b32 v4, v6, v5, v4
.LBB6_8610:                             ;   in Loop: Header=BB6_7994 Depth=3
	s_or_b32 exec_lo, exec_lo, s72
	v_mul_f32_e32 v4, s23, v4
	v_mov_b32_e32 v112, 0x8000
	s_mov_b32 s72, exec_lo
	v_and_b32_e32 v5, 0x7f800000, v4
	v_cmpx_ne_u32_e32 0x7f800000, v5
	s_cbranch_execz .LBB6_8618
; %bb.8611:                             ;   in Loop: Header=BB6_7994 Depth=3
	v_mov_b32_e32 v112, 0
	s_mov_b32 s73, exec_lo
	v_cmpx_ne_u32_e32 0, v4
	s_cbranch_execz .LBB6_8617
; %bb.8612:                             ;   in Loop: Header=BB6_7994 Depth=3
	v_bfe_u32 v6, v4, 23, 8
	v_and_b32_e32 v5, 0x7fffff, v4
	v_cmp_gt_u32_e64 s16, 0x71, v6
	v_sub_nc_u32_e32 v7, 0x70, v6
	v_cmp_eq_u32_e32 vcc_lo, 0, v6
	v_or_b32_e32 v8, 0x800000, v5
	v_cndmask_b32_e64 v7, 0, v7, s16
	v_cndmask_b32_e32 v5, v8, v5, vcc_lo
	v_cndmask_b32_e64 v7, v7, 0x6f, vcc_lo
	v_lshl_add_u32 v8, 0x200000, v7, -1
	v_lshlrev_b32_e64 v9, v7, 0x100000
	v_and_b32_e32 v8, v8, v5
	v_cmp_eq_u32_e64 s16, v8, v9
	v_lshrrev_b32_e32 v8, v7, v5
	v_add_nc_u32_e32 v5, 0xffffff91, v6
	v_lshrrev_b32_e32 v6, 23, v8
	v_cndmask_b32_e64 v5, v5, 0xffffff92, vcc_lo
	v_xor_b32_e32 v6, 1, v6
	v_add_nc_u32_e32 v5, v7, v5
	v_bfe_u32 v7, v8, 21, 1
	v_add_nc_u32_e32 v7, -1, v7
	v_cndmask_b32_e64 v7, 0, v7, s16
	s_mov_b32 s16, exec_lo
	v_add_nc_u32_e32 v7, v7, v8
	v_and_b32_e32 v7, 0x1fffff, v7
	v_add_nc_u32_e32 v7, v7, v8
                                        ; implicit-def: $vgpr8
	v_cmpx_ne_u32_e64 v5, v6
	s_xor_b32 s16, exec_lo, s16
; %bb.8613:                             ;   in Loop: Header=BB6_7994 Depth=3
	v_cmp_lt_u32_e32 vcc_lo, 0xffffff, v7
	v_sub_nc_u32_e32 v5, v5, v6
	v_cndmask_b32_e64 v6, 0, 1, vcc_lo
	v_add_co_ci_u32_e64 v8, null, 0, v5, vcc_lo
	v_lshrrev_b32_e32 v7, v6, v7
; %bb.8614:                             ;   in Loop: Header=BB6_7994 Depth=3
	s_andn2_saveexec_b32 s16, s16
; %bb.8615:                             ;   in Loop: Header=BB6_7994 Depth=3
	v_bfe_u32 v8, v7, 23, 1
; %bb.8616:                             ;   in Loop: Header=BB6_7994 Depth=3
	s_or_b32 exec_lo, exec_lo, s16
	v_lshrrev_b32_e32 v5, 21, v7
	v_min_i32_e32 v6, 31, v8
	v_cmp_gt_i32_e32 vcc_lo, 32, v8
	v_and_b32_sdwa v4, v4, v117 dst_sel:DWORD dst_unused:UNUSED_PAD src0_sel:BYTE_3 src1_sel:DWORD
	v_lshlrev_b32_e32 v6, 2, v6
	v_cndmask_b32_e32 v5, 3, v5, vcc_lo
	v_and_b32_e32 v6, 0xfc, v6
	v_or_b32_e32 v7, v8, v5
	v_and_b32_e32 v5, 3, v5
	v_cmp_ne_u32_e32 vcc_lo, 0, v7
	v_or3_b32 v4, v4, v6, v5
	v_lshlrev_b32_e32 v4, 8, v4
	v_cndmask_b32_e32 v112, 0, v4, vcc_lo
.LBB6_8617:                             ;   in Loop: Header=BB6_7994 Depth=3
	s_or_b32 exec_lo, exec_lo, s73
.LBB6_8618:                             ;   in Loop: Header=BB6_7994 Depth=3
	s_or_b32 exec_lo, exec_lo, s72
	v_cmp_gt_i16_sdwa s16, v11, v116 src0_sel:BYTE_0 src1_sel:DWORD
	s_mov_b32 s72, 0
	s_and_saveexec_b32 s73, s16
	s_xor_b32 s16, exec_lo, s73
	s_cbranch_execz .LBB6_10264
; %bb.8619:                             ;   in Loop: Header=BB6_7994 Depth=3
	v_cmp_eq_u16_sdwa s74, v11, v117 src0_sel:BYTE_0 src1_sel:DWORD
	s_mov_b32 s72, -1
	s_and_saveexec_b32 s73, s74
; %bb.8620:                             ;   in Loop: Header=BB6_7994 Depth=3
	s_xor_b32 s72, exec_lo, -1
; %bb.8621:                             ;   in Loop: Header=BB6_7994 Depth=3
	s_or_b32 exec_lo, exec_lo, s73
	s_and_b32 s72, s72, exec_lo
	s_or_saveexec_b32 s16, s16
	v_mov_b32_e32 v4, 0x7f800001
	s_xor_b32 exec_lo, exec_lo, s16
	s_cbranch_execnz .LBB6_10265
.LBB6_8622:                             ;   in Loop: Header=BB6_7994 Depth=3
	s_or_b32 exec_lo, exec_lo, s16
	s_and_saveexec_b32 s16, s72
	s_cbranch_execz .LBB6_8624
.LBB6_8623:                             ;   in Loop: Header=BB6_7994 Depth=3
	v_and_b32_e32 v4, 3, v11
	v_bfe_u32 v5, v11, 2, 5
	v_ffbh_u32_e32 v6, v4
	v_cmp_eq_u32_e32 vcc_lo, 0, v5
	v_min_u32_e32 v6, 32, v6
	v_subrev_nc_u32_e32 v7, 29, v6
	v_sub_nc_u32_e32 v6, 30, v6
	v_lshlrev_b32_e32 v7, v7, v11
	v_cndmask_b32_e32 v5, v5, v6, vcc_lo
	v_lshlrev_b32_e32 v6, 24, v11
	v_and_b32_e32 v7, 3, v7
	v_lshl_add_u32 v5, v5, 23, 0x37800000
	v_and_b32_e32 v6, 0x80000000, v6
	v_cndmask_b32_e32 v4, v4, v7, vcc_lo
	v_lshlrev_b32_e32 v4, 21, v4
	v_or3_b32 v4, v6, v5, v4
.LBB6_8624:                             ;   in Loop: Header=BB6_7994 Depth=3
	s_or_b32 exec_lo, exec_lo, s16
	v_mul_f32_e32 v4, s23, v4
	v_mov_b32_e32 v51, 0x80
	s_mov_b32 s72, exec_lo
	v_and_b32_e32 v5, 0x7f800000, v4
	v_cmpx_ne_u32_e32 0x7f800000, v5
	s_cbranch_execz .LBB6_8632
; %bb.8625:                             ;   in Loop: Header=BB6_7994 Depth=3
	v_mov_b32_e32 v51, 0
	s_mov_b32 s73, exec_lo
	v_cmpx_ne_u32_e32 0, v4
	s_cbranch_execz .LBB6_8631
; %bb.8626:                             ;   in Loop: Header=BB6_7994 Depth=3
	v_bfe_u32 v6, v4, 23, 8
	v_and_b32_e32 v5, 0x7fffff, v4
	v_cmp_gt_u32_e64 s16, 0x71, v6
	v_sub_nc_u32_e32 v7, 0x70, v6
	v_cmp_eq_u32_e32 vcc_lo, 0, v6
	v_or_b32_e32 v8, 0x800000, v5
	v_cndmask_b32_e64 v7, 0, v7, s16
	v_cndmask_b32_e32 v5, v8, v5, vcc_lo
	v_cndmask_b32_e64 v7, v7, 0x6f, vcc_lo
	v_lshl_add_u32 v8, 0x200000, v7, -1
	v_lshlrev_b32_e64 v9, v7, 0x100000
	v_and_b32_e32 v8, v8, v5
	v_cmp_eq_u32_e64 s16, v8, v9
	v_lshrrev_b32_e32 v8, v7, v5
	v_add_nc_u32_e32 v5, 0xffffff91, v6
	v_lshrrev_b32_e32 v6, 23, v8
	v_cndmask_b32_e64 v5, v5, 0xffffff92, vcc_lo
	v_xor_b32_e32 v6, 1, v6
	v_add_nc_u32_e32 v5, v7, v5
	v_bfe_u32 v7, v8, 21, 1
	v_add_nc_u32_e32 v7, -1, v7
	v_cndmask_b32_e64 v7, 0, v7, s16
	s_mov_b32 s16, exec_lo
	v_add_nc_u32_e32 v7, v7, v8
	v_and_b32_e32 v7, 0x1fffff, v7
	v_add_nc_u32_e32 v7, v7, v8
                                        ; implicit-def: $vgpr8
	v_cmpx_ne_u32_e64 v5, v6
	s_xor_b32 s16, exec_lo, s16
; %bb.8627:                             ;   in Loop: Header=BB6_7994 Depth=3
	v_cmp_lt_u32_e32 vcc_lo, 0xffffff, v7
	v_sub_nc_u32_e32 v5, v5, v6
	v_cndmask_b32_e64 v6, 0, 1, vcc_lo
	v_add_co_ci_u32_e64 v8, null, 0, v5, vcc_lo
	v_lshrrev_b32_e32 v7, v6, v7
; %bb.8628:                             ;   in Loop: Header=BB6_7994 Depth=3
	s_andn2_saveexec_b32 s16, s16
; %bb.8629:                             ;   in Loop: Header=BB6_7994 Depth=3
	v_bfe_u32 v8, v7, 23, 1
; %bb.8630:                             ;   in Loop: Header=BB6_7994 Depth=3
	s_or_b32 exec_lo, exec_lo, s16
	v_lshrrev_b32_e32 v5, 21, v7
	v_min_i32_e32 v6, 31, v8
	v_cmp_gt_i32_e32 vcc_lo, 32, v8
	v_and_b32_sdwa v4, v4, v117 dst_sel:DWORD dst_unused:UNUSED_PAD src0_sel:BYTE_3 src1_sel:DWORD
	v_lshlrev_b32_e32 v6, 2, v6
	v_cndmask_b32_e32 v5, 3, v5, vcc_lo
	v_and_b32_e32 v6, 0xfc, v6
	v_or_b32_e32 v7, v8, v5
	v_and_b32_e32 v5, 3, v5
	v_cmp_ne_u32_e32 vcc_lo, 0, v7
	v_or3_b32 v4, v6, v4, v5
	v_cndmask_b32_e32 v51, 0, v4, vcc_lo
.LBB6_8631:                             ;   in Loop: Header=BB6_7994 Depth=3
	s_or_b32 exec_lo, exec_lo, s73
.LBB6_8632:                             ;   in Loop: Header=BB6_7994 Depth=3
	s_or_b32 exec_lo, exec_lo, s72
	v_cmp_gt_i16_sdwa s72, v11, v116 src0_sel:BYTE_1 src1_sel:DWORD
	s_mov_b32 s16, 0
	s_and_saveexec_b32 s73, s72
	s_xor_b32 s72, exec_lo, s73
	s_cbranch_execz .LBB6_10266
; %bb.8633:                             ;   in Loop: Header=BB6_7994 Depth=3
	v_cmp_eq_u16_sdwa s74, v11, v117 src0_sel:BYTE_1 src1_sel:DWORD
	s_mov_b32 s16, -1
	s_and_saveexec_b32 s73, s74
; %bb.8634:                             ;   in Loop: Header=BB6_7994 Depth=3
	s_xor_b32 s16, exec_lo, -1
; %bb.8635:                             ;   in Loop: Header=BB6_7994 Depth=3
	s_or_b32 exec_lo, exec_lo, s73
	s_and_b32 s16, s16, exec_lo
	s_or_saveexec_b32 s72, s72
	v_mov_b32_e32 v4, 0x7f800001
	s_xor_b32 exec_lo, exec_lo, s72
	s_cbranch_execnz .LBB6_10267
.LBB6_8636:                             ;   in Loop: Header=BB6_7994 Depth=3
	s_or_b32 exec_lo, exec_lo, s72
	s_and_saveexec_b32 s72, s16
	s_cbranch_execz .LBB6_8638
.LBB6_8637:                             ;   in Loop: Header=BB6_7994 Depth=3
	v_and_b32_sdwa v4, v118, v11 dst_sel:DWORD dst_unused:UNUSED_PAD src0_sel:DWORD src1_sel:BYTE_1
	v_and_b32_e32 v5, 3, v4
	v_bfe_u32 v8, v4, 2, 5
	v_ffbh_u32_e32 v6, v5
	v_cmp_eq_u32_e32 vcc_lo, 0, v8
	v_min_u32_e32 v6, 32, v6
	v_subrev_nc_u32_e32 v7, 29, v6
	v_sub_nc_u32_e32 v6, 30, v6
	v_lshlrev_b32_e32 v4, v7, v4
	v_lshlrev_b32_sdwa v7, v119, v11 dst_sel:DWORD dst_unused:UNUSED_PAD src0_sel:DWORD src1_sel:BYTE_1
	v_cndmask_b32_e32 v6, v8, v6, vcc_lo
	v_and_b32_e32 v4, 3, v4
	v_lshl_add_u32 v6, v6, 23, 0x37800000
	v_cndmask_b32_e32 v4, v5, v4, vcc_lo
	v_and_b32_e32 v5, 0x80000000, v7
	v_lshlrev_b32_e32 v4, 21, v4
	v_or3_b32 v4, v5, v6, v4
.LBB6_8638:                             ;   in Loop: Header=BB6_7994 Depth=3
	s_or_b32 exec_lo, exec_lo, s72
	v_mul_f32_e32 v4, s23, v4
	v_mov_b32_e32 v109, 0x8000
	s_mov_b32 s72, exec_lo
	v_and_b32_e32 v5, 0x7f800000, v4
	v_cmpx_ne_u32_e32 0x7f800000, v5
	s_cbranch_execz .LBB6_8646
; %bb.8639:                             ;   in Loop: Header=BB6_7994 Depth=3
	v_mov_b32_e32 v109, 0
	s_mov_b32 s73, exec_lo
	v_cmpx_ne_u32_e32 0, v4
	s_cbranch_execz .LBB6_8645
; %bb.8640:                             ;   in Loop: Header=BB6_7994 Depth=3
	v_bfe_u32 v6, v4, 23, 8
	v_and_b32_e32 v5, 0x7fffff, v4
	v_cmp_gt_u32_e64 s16, 0x71, v6
	v_sub_nc_u32_e32 v7, 0x70, v6
	v_cmp_eq_u32_e32 vcc_lo, 0, v6
	v_or_b32_e32 v8, 0x800000, v5
	v_cndmask_b32_e64 v7, 0, v7, s16
	v_cndmask_b32_e32 v5, v8, v5, vcc_lo
	v_cndmask_b32_e64 v7, v7, 0x6f, vcc_lo
	v_lshl_add_u32 v8, 0x200000, v7, -1
	v_lshlrev_b32_e64 v9, v7, 0x100000
	v_and_b32_e32 v8, v8, v5
	v_cmp_eq_u32_e64 s16, v8, v9
	v_lshrrev_b32_e32 v8, v7, v5
	v_add_nc_u32_e32 v5, 0xffffff91, v6
	v_lshrrev_b32_e32 v6, 23, v8
	v_cndmask_b32_e64 v5, v5, 0xffffff92, vcc_lo
	v_xor_b32_e32 v6, 1, v6
	v_add_nc_u32_e32 v5, v7, v5
	v_bfe_u32 v7, v8, 21, 1
	v_add_nc_u32_e32 v7, -1, v7
	v_cndmask_b32_e64 v7, 0, v7, s16
	s_mov_b32 s16, exec_lo
	v_add_nc_u32_e32 v7, v7, v8
	v_and_b32_e32 v7, 0x1fffff, v7
	v_add_nc_u32_e32 v7, v7, v8
                                        ; implicit-def: $vgpr8
	v_cmpx_ne_u32_e64 v5, v6
	s_xor_b32 s16, exec_lo, s16
; %bb.8641:                             ;   in Loop: Header=BB6_7994 Depth=3
	v_cmp_lt_u32_e32 vcc_lo, 0xffffff, v7
	v_sub_nc_u32_e32 v5, v5, v6
	v_cndmask_b32_e64 v6, 0, 1, vcc_lo
	v_add_co_ci_u32_e64 v8, null, 0, v5, vcc_lo
	v_lshrrev_b32_e32 v7, v6, v7
; %bb.8642:                             ;   in Loop: Header=BB6_7994 Depth=3
	s_andn2_saveexec_b32 s16, s16
; %bb.8643:                             ;   in Loop: Header=BB6_7994 Depth=3
	v_bfe_u32 v8, v7, 23, 1
; %bb.8644:                             ;   in Loop: Header=BB6_7994 Depth=3
	s_or_b32 exec_lo, exec_lo, s16
	v_lshrrev_b32_e32 v5, 21, v7
	v_min_i32_e32 v6, 31, v8
	v_cmp_gt_i32_e32 vcc_lo, 32, v8
	v_and_b32_sdwa v4, v4, v117 dst_sel:DWORD dst_unused:UNUSED_PAD src0_sel:BYTE_3 src1_sel:DWORD
	v_lshlrev_b32_e32 v6, 2, v6
	v_cndmask_b32_e32 v5, 3, v5, vcc_lo
	v_and_b32_e32 v6, 0xfc, v6
	v_or_b32_e32 v7, v8, v5
	v_and_b32_e32 v5, 3, v5
	v_cmp_ne_u32_e32 vcc_lo, 0, v7
	v_or3_b32 v4, v4, v6, v5
	v_lshlrev_b32_e32 v4, 8, v4
	v_cndmask_b32_e32 v109, 0, v4, vcc_lo
.LBB6_8645:                             ;   in Loop: Header=BB6_7994 Depth=3
	s_or_b32 exec_lo, exec_lo, s73
.LBB6_8646:                             ;   in Loop: Header=BB6_7994 Depth=3
	s_or_b32 exec_lo, exec_lo, s72
	v_and_b32_sdwa v5, v11, v40 dst_sel:DWORD dst_unused:UNUSED_PAD src0_sel:WORD_1 src1_sel:DWORD
	s_mov_b32 s72, 0
	s_mov_b32 s16, exec_lo
	v_cmpx_lt_i16_e32 0x7f, v5
	s_xor_b32 s16, exec_lo, s16
	s_cbranch_execz .LBB6_10268
; %bb.8647:                             ;   in Loop: Header=BB6_7994 Depth=3
	s_mov_b32 s72, -1
	s_mov_b32 s73, exec_lo
	v_cmpx_eq_u16_e32 0x80, v5
; %bb.8648:                             ;   in Loop: Header=BB6_7994 Depth=3
	s_xor_b32 s72, exec_lo, -1
; %bb.8649:                             ;   in Loop: Header=BB6_7994 Depth=3
	s_or_b32 exec_lo, exec_lo, s73
	s_and_b32 s72, s72, exec_lo
                                        ; implicit-def: $vgpr5
	s_or_saveexec_b32 s16, s16
	v_mov_b32_e32 v4, 0x7f800001
	s_xor_b32 exec_lo, exec_lo, s16
	s_cbranch_execnz .LBB6_10269
.LBB6_8650:                             ;   in Loop: Header=BB6_7994 Depth=3
	s_or_b32 exec_lo, exec_lo, s16
	s_and_saveexec_b32 s16, s72
	s_cbranch_execz .LBB6_8652
.LBB6_8651:                             ;   in Loop: Header=BB6_7994 Depth=3
	v_bfe_u32 v4, v11, 16, 2
	v_bfe_u32 v5, v11, 18, 5
	v_ffbh_u32_e32 v6, v4
	v_cmp_eq_u32_e32 vcc_lo, 0, v5
	v_min_u32_e32 v6, 32, v6
	v_subrev_nc_u32_e32 v7, 29, v6
	v_sub_nc_u32_e32 v6, 30, v6
	v_lshlrev_b32_sdwa v7, v7, v11 dst_sel:DWORD dst_unused:UNUSED_PAD src0_sel:DWORD src1_sel:WORD_1
	v_cndmask_b32_e32 v5, v5, v6, vcc_lo
	v_lshlrev_b32_e32 v6, 8, v11
	v_and_b32_e32 v7, 3, v7
	v_lshl_add_u32 v5, v5, 23, 0x37800000
	v_and_b32_e32 v6, 0x80000000, v6
	v_cndmask_b32_e32 v4, v4, v7, vcc_lo
	v_lshlrev_b32_e32 v4, 21, v4
	v_or3_b32 v4, v6, v5, v4
.LBB6_8652:                             ;   in Loop: Header=BB6_7994 Depth=3
	s_or_b32 exec_lo, exec_lo, s16
	v_mul_f32_e32 v4, s23, v4
	v_mov_b32_e32 v105, 0x80
	s_mov_b32 s72, exec_lo
	v_and_b32_e32 v5, 0x7f800000, v4
	v_cmpx_ne_u32_e32 0x7f800000, v5
	s_cbranch_execz .LBB6_8660
; %bb.8653:                             ;   in Loop: Header=BB6_7994 Depth=3
	v_mov_b32_e32 v105, 0
	s_mov_b32 s73, exec_lo
	v_cmpx_ne_u32_e32 0, v4
	s_cbranch_execz .LBB6_8659
; %bb.8654:                             ;   in Loop: Header=BB6_7994 Depth=3
	v_bfe_u32 v6, v4, 23, 8
	v_and_b32_e32 v5, 0x7fffff, v4
	v_cmp_gt_u32_e64 s16, 0x71, v6
	v_sub_nc_u32_e32 v7, 0x70, v6
	v_cmp_eq_u32_e32 vcc_lo, 0, v6
	v_or_b32_e32 v8, 0x800000, v5
	v_cndmask_b32_e64 v7, 0, v7, s16
	v_cndmask_b32_e32 v5, v8, v5, vcc_lo
	v_cndmask_b32_e64 v7, v7, 0x6f, vcc_lo
	v_lshl_add_u32 v8, 0x200000, v7, -1
	v_lshlrev_b32_e64 v9, v7, 0x100000
	v_and_b32_e32 v8, v8, v5
	v_cmp_eq_u32_e64 s16, v8, v9
	v_lshrrev_b32_e32 v8, v7, v5
	v_add_nc_u32_e32 v5, 0xffffff91, v6
	v_lshrrev_b32_e32 v6, 23, v8
	v_cndmask_b32_e64 v5, v5, 0xffffff92, vcc_lo
	v_xor_b32_e32 v6, 1, v6
	v_add_nc_u32_e32 v5, v7, v5
	v_bfe_u32 v7, v8, 21, 1
	v_add_nc_u32_e32 v7, -1, v7
	v_cndmask_b32_e64 v7, 0, v7, s16
	s_mov_b32 s16, exec_lo
	v_add_nc_u32_e32 v7, v7, v8
	v_and_b32_e32 v7, 0x1fffff, v7
	v_add_nc_u32_e32 v7, v7, v8
                                        ; implicit-def: $vgpr8
	v_cmpx_ne_u32_e64 v5, v6
	s_xor_b32 s16, exec_lo, s16
; %bb.8655:                             ;   in Loop: Header=BB6_7994 Depth=3
	v_cmp_lt_u32_e32 vcc_lo, 0xffffff, v7
	v_sub_nc_u32_e32 v5, v5, v6
	v_cndmask_b32_e64 v6, 0, 1, vcc_lo
	v_add_co_ci_u32_e64 v8, null, 0, v5, vcc_lo
	v_lshrrev_b32_e32 v7, v6, v7
; %bb.8656:                             ;   in Loop: Header=BB6_7994 Depth=3
	s_andn2_saveexec_b32 s16, s16
; %bb.8657:                             ;   in Loop: Header=BB6_7994 Depth=3
	v_bfe_u32 v8, v7, 23, 1
; %bb.8658:                             ;   in Loop: Header=BB6_7994 Depth=3
	s_or_b32 exec_lo, exec_lo, s16
	v_lshrrev_b32_e32 v5, 21, v7
	v_min_i32_e32 v6, 31, v8
	v_cmp_gt_i32_e32 vcc_lo, 32, v8
	v_and_b32_sdwa v4, v4, v117 dst_sel:DWORD dst_unused:UNUSED_PAD src0_sel:BYTE_3 src1_sel:DWORD
	v_lshlrev_b32_e32 v6, 2, v6
	v_cndmask_b32_e32 v5, 3, v5, vcc_lo
	v_and_b32_e32 v6, 0xfc, v6
	v_or_b32_e32 v7, v8, v5
	v_and_b32_e32 v5, 3, v5
	v_cmp_ne_u32_e32 vcc_lo, 0, v7
	v_or3_b32 v4, v6, v4, v5
	v_cndmask_b32_e32 v105, 0, v4, vcc_lo
.LBB6_8659:                             ;   in Loop: Header=BB6_7994 Depth=3
	s_or_b32 exec_lo, exec_lo, s73
.LBB6_8660:                             ;   in Loop: Header=BB6_7994 Depth=3
	s_or_b32 exec_lo, exec_lo, s72
	v_cmp_gt_i16_sdwa s72, v11, v116 src0_sel:BYTE_3 src1_sel:DWORD
	s_mov_b32 s16, 0
	s_and_saveexec_b32 s73, s72
	s_xor_b32 s72, exec_lo, s73
	s_cbranch_execz .LBB6_10270
; %bb.8661:                             ;   in Loop: Header=BB6_7994 Depth=3
	v_cmp_eq_u16_sdwa s74, v11, v117 src0_sel:BYTE_3 src1_sel:DWORD
	s_mov_b32 s16, -1
	s_and_saveexec_b32 s73, s74
; %bb.8662:                             ;   in Loop: Header=BB6_7994 Depth=3
	s_xor_b32 s16, exec_lo, -1
; %bb.8663:                             ;   in Loop: Header=BB6_7994 Depth=3
	s_or_b32 exec_lo, exec_lo, s73
	s_and_b32 s16, s16, exec_lo
	s_or_saveexec_b32 s72, s72
	v_mov_b32_e32 v4, 0x7f800001
	s_xor_b32 exec_lo, exec_lo, s72
	s_cbranch_execnz .LBB6_10271
.LBB6_8664:                             ;   in Loop: Header=BB6_7994 Depth=3
	s_or_b32 exec_lo, exec_lo, s72
	s_and_saveexec_b32 s72, s16
	s_cbranch_execz .LBB6_8666
.LBB6_8665:                             ;   in Loop: Header=BB6_7994 Depth=3
	v_bfe_u32 v4, v11, 24, 2
	v_bfe_u32 v7, v11, 26, 5
	v_ffbh_u32_e32 v5, v4
	v_cmp_eq_u32_e32 vcc_lo, 0, v7
	v_min_u32_e32 v5, 32, v5
	v_subrev_nc_u32_e32 v6, 29, v5
	v_sub_nc_u32_e32 v5, 30, v5
	v_lshlrev_b32_sdwa v6, v6, v11 dst_sel:DWORD dst_unused:UNUSED_PAD src0_sel:DWORD src1_sel:BYTE_3
	v_cndmask_b32_e32 v5, v7, v5, vcc_lo
	v_and_b32_e32 v6, 3, v6
	v_lshl_add_u32 v5, v5, 23, 0x37800000
	v_cndmask_b32_e32 v4, v4, v6, vcc_lo
	v_and_b32_e32 v6, 0x80000000, v11
	v_lshlrev_b32_e32 v4, 21, v4
	v_or3_b32 v4, v6, v5, v4
.LBB6_8666:                             ;   in Loop: Header=BB6_7994 Depth=3
	s_or_b32 exec_lo, exec_lo, s72
	v_mul_f32_e32 v4, s23, v4
	v_mov_b32_e32 v107, 0x8000
	s_mov_b32 s72, exec_lo
	v_and_b32_e32 v5, 0x7f800000, v4
	v_cmpx_ne_u32_e32 0x7f800000, v5
	s_cbranch_execz .LBB6_8674
; %bb.8667:                             ;   in Loop: Header=BB6_7994 Depth=3
	v_mov_b32_e32 v107, 0
	s_mov_b32 s73, exec_lo
	v_cmpx_ne_u32_e32 0, v4
	s_cbranch_execz .LBB6_8673
; %bb.8668:                             ;   in Loop: Header=BB6_7994 Depth=3
	v_bfe_u32 v6, v4, 23, 8
	v_and_b32_e32 v5, 0x7fffff, v4
	v_cmp_gt_u32_e64 s16, 0x71, v6
	v_sub_nc_u32_e32 v7, 0x70, v6
	v_cmp_eq_u32_e32 vcc_lo, 0, v6
	v_or_b32_e32 v8, 0x800000, v5
	v_cndmask_b32_e64 v7, 0, v7, s16
	v_cndmask_b32_e32 v5, v8, v5, vcc_lo
	v_cndmask_b32_e64 v7, v7, 0x6f, vcc_lo
	v_lshl_add_u32 v8, 0x200000, v7, -1
	v_lshlrev_b32_e64 v9, v7, 0x100000
	v_and_b32_e32 v8, v8, v5
	v_cmp_eq_u32_e64 s16, v8, v9
	v_lshrrev_b32_e32 v8, v7, v5
	v_add_nc_u32_e32 v5, 0xffffff91, v6
	v_lshrrev_b32_e32 v6, 23, v8
	v_cndmask_b32_e64 v5, v5, 0xffffff92, vcc_lo
	v_xor_b32_e32 v6, 1, v6
	v_add_nc_u32_e32 v5, v7, v5
	v_bfe_u32 v7, v8, 21, 1
	v_add_nc_u32_e32 v7, -1, v7
	v_cndmask_b32_e64 v7, 0, v7, s16
	s_mov_b32 s16, exec_lo
	v_add_nc_u32_e32 v7, v7, v8
	v_and_b32_e32 v7, 0x1fffff, v7
	v_add_nc_u32_e32 v7, v7, v8
                                        ; implicit-def: $vgpr8
	v_cmpx_ne_u32_e64 v5, v6
	s_xor_b32 s16, exec_lo, s16
; %bb.8669:                             ;   in Loop: Header=BB6_7994 Depth=3
	v_cmp_lt_u32_e32 vcc_lo, 0xffffff, v7
	v_sub_nc_u32_e32 v5, v5, v6
	v_cndmask_b32_e64 v6, 0, 1, vcc_lo
	v_add_co_ci_u32_e64 v8, null, 0, v5, vcc_lo
	v_lshrrev_b32_e32 v7, v6, v7
; %bb.8670:                             ;   in Loop: Header=BB6_7994 Depth=3
	s_andn2_saveexec_b32 s16, s16
; %bb.8671:                             ;   in Loop: Header=BB6_7994 Depth=3
	v_bfe_u32 v8, v7, 23, 1
; %bb.8672:                             ;   in Loop: Header=BB6_7994 Depth=3
	s_or_b32 exec_lo, exec_lo, s16
	v_lshrrev_b32_e32 v5, 21, v7
	v_min_i32_e32 v6, 31, v8
	v_cmp_gt_i32_e32 vcc_lo, 32, v8
	v_and_b32_sdwa v4, v4, v117 dst_sel:DWORD dst_unused:UNUSED_PAD src0_sel:BYTE_3 src1_sel:DWORD
	v_lshlrev_b32_e32 v6, 2, v6
	v_cndmask_b32_e32 v5, 3, v5, vcc_lo
	v_and_b32_e32 v6, 0xfc, v6
	v_or_b32_e32 v7, v8, v5
	v_and_b32_e32 v5, 3, v5
	v_cmp_ne_u32_e32 vcc_lo, 0, v7
	v_or3_b32 v4, v4, v6, v5
	v_lshlrev_b32_e32 v4, 8, v4
	v_cndmask_b32_e32 v107, 0, v4, vcc_lo
.LBB6_8673:                             ;   in Loop: Header=BB6_7994 Depth=3
	s_or_b32 exec_lo, exec_lo, s73
.LBB6_8674:                             ;   in Loop: Header=BB6_7994 Depth=3
	s_or_b32 exec_lo, exec_lo, s72
	global_load_dwordx4 v[8:11], v[96:97], off offset:1536 slc
	s_mov_b32 s72, 0
	s_waitcnt vmcnt(0)
	v_cmp_gt_i16_sdwa s16, v8, v116 src0_sel:BYTE_0 src1_sel:DWORD
	s_and_saveexec_b32 s73, s16
	s_xor_b32 s16, exec_lo, s73
	s_cbranch_execz .LBB6_10272
; %bb.8675:                             ;   in Loop: Header=BB6_7994 Depth=3
	v_cmp_eq_u16_sdwa s74, v8, v117 src0_sel:BYTE_0 src1_sel:DWORD
	s_mov_b32 s72, -1
	s_and_saveexec_b32 s73, s74
; %bb.8676:                             ;   in Loop: Header=BB6_7994 Depth=3
	s_xor_b32 s72, exec_lo, -1
; %bb.8677:                             ;   in Loop: Header=BB6_7994 Depth=3
	s_or_b32 exec_lo, exec_lo, s73
	s_and_b32 s72, s72, exec_lo
	s_or_saveexec_b32 s16, s16
	v_mov_b32_e32 v4, 0x7f800001
	s_xor_b32 exec_lo, exec_lo, s16
	s_cbranch_execnz .LBB6_10273
.LBB6_8678:                             ;   in Loop: Header=BB6_7994 Depth=3
	s_or_b32 exec_lo, exec_lo, s16
	s_and_saveexec_b32 s16, s72
	s_cbranch_execz .LBB6_8680
.LBB6_8679:                             ;   in Loop: Header=BB6_7994 Depth=3
	v_and_b32_e32 v4, 3, v8
	v_bfe_u32 v5, v8, 2, 5
	v_ffbh_u32_e32 v6, v4
	v_cmp_eq_u32_e32 vcc_lo, 0, v5
	v_min_u32_e32 v6, 32, v6
	v_subrev_nc_u32_e32 v7, 29, v6
	v_sub_nc_u32_e32 v6, 30, v6
	v_lshlrev_b32_e32 v7, v7, v8
	v_cndmask_b32_e32 v5, v5, v6, vcc_lo
	v_lshlrev_b32_e32 v6, 24, v8
	v_and_b32_e32 v7, 3, v7
	v_lshl_add_u32 v5, v5, 23, 0x37800000
	v_and_b32_e32 v6, 0x80000000, v6
	v_cndmask_b32_e32 v4, v4, v7, vcc_lo
	v_lshlrev_b32_e32 v4, 21, v4
	v_or3_b32 v4, v6, v5, v4
.LBB6_8680:                             ;   in Loop: Header=BB6_7994 Depth=3
	s_or_b32 exec_lo, exec_lo, s16
	v_mul_f32_e32 v4, s23, v4
	v_mov_b32_e32 v94, 0x80
	s_mov_b32 s72, exec_lo
	v_and_b32_e32 v5, 0x7f800000, v4
	v_cmpx_ne_u32_e32 0x7f800000, v5
	s_cbranch_execz .LBB6_8688
; %bb.8681:                             ;   in Loop: Header=BB6_7994 Depth=3
	v_mov_b32_e32 v94, 0
	s_mov_b32 s73, exec_lo
	v_cmpx_ne_u32_e32 0, v4
	s_cbranch_execz .LBB6_8687
; %bb.8682:                             ;   in Loop: Header=BB6_7994 Depth=3
	v_bfe_u32 v6, v4, 23, 8
	v_and_b32_e32 v5, 0x7fffff, v4
	v_cmp_gt_u32_e64 s16, 0x71, v6
	v_sub_nc_u32_e32 v7, 0x70, v6
	v_cmp_eq_u32_e32 vcc_lo, 0, v6
	v_or_b32_e32 v14, 0x800000, v5
	v_cndmask_b32_e64 v7, 0, v7, s16
	v_cndmask_b32_e32 v5, v14, v5, vcc_lo
	v_cndmask_b32_e64 v7, v7, 0x6f, vcc_lo
	v_lshl_add_u32 v14, 0x200000, v7, -1
	v_lshlrev_b32_e64 v15, v7, 0x100000
	v_and_b32_e32 v14, v14, v5
	v_cmp_eq_u32_e64 s16, v14, v15
	v_lshrrev_b32_e32 v14, v7, v5
	v_add_nc_u32_e32 v5, 0xffffff91, v6
	v_lshrrev_b32_e32 v6, 23, v14
	v_cndmask_b32_e64 v5, v5, 0xffffff92, vcc_lo
	v_xor_b32_e32 v6, 1, v6
	v_add_nc_u32_e32 v5, v7, v5
	v_bfe_u32 v7, v14, 21, 1
	v_add_nc_u32_e32 v7, -1, v7
	v_cndmask_b32_e64 v7, 0, v7, s16
	s_mov_b32 s16, exec_lo
	v_add_nc_u32_e32 v7, v7, v14
	v_and_b32_e32 v7, 0x1fffff, v7
	v_add_nc_u32_e32 v7, v7, v14
                                        ; implicit-def: $vgpr14
	v_cmpx_ne_u32_e64 v5, v6
	s_xor_b32 s16, exec_lo, s16
; %bb.8683:                             ;   in Loop: Header=BB6_7994 Depth=3
	v_cmp_lt_u32_e32 vcc_lo, 0xffffff, v7
	v_sub_nc_u32_e32 v5, v5, v6
	v_cndmask_b32_e64 v6, 0, 1, vcc_lo
	v_add_co_ci_u32_e64 v14, null, 0, v5, vcc_lo
	v_lshrrev_b32_e32 v7, v6, v7
; %bb.8684:                             ;   in Loop: Header=BB6_7994 Depth=3
	s_andn2_saveexec_b32 s16, s16
; %bb.8685:                             ;   in Loop: Header=BB6_7994 Depth=3
	v_bfe_u32 v14, v7, 23, 1
; %bb.8686:                             ;   in Loop: Header=BB6_7994 Depth=3
	s_or_b32 exec_lo, exec_lo, s16
	v_lshrrev_b32_e32 v5, 21, v7
	v_min_i32_e32 v6, 31, v14
	v_cmp_gt_i32_e32 vcc_lo, 32, v14
	v_and_b32_sdwa v4, v4, v117 dst_sel:DWORD dst_unused:UNUSED_PAD src0_sel:BYTE_3 src1_sel:DWORD
	v_lshlrev_b32_e32 v6, 2, v6
	v_cndmask_b32_e32 v5, 3, v5, vcc_lo
	v_and_b32_e32 v6, 0xfc, v6
	v_or_b32_e32 v7, v14, v5
	v_and_b32_e32 v5, 3, v5
	v_cmp_ne_u32_e32 vcc_lo, 0, v7
	v_or3_b32 v4, v6, v4, v5
	v_cndmask_b32_e32 v94, 0, v4, vcc_lo
.LBB6_8687:                             ;   in Loop: Header=BB6_7994 Depth=3
	s_or_b32 exec_lo, exec_lo, s73
.LBB6_8688:                             ;   in Loop: Header=BB6_7994 Depth=3
	s_or_b32 exec_lo, exec_lo, s72
	v_cmp_gt_i16_sdwa s72, v8, v116 src0_sel:BYTE_1 src1_sel:DWORD
	s_mov_b32 s16, 0
	s_and_saveexec_b32 s73, s72
	s_xor_b32 s72, exec_lo, s73
	s_cbranch_execz .LBB6_10274
; %bb.8689:                             ;   in Loop: Header=BB6_7994 Depth=3
	v_cmp_eq_u16_sdwa s74, v8, v117 src0_sel:BYTE_1 src1_sel:DWORD
	s_mov_b32 s16, -1
	s_and_saveexec_b32 s73, s74
; %bb.8690:                             ;   in Loop: Header=BB6_7994 Depth=3
	s_xor_b32 s16, exec_lo, -1
; %bb.8691:                             ;   in Loop: Header=BB6_7994 Depth=3
	s_or_b32 exec_lo, exec_lo, s73
	s_and_b32 s16, s16, exec_lo
	s_or_saveexec_b32 s72, s72
	v_mov_b32_e32 v4, 0x7f800001
	s_xor_b32 exec_lo, exec_lo, s72
	s_cbranch_execnz .LBB6_10275
.LBB6_8692:                             ;   in Loop: Header=BB6_7994 Depth=3
	s_or_b32 exec_lo, exec_lo, s72
	s_and_saveexec_b32 s72, s16
	s_cbranch_execz .LBB6_8694
.LBB6_8693:                             ;   in Loop: Header=BB6_7994 Depth=3
	v_and_b32_sdwa v4, v118, v8 dst_sel:DWORD dst_unused:UNUSED_PAD src0_sel:DWORD src1_sel:BYTE_1
	v_and_b32_e32 v5, 3, v4
	v_bfe_u32 v14, v4, 2, 5
	v_ffbh_u32_e32 v6, v5
	v_cmp_eq_u32_e32 vcc_lo, 0, v14
	v_min_u32_e32 v6, 32, v6
	v_subrev_nc_u32_e32 v7, 29, v6
	v_sub_nc_u32_e32 v6, 30, v6
	v_lshlrev_b32_e32 v4, v7, v4
	v_lshlrev_b32_sdwa v7, v119, v8 dst_sel:DWORD dst_unused:UNUSED_PAD src0_sel:DWORD src1_sel:BYTE_1
	v_cndmask_b32_e32 v6, v14, v6, vcc_lo
	v_and_b32_e32 v4, 3, v4
	v_lshl_add_u32 v6, v6, 23, 0x37800000
	v_cndmask_b32_e32 v4, v5, v4, vcc_lo
	v_and_b32_e32 v5, 0x80000000, v7
	v_lshlrev_b32_e32 v4, 21, v4
	v_or3_b32 v4, v5, v6, v4
.LBB6_8694:                             ;   in Loop: Header=BB6_7994 Depth=3
	s_or_b32 exec_lo, exec_lo, s72
	v_mul_f32_e32 v4, s23, v4
	v_mov_b32_e32 v50, 0x8000
	s_mov_b32 s72, exec_lo
	v_and_b32_e32 v5, 0x7f800000, v4
	v_cmpx_ne_u32_e32 0x7f800000, v5
	s_cbranch_execz .LBB6_8702
; %bb.8695:                             ;   in Loop: Header=BB6_7994 Depth=3
	v_mov_b32_e32 v50, 0
	s_mov_b32 s73, exec_lo
	v_cmpx_ne_u32_e32 0, v4
	s_cbranch_execz .LBB6_8701
; %bb.8696:                             ;   in Loop: Header=BB6_7994 Depth=3
	v_bfe_u32 v6, v4, 23, 8
	v_and_b32_e32 v5, 0x7fffff, v4
	v_cmp_gt_u32_e64 s16, 0x71, v6
	v_sub_nc_u32_e32 v7, 0x70, v6
	v_cmp_eq_u32_e32 vcc_lo, 0, v6
	v_or_b32_e32 v14, 0x800000, v5
	v_cndmask_b32_e64 v7, 0, v7, s16
	v_cndmask_b32_e32 v5, v14, v5, vcc_lo
	v_cndmask_b32_e64 v7, v7, 0x6f, vcc_lo
	v_lshl_add_u32 v14, 0x200000, v7, -1
	v_lshlrev_b32_e64 v15, v7, 0x100000
	v_and_b32_e32 v14, v14, v5
	v_cmp_eq_u32_e64 s16, v14, v15
	v_lshrrev_b32_e32 v14, v7, v5
	v_add_nc_u32_e32 v5, 0xffffff91, v6
	v_lshrrev_b32_e32 v6, 23, v14
	v_cndmask_b32_e64 v5, v5, 0xffffff92, vcc_lo
	v_xor_b32_e32 v6, 1, v6
	v_add_nc_u32_e32 v5, v7, v5
	v_bfe_u32 v7, v14, 21, 1
	v_add_nc_u32_e32 v7, -1, v7
	v_cndmask_b32_e64 v7, 0, v7, s16
	s_mov_b32 s16, exec_lo
	v_add_nc_u32_e32 v7, v7, v14
	v_and_b32_e32 v7, 0x1fffff, v7
	v_add_nc_u32_e32 v7, v7, v14
                                        ; implicit-def: $vgpr14
	v_cmpx_ne_u32_e64 v5, v6
	s_xor_b32 s16, exec_lo, s16
; %bb.8697:                             ;   in Loop: Header=BB6_7994 Depth=3
	v_cmp_lt_u32_e32 vcc_lo, 0xffffff, v7
	v_sub_nc_u32_e32 v5, v5, v6
	v_cndmask_b32_e64 v6, 0, 1, vcc_lo
	v_add_co_ci_u32_e64 v14, null, 0, v5, vcc_lo
	v_lshrrev_b32_e32 v7, v6, v7
; %bb.8698:                             ;   in Loop: Header=BB6_7994 Depth=3
	s_andn2_saveexec_b32 s16, s16
; %bb.8699:                             ;   in Loop: Header=BB6_7994 Depth=3
	v_bfe_u32 v14, v7, 23, 1
; %bb.8700:                             ;   in Loop: Header=BB6_7994 Depth=3
	s_or_b32 exec_lo, exec_lo, s16
	v_lshrrev_b32_e32 v5, 21, v7
	v_min_i32_e32 v6, 31, v14
	v_cmp_gt_i32_e32 vcc_lo, 32, v14
	v_and_b32_sdwa v4, v4, v117 dst_sel:DWORD dst_unused:UNUSED_PAD src0_sel:BYTE_3 src1_sel:DWORD
	v_lshlrev_b32_e32 v6, 2, v6
	v_cndmask_b32_e32 v5, 3, v5, vcc_lo
	v_and_b32_e32 v6, 0xfc, v6
	v_or_b32_e32 v7, v14, v5
	v_and_b32_e32 v5, 3, v5
	v_cmp_ne_u32_e32 vcc_lo, 0, v7
	v_or3_b32 v4, v4, v6, v5
	v_lshlrev_b32_e32 v4, 8, v4
	v_cndmask_b32_e32 v50, 0, v4, vcc_lo
.LBB6_8701:                             ;   in Loop: Header=BB6_7994 Depth=3
	s_or_b32 exec_lo, exec_lo, s73
.LBB6_8702:                             ;   in Loop: Header=BB6_7994 Depth=3
	s_or_b32 exec_lo, exec_lo, s72
	v_and_b32_sdwa v5, v8, v40 dst_sel:DWORD dst_unused:UNUSED_PAD src0_sel:WORD_1 src1_sel:DWORD
	s_mov_b32 s72, 0
	s_mov_b32 s16, exec_lo
	v_cmpx_lt_i16_e32 0x7f, v5
	s_xor_b32 s16, exec_lo, s16
	s_cbranch_execz .LBB6_10276
; %bb.8703:                             ;   in Loop: Header=BB6_7994 Depth=3
	s_mov_b32 s72, -1
	s_mov_b32 s73, exec_lo
	v_cmpx_eq_u16_e32 0x80, v5
; %bb.8704:                             ;   in Loop: Header=BB6_7994 Depth=3
	s_xor_b32 s72, exec_lo, -1
; %bb.8705:                             ;   in Loop: Header=BB6_7994 Depth=3
	s_or_b32 exec_lo, exec_lo, s73
	s_and_b32 s72, s72, exec_lo
                                        ; implicit-def: $vgpr5
	s_or_saveexec_b32 s16, s16
	v_mov_b32_e32 v4, 0x7f800001
	s_xor_b32 exec_lo, exec_lo, s16
	s_cbranch_execnz .LBB6_10277
.LBB6_8706:                             ;   in Loop: Header=BB6_7994 Depth=3
	s_or_b32 exec_lo, exec_lo, s16
	s_and_saveexec_b32 s16, s72
	s_cbranch_execz .LBB6_8708
.LBB6_8707:                             ;   in Loop: Header=BB6_7994 Depth=3
	v_bfe_u32 v4, v8, 16, 2
	v_bfe_u32 v5, v8, 18, 5
	v_ffbh_u32_e32 v6, v4
	v_cmp_eq_u32_e32 vcc_lo, 0, v5
	v_min_u32_e32 v6, 32, v6
	v_subrev_nc_u32_e32 v7, 29, v6
	v_sub_nc_u32_e32 v6, 30, v6
	v_lshlrev_b32_sdwa v7, v7, v8 dst_sel:DWORD dst_unused:UNUSED_PAD src0_sel:DWORD src1_sel:WORD_1
	v_cndmask_b32_e32 v5, v5, v6, vcc_lo
	v_lshlrev_b32_e32 v6, 8, v8
	v_and_b32_e32 v7, 3, v7
	v_lshl_add_u32 v5, v5, 23, 0x37800000
	v_and_b32_e32 v6, 0x80000000, v6
	v_cndmask_b32_e32 v4, v4, v7, vcc_lo
	v_lshlrev_b32_e32 v4, 21, v4
	v_or3_b32 v4, v6, v5, v4
.LBB6_8708:                             ;   in Loop: Header=BB6_7994 Depth=3
	s_or_b32 exec_lo, exec_lo, s16
	v_mul_f32_e32 v4, s23, v4
	v_and_b32_e32 v5, 0x7f800000, v4
	v_cmp_ne_u32_e32 vcc_lo, 0x7f800000, v5
	v_mov_b32_e32 v5, 0x80
	s_and_saveexec_b32 s72, vcc_lo
	s_cbranch_execz .LBB6_8716
; %bb.8709:                             ;   in Loop: Header=BB6_7994 Depth=3
	v_mov_b32_e32 v5, 0
	s_mov_b32 s73, exec_lo
	v_cmpx_ne_u32_e32 0, v4
	s_cbranch_execz .LBB6_8715
; %bb.8710:                             ;   in Loop: Header=BB6_7994 Depth=3
	v_bfe_u32 v6, v4, 23, 8
	v_and_b32_e32 v5, 0x7fffff, v4
	v_cmp_gt_u32_e64 s16, 0x71, v6
	v_sub_nc_u32_e32 v7, 0x70, v6
	v_cmp_eq_u32_e32 vcc_lo, 0, v6
	v_or_b32_e32 v14, 0x800000, v5
	v_cndmask_b32_e64 v7, 0, v7, s16
	v_cndmask_b32_e32 v5, v14, v5, vcc_lo
	v_cndmask_b32_e64 v7, v7, 0x6f, vcc_lo
	v_lshl_add_u32 v14, 0x200000, v7, -1
	v_lshlrev_b32_e64 v15, v7, 0x100000
	v_and_b32_e32 v14, v14, v5
	v_cmp_eq_u32_e64 s16, v14, v15
	v_lshrrev_b32_e32 v14, v7, v5
	v_add_nc_u32_e32 v5, 0xffffff91, v6
	v_lshrrev_b32_e32 v6, 23, v14
	v_cndmask_b32_e64 v5, v5, 0xffffff92, vcc_lo
	v_xor_b32_e32 v6, 1, v6
	v_add_nc_u32_e32 v5, v7, v5
	v_bfe_u32 v7, v14, 21, 1
	v_add_nc_u32_e32 v7, -1, v7
	v_cndmask_b32_e64 v7, 0, v7, s16
	s_mov_b32 s16, exec_lo
	v_add_nc_u32_e32 v7, v7, v14
	v_and_b32_e32 v7, 0x1fffff, v7
	v_add_nc_u32_e32 v7, v7, v14
                                        ; implicit-def: $vgpr14
	v_cmpx_ne_u32_e64 v5, v6
	s_xor_b32 s16, exec_lo, s16
; %bb.8711:                             ;   in Loop: Header=BB6_7994 Depth=3
	v_cmp_lt_u32_e32 vcc_lo, 0xffffff, v7
	v_sub_nc_u32_e32 v5, v5, v6
	v_cndmask_b32_e64 v6, 0, 1, vcc_lo
	v_add_co_ci_u32_e64 v14, null, 0, v5, vcc_lo
	v_lshrrev_b32_e32 v7, v6, v7
; %bb.8712:                             ;   in Loop: Header=BB6_7994 Depth=3
	s_andn2_saveexec_b32 s16, s16
; %bb.8713:                             ;   in Loop: Header=BB6_7994 Depth=3
	v_bfe_u32 v14, v7, 23, 1
; %bb.8714:                             ;   in Loop: Header=BB6_7994 Depth=3
	s_or_b32 exec_lo, exec_lo, s16
	v_lshrrev_b32_e32 v5, 21, v7
	v_min_i32_e32 v6, 31, v14
	v_cmp_gt_i32_e32 vcc_lo, 32, v14
	v_and_b32_sdwa v4, v4, v117 dst_sel:DWORD dst_unused:UNUSED_PAD src0_sel:BYTE_3 src1_sel:DWORD
	v_lshlrev_b32_e32 v6, 2, v6
	v_cndmask_b32_e32 v5, 3, v5, vcc_lo
	v_and_b32_e32 v6, 0xfc, v6
	v_or_b32_e32 v7, v14, v5
	v_and_b32_e32 v5, 3, v5
	v_cmp_ne_u32_e32 vcc_lo, 0, v7
	v_or3_b32 v4, v6, v4, v5
	v_cndmask_b32_e32 v5, 0, v4, vcc_lo
.LBB6_8715:                             ;   in Loop: Header=BB6_7994 Depth=3
	s_or_b32 exec_lo, exec_lo, s73
.LBB6_8716:                             ;   in Loop: Header=BB6_7994 Depth=3
	s_or_b32 exec_lo, exec_lo, s72
	v_cmp_gt_i16_sdwa s72, v8, v116 src0_sel:BYTE_3 src1_sel:DWORD
	s_mov_b32 s16, 0
	s_and_saveexec_b32 s73, s72
	s_xor_b32 s72, exec_lo, s73
	s_cbranch_execz .LBB6_10278
; %bb.8717:                             ;   in Loop: Header=BB6_7994 Depth=3
	v_cmp_eq_u16_sdwa s74, v8, v117 src0_sel:BYTE_3 src1_sel:DWORD
	s_mov_b32 s16, -1
	s_and_saveexec_b32 s73, s74
; %bb.8718:                             ;   in Loop: Header=BB6_7994 Depth=3
	s_xor_b32 s16, exec_lo, -1
; %bb.8719:                             ;   in Loop: Header=BB6_7994 Depth=3
	s_or_b32 exec_lo, exec_lo, s73
	s_and_b32 s16, s16, exec_lo
	s_or_saveexec_b32 s72, s72
	v_mov_b32_e32 v4, 0x7f800001
	s_xor_b32 exec_lo, exec_lo, s72
	s_cbranch_execnz .LBB6_10279
.LBB6_8720:                             ;   in Loop: Header=BB6_7994 Depth=3
	s_or_b32 exec_lo, exec_lo, s72
	s_and_saveexec_b32 s72, s16
	s_cbranch_execz .LBB6_8722
.LBB6_8721:                             ;   in Loop: Header=BB6_7994 Depth=3
	v_bfe_u32 v4, v8, 24, 2
	v_bfe_u32 v14, v8, 26, 5
	v_ffbh_u32_e32 v6, v4
	v_cmp_eq_u32_e32 vcc_lo, 0, v14
	v_min_u32_e32 v6, 32, v6
	v_subrev_nc_u32_e32 v7, 29, v6
	v_sub_nc_u32_e32 v6, 30, v6
	v_lshlrev_b32_sdwa v7, v7, v8 dst_sel:DWORD dst_unused:UNUSED_PAD src0_sel:DWORD src1_sel:BYTE_3
	v_cndmask_b32_e32 v6, v14, v6, vcc_lo
	v_and_b32_e32 v7, 3, v7
	v_lshl_add_u32 v6, v6, 23, 0x37800000
	v_cndmask_b32_e32 v4, v4, v7, vcc_lo
	v_and_b32_e32 v7, 0x80000000, v8
	v_lshlrev_b32_e32 v4, 21, v4
	v_or3_b32 v4, v7, v6, v4
.LBB6_8722:                             ;   in Loop: Header=BB6_7994 Depth=3
	s_or_b32 exec_lo, exec_lo, s72
	v_mul_f32_e32 v4, s23, v4
	v_mov_b32_e32 v104, 0x8000
	s_mov_b32 s72, exec_lo
	v_and_b32_e32 v6, 0x7f800000, v4
	v_cmpx_ne_u32_e32 0x7f800000, v6
	s_cbranch_execz .LBB6_8730
; %bb.8723:                             ;   in Loop: Header=BB6_7994 Depth=3
	v_mov_b32_e32 v104, 0
	s_mov_b32 s73, exec_lo
	v_cmpx_ne_u32_e32 0, v4
	s_cbranch_execz .LBB6_8729
; %bb.8724:                             ;   in Loop: Header=BB6_7994 Depth=3
	v_bfe_u32 v7, v4, 23, 8
	v_and_b32_e32 v6, 0x7fffff, v4
	v_cmp_gt_u32_e64 s16, 0x71, v7
	v_sub_nc_u32_e32 v8, 0x70, v7
	v_cmp_eq_u32_e32 vcc_lo, 0, v7
	v_or_b32_e32 v14, 0x800000, v6
	v_cndmask_b32_e64 v8, 0, v8, s16
	v_cndmask_b32_e32 v6, v14, v6, vcc_lo
	v_cndmask_b32_e64 v8, v8, 0x6f, vcc_lo
	v_lshl_add_u32 v14, 0x200000, v8, -1
	v_lshlrev_b32_e64 v15, v8, 0x100000
	v_and_b32_e32 v14, v14, v6
	v_cmp_eq_u32_e64 s16, v14, v15
	v_lshrrev_b32_e32 v14, v8, v6
	v_add_nc_u32_e32 v6, 0xffffff91, v7
	v_lshrrev_b32_e32 v7, 23, v14
	v_cndmask_b32_e64 v6, v6, 0xffffff92, vcc_lo
	v_xor_b32_e32 v7, 1, v7
	v_add_nc_u32_e32 v6, v8, v6
	v_bfe_u32 v8, v14, 21, 1
	v_add_nc_u32_e32 v8, -1, v8
	v_cndmask_b32_e64 v8, 0, v8, s16
	s_mov_b32 s16, exec_lo
	v_add_nc_u32_e32 v8, v8, v14
	v_and_b32_e32 v8, 0x1fffff, v8
	v_add_nc_u32_e32 v8, v8, v14
                                        ; implicit-def: $vgpr14
	v_cmpx_ne_u32_e64 v6, v7
	s_xor_b32 s16, exec_lo, s16
; %bb.8725:                             ;   in Loop: Header=BB6_7994 Depth=3
	v_cmp_lt_u32_e32 vcc_lo, 0xffffff, v8
	v_sub_nc_u32_e32 v6, v6, v7
	v_cndmask_b32_e64 v7, 0, 1, vcc_lo
	v_add_co_ci_u32_e64 v14, null, 0, v6, vcc_lo
	v_lshrrev_b32_e32 v8, v7, v8
; %bb.8726:                             ;   in Loop: Header=BB6_7994 Depth=3
	s_andn2_saveexec_b32 s16, s16
; %bb.8727:                             ;   in Loop: Header=BB6_7994 Depth=3
	v_bfe_u32 v14, v8, 23, 1
; %bb.8728:                             ;   in Loop: Header=BB6_7994 Depth=3
	s_or_b32 exec_lo, exec_lo, s16
	v_lshrrev_b32_e32 v6, 21, v8
	v_min_i32_e32 v7, 31, v14
	v_cmp_gt_i32_e32 vcc_lo, 32, v14
	v_and_b32_sdwa v4, v4, v117 dst_sel:DWORD dst_unused:UNUSED_PAD src0_sel:BYTE_3 src1_sel:DWORD
	v_lshlrev_b32_e32 v7, 2, v7
	v_cndmask_b32_e32 v6, 3, v6, vcc_lo
	v_and_b32_e32 v7, 0xfc, v7
	v_or_b32_e32 v8, v14, v6
	v_and_b32_e32 v6, 3, v6
	v_cmp_ne_u32_e32 vcc_lo, 0, v8
	v_or3_b32 v4, v4, v7, v6
	v_lshlrev_b32_e32 v4, 8, v4
	v_cndmask_b32_e32 v104, 0, v4, vcc_lo
.LBB6_8729:                             ;   in Loop: Header=BB6_7994 Depth=3
	s_or_b32 exec_lo, exec_lo, s73
.LBB6_8730:                             ;   in Loop: Header=BB6_7994 Depth=3
	s_or_b32 exec_lo, exec_lo, s72
	v_cmp_gt_i16_sdwa s16, v9, v116 src0_sel:BYTE_0 src1_sel:DWORD
	s_mov_b32 s72, 0
	s_and_saveexec_b32 s73, s16
	s_xor_b32 s16, exec_lo, s73
	s_cbranch_execz .LBB6_10280
; %bb.8731:                             ;   in Loop: Header=BB6_7994 Depth=3
	v_cmp_eq_u16_sdwa s74, v9, v117 src0_sel:BYTE_0 src1_sel:DWORD
	s_mov_b32 s72, -1
	s_and_saveexec_b32 s73, s74
; %bb.8732:                             ;   in Loop: Header=BB6_7994 Depth=3
	s_xor_b32 s72, exec_lo, -1
; %bb.8733:                             ;   in Loop: Header=BB6_7994 Depth=3
	s_or_b32 exec_lo, exec_lo, s73
	s_and_b32 s72, s72, exec_lo
	s_or_saveexec_b32 s16, s16
	v_mov_b32_e32 v4, 0x7f800001
	s_xor_b32 exec_lo, exec_lo, s16
	s_cbranch_execnz .LBB6_10281
.LBB6_8734:                             ;   in Loop: Header=BB6_7994 Depth=3
	s_or_b32 exec_lo, exec_lo, s16
	s_and_saveexec_b32 s16, s72
	s_cbranch_execz .LBB6_8736
.LBB6_8735:                             ;   in Loop: Header=BB6_7994 Depth=3
	v_and_b32_e32 v4, 3, v9
	v_bfe_u32 v6, v9, 2, 5
	v_ffbh_u32_e32 v7, v4
	v_cmp_eq_u32_e32 vcc_lo, 0, v6
	v_min_u32_e32 v7, 32, v7
	v_subrev_nc_u32_e32 v8, 29, v7
	v_sub_nc_u32_e32 v7, 30, v7
	v_lshlrev_b32_e32 v8, v8, v9
	v_cndmask_b32_e32 v6, v6, v7, vcc_lo
	v_lshlrev_b32_e32 v7, 24, v9
	v_and_b32_e32 v8, 3, v8
	v_lshl_add_u32 v6, v6, 23, 0x37800000
	v_and_b32_e32 v7, 0x80000000, v7
	v_cndmask_b32_e32 v4, v4, v8, vcc_lo
	v_lshlrev_b32_e32 v4, 21, v4
	v_or3_b32 v4, v7, v6, v4
.LBB6_8736:                             ;   in Loop: Header=BB6_7994 Depth=3
	s_or_b32 exec_lo, exec_lo, s16
	v_mul_f32_e32 v4, s23, v4
	v_mov_b32_e32 v92, 0x80
	s_mov_b32 s72, exec_lo
	v_and_b32_e32 v6, 0x7f800000, v4
	v_cmpx_ne_u32_e32 0x7f800000, v6
	s_cbranch_execz .LBB6_8744
; %bb.8737:                             ;   in Loop: Header=BB6_7994 Depth=3
	v_mov_b32_e32 v92, 0
	s_mov_b32 s73, exec_lo
	v_cmpx_ne_u32_e32 0, v4
	s_cbranch_execz .LBB6_8743
; %bb.8738:                             ;   in Loop: Header=BB6_7994 Depth=3
	v_bfe_u32 v7, v4, 23, 8
	v_and_b32_e32 v6, 0x7fffff, v4
	v_cmp_gt_u32_e64 s16, 0x71, v7
	v_sub_nc_u32_e32 v8, 0x70, v7
	v_cmp_eq_u32_e32 vcc_lo, 0, v7
	v_or_b32_e32 v14, 0x800000, v6
	v_cndmask_b32_e64 v8, 0, v8, s16
	v_cndmask_b32_e32 v6, v14, v6, vcc_lo
	v_cndmask_b32_e64 v8, v8, 0x6f, vcc_lo
	v_lshl_add_u32 v14, 0x200000, v8, -1
	v_lshlrev_b32_e64 v15, v8, 0x100000
	v_and_b32_e32 v14, v14, v6
	v_cmp_eq_u32_e64 s16, v14, v15
	v_lshrrev_b32_e32 v14, v8, v6
	v_add_nc_u32_e32 v6, 0xffffff91, v7
	v_lshrrev_b32_e32 v7, 23, v14
	v_cndmask_b32_e64 v6, v6, 0xffffff92, vcc_lo
	v_xor_b32_e32 v7, 1, v7
	v_add_nc_u32_e32 v6, v8, v6
	v_bfe_u32 v8, v14, 21, 1
	v_add_nc_u32_e32 v8, -1, v8
	v_cndmask_b32_e64 v8, 0, v8, s16
	s_mov_b32 s16, exec_lo
	v_add_nc_u32_e32 v8, v8, v14
	v_and_b32_e32 v8, 0x1fffff, v8
	v_add_nc_u32_e32 v8, v8, v14
                                        ; implicit-def: $vgpr14
	v_cmpx_ne_u32_e64 v6, v7
	s_xor_b32 s16, exec_lo, s16
; %bb.8739:                             ;   in Loop: Header=BB6_7994 Depth=3
	v_cmp_lt_u32_e32 vcc_lo, 0xffffff, v8
	v_sub_nc_u32_e32 v6, v6, v7
	v_cndmask_b32_e64 v7, 0, 1, vcc_lo
	v_add_co_ci_u32_e64 v14, null, 0, v6, vcc_lo
	v_lshrrev_b32_e32 v8, v7, v8
; %bb.8740:                             ;   in Loop: Header=BB6_7994 Depth=3
	s_andn2_saveexec_b32 s16, s16
; %bb.8741:                             ;   in Loop: Header=BB6_7994 Depth=3
	v_bfe_u32 v14, v8, 23, 1
; %bb.8742:                             ;   in Loop: Header=BB6_7994 Depth=3
	s_or_b32 exec_lo, exec_lo, s16
	v_lshrrev_b32_e32 v6, 21, v8
	v_min_i32_e32 v7, 31, v14
	v_cmp_gt_i32_e32 vcc_lo, 32, v14
	v_and_b32_sdwa v4, v4, v117 dst_sel:DWORD dst_unused:UNUSED_PAD src0_sel:BYTE_3 src1_sel:DWORD
	v_lshlrev_b32_e32 v7, 2, v7
	v_cndmask_b32_e32 v6, 3, v6, vcc_lo
	v_and_b32_e32 v7, 0xfc, v7
	v_or_b32_e32 v8, v14, v6
	v_and_b32_e32 v6, 3, v6
	v_cmp_ne_u32_e32 vcc_lo, 0, v8
	v_or3_b32 v4, v7, v4, v6
	v_cndmask_b32_e32 v92, 0, v4, vcc_lo
.LBB6_8743:                             ;   in Loop: Header=BB6_7994 Depth=3
	s_or_b32 exec_lo, exec_lo, s73
.LBB6_8744:                             ;   in Loop: Header=BB6_7994 Depth=3
	s_or_b32 exec_lo, exec_lo, s72
	v_cmp_gt_i16_sdwa s72, v9, v116 src0_sel:BYTE_1 src1_sel:DWORD
	s_mov_b32 s16, 0
	s_and_saveexec_b32 s73, s72
	s_xor_b32 s72, exec_lo, s73
	s_cbranch_execz .LBB6_10282
; %bb.8745:                             ;   in Loop: Header=BB6_7994 Depth=3
	v_cmp_eq_u16_sdwa s74, v9, v117 src0_sel:BYTE_1 src1_sel:DWORD
	s_mov_b32 s16, -1
	s_and_saveexec_b32 s73, s74
; %bb.8746:                             ;   in Loop: Header=BB6_7994 Depth=3
	s_xor_b32 s16, exec_lo, -1
; %bb.8747:                             ;   in Loop: Header=BB6_7994 Depth=3
	s_or_b32 exec_lo, exec_lo, s73
	s_and_b32 s16, s16, exec_lo
	s_or_saveexec_b32 s72, s72
	v_mov_b32_e32 v4, 0x7f800001
	s_xor_b32 exec_lo, exec_lo, s72
	s_cbranch_execnz .LBB6_10283
.LBB6_8748:                             ;   in Loop: Header=BB6_7994 Depth=3
	s_or_b32 exec_lo, exec_lo, s72
	s_and_saveexec_b32 s72, s16
	s_cbranch_execz .LBB6_8750
.LBB6_8749:                             ;   in Loop: Header=BB6_7994 Depth=3
	v_and_b32_sdwa v4, v118, v9 dst_sel:DWORD dst_unused:UNUSED_PAD src0_sel:DWORD src1_sel:BYTE_1
	v_and_b32_e32 v6, 3, v4
	v_bfe_u32 v14, v4, 2, 5
	v_ffbh_u32_e32 v7, v6
	v_cmp_eq_u32_e32 vcc_lo, 0, v14
	v_min_u32_e32 v7, 32, v7
	v_subrev_nc_u32_e32 v8, 29, v7
	v_sub_nc_u32_e32 v7, 30, v7
	v_lshlrev_b32_e32 v4, v8, v4
	v_lshlrev_b32_sdwa v8, v119, v9 dst_sel:DWORD dst_unused:UNUSED_PAD src0_sel:DWORD src1_sel:BYTE_1
	v_cndmask_b32_e32 v7, v14, v7, vcc_lo
	v_and_b32_e32 v4, 3, v4
	v_lshl_add_u32 v7, v7, 23, 0x37800000
	v_cndmask_b32_e32 v4, v6, v4, vcc_lo
	v_and_b32_e32 v6, 0x80000000, v8
	v_lshlrev_b32_e32 v4, 21, v4
	v_or3_b32 v4, v6, v7, v4
.LBB6_8750:                             ;   in Loop: Header=BB6_7994 Depth=3
	s_or_b32 exec_lo, exec_lo, s72
	v_mul_f32_e32 v4, s23, v4
	v_mov_b32_e32 v93, 0x8000
	s_mov_b32 s72, exec_lo
	v_and_b32_e32 v6, 0x7f800000, v4
	v_cmpx_ne_u32_e32 0x7f800000, v6
	s_cbranch_execz .LBB6_8758
; %bb.8751:                             ;   in Loop: Header=BB6_7994 Depth=3
	v_mov_b32_e32 v93, 0
	s_mov_b32 s73, exec_lo
	v_cmpx_ne_u32_e32 0, v4
	s_cbranch_execz .LBB6_8757
; %bb.8752:                             ;   in Loop: Header=BB6_7994 Depth=3
	v_bfe_u32 v7, v4, 23, 8
	v_and_b32_e32 v6, 0x7fffff, v4
	v_cmp_gt_u32_e64 s16, 0x71, v7
	v_sub_nc_u32_e32 v8, 0x70, v7
	v_cmp_eq_u32_e32 vcc_lo, 0, v7
	v_or_b32_e32 v14, 0x800000, v6
	v_cndmask_b32_e64 v8, 0, v8, s16
	v_cndmask_b32_e32 v6, v14, v6, vcc_lo
	v_cndmask_b32_e64 v8, v8, 0x6f, vcc_lo
	v_lshl_add_u32 v14, 0x200000, v8, -1
	v_lshlrev_b32_e64 v15, v8, 0x100000
	v_and_b32_e32 v14, v14, v6
	v_cmp_eq_u32_e64 s16, v14, v15
	v_lshrrev_b32_e32 v14, v8, v6
	v_add_nc_u32_e32 v6, 0xffffff91, v7
	v_lshrrev_b32_e32 v7, 23, v14
	v_cndmask_b32_e64 v6, v6, 0xffffff92, vcc_lo
	v_xor_b32_e32 v7, 1, v7
	v_add_nc_u32_e32 v6, v8, v6
	v_bfe_u32 v8, v14, 21, 1
	v_add_nc_u32_e32 v8, -1, v8
	v_cndmask_b32_e64 v8, 0, v8, s16
	s_mov_b32 s16, exec_lo
	v_add_nc_u32_e32 v8, v8, v14
	v_and_b32_e32 v8, 0x1fffff, v8
	v_add_nc_u32_e32 v8, v8, v14
                                        ; implicit-def: $vgpr14
	v_cmpx_ne_u32_e64 v6, v7
	s_xor_b32 s16, exec_lo, s16
; %bb.8753:                             ;   in Loop: Header=BB6_7994 Depth=3
	v_cmp_lt_u32_e32 vcc_lo, 0xffffff, v8
	v_sub_nc_u32_e32 v6, v6, v7
	v_cndmask_b32_e64 v7, 0, 1, vcc_lo
	v_add_co_ci_u32_e64 v14, null, 0, v6, vcc_lo
	v_lshrrev_b32_e32 v8, v7, v8
; %bb.8754:                             ;   in Loop: Header=BB6_7994 Depth=3
	s_andn2_saveexec_b32 s16, s16
; %bb.8755:                             ;   in Loop: Header=BB6_7994 Depth=3
	v_bfe_u32 v14, v8, 23, 1
; %bb.8756:                             ;   in Loop: Header=BB6_7994 Depth=3
	s_or_b32 exec_lo, exec_lo, s16
	v_lshrrev_b32_e32 v6, 21, v8
	v_min_i32_e32 v7, 31, v14
	v_cmp_gt_i32_e32 vcc_lo, 32, v14
	v_and_b32_sdwa v4, v4, v117 dst_sel:DWORD dst_unused:UNUSED_PAD src0_sel:BYTE_3 src1_sel:DWORD
	v_lshlrev_b32_e32 v7, 2, v7
	v_cndmask_b32_e32 v6, 3, v6, vcc_lo
	v_and_b32_e32 v7, 0xfc, v7
	v_or_b32_e32 v8, v14, v6
	v_and_b32_e32 v6, 3, v6
	v_cmp_ne_u32_e32 vcc_lo, 0, v8
	v_or3_b32 v4, v4, v7, v6
	v_lshlrev_b32_e32 v4, 8, v4
	v_cndmask_b32_e32 v93, 0, v4, vcc_lo
.LBB6_8757:                             ;   in Loop: Header=BB6_7994 Depth=3
	s_or_b32 exec_lo, exec_lo, s73
.LBB6_8758:                             ;   in Loop: Header=BB6_7994 Depth=3
	s_or_b32 exec_lo, exec_lo, s72
	v_and_b32_sdwa v6, v9, v40 dst_sel:DWORD dst_unused:UNUSED_PAD src0_sel:WORD_1 src1_sel:DWORD
	s_mov_b32 s72, 0
	s_mov_b32 s16, exec_lo
	v_cmpx_lt_i16_e32 0x7f, v6
	s_xor_b32 s16, exec_lo, s16
	s_cbranch_execz .LBB6_10284
; %bb.8759:                             ;   in Loop: Header=BB6_7994 Depth=3
	s_mov_b32 s72, -1
	s_mov_b32 s73, exec_lo
	v_cmpx_eq_u16_e32 0x80, v6
; %bb.8760:                             ;   in Loop: Header=BB6_7994 Depth=3
	s_xor_b32 s72, exec_lo, -1
; %bb.8761:                             ;   in Loop: Header=BB6_7994 Depth=3
	s_or_b32 exec_lo, exec_lo, s73
	s_and_b32 s72, s72, exec_lo
                                        ; implicit-def: $vgpr6
	s_or_saveexec_b32 s16, s16
	v_mov_b32_e32 v4, 0x7f800001
	s_xor_b32 exec_lo, exec_lo, s16
	s_cbranch_execnz .LBB6_10285
.LBB6_8762:                             ;   in Loop: Header=BB6_7994 Depth=3
	s_or_b32 exec_lo, exec_lo, s16
	s_and_saveexec_b32 s16, s72
	s_cbranch_execz .LBB6_8764
.LBB6_8763:                             ;   in Loop: Header=BB6_7994 Depth=3
	v_bfe_u32 v4, v9, 16, 2
	v_bfe_u32 v6, v9, 18, 5
	v_ffbh_u32_e32 v7, v4
	v_cmp_eq_u32_e32 vcc_lo, 0, v6
	v_min_u32_e32 v7, 32, v7
	v_subrev_nc_u32_e32 v8, 29, v7
	v_sub_nc_u32_e32 v7, 30, v7
	v_lshlrev_b32_sdwa v8, v8, v9 dst_sel:DWORD dst_unused:UNUSED_PAD src0_sel:DWORD src1_sel:WORD_1
	v_cndmask_b32_e32 v6, v6, v7, vcc_lo
	v_lshlrev_b32_e32 v7, 8, v9
	v_and_b32_e32 v8, 3, v8
	v_lshl_add_u32 v6, v6, 23, 0x37800000
	v_and_b32_e32 v7, 0x80000000, v7
	v_cndmask_b32_e32 v4, v4, v8, vcc_lo
	v_lshlrev_b32_e32 v4, 21, v4
	v_or3_b32 v4, v7, v6, v4
.LBB6_8764:                             ;   in Loop: Header=BB6_7994 Depth=3
	s_or_b32 exec_lo, exec_lo, s16
	v_mul_f32_e32 v4, s23, v4
	v_mov_b32_e32 v90, 0x80
	s_mov_b32 s72, exec_lo
	v_and_b32_e32 v6, 0x7f800000, v4
	v_cmpx_ne_u32_e32 0x7f800000, v6
	s_cbranch_execz .LBB6_8772
; %bb.8765:                             ;   in Loop: Header=BB6_7994 Depth=3
	v_mov_b32_e32 v90, 0
	s_mov_b32 s73, exec_lo
	v_cmpx_ne_u32_e32 0, v4
	s_cbranch_execz .LBB6_8771
; %bb.8766:                             ;   in Loop: Header=BB6_7994 Depth=3
	v_bfe_u32 v7, v4, 23, 8
	v_and_b32_e32 v6, 0x7fffff, v4
	v_cmp_gt_u32_e64 s16, 0x71, v7
	v_sub_nc_u32_e32 v8, 0x70, v7
	v_cmp_eq_u32_e32 vcc_lo, 0, v7
	v_or_b32_e32 v14, 0x800000, v6
	v_cndmask_b32_e64 v8, 0, v8, s16
	v_cndmask_b32_e32 v6, v14, v6, vcc_lo
	v_cndmask_b32_e64 v8, v8, 0x6f, vcc_lo
	v_lshl_add_u32 v14, 0x200000, v8, -1
	v_lshlrev_b32_e64 v15, v8, 0x100000
	v_and_b32_e32 v14, v14, v6
	v_cmp_eq_u32_e64 s16, v14, v15
	v_lshrrev_b32_e32 v14, v8, v6
	v_add_nc_u32_e32 v6, 0xffffff91, v7
	v_lshrrev_b32_e32 v7, 23, v14
	v_cndmask_b32_e64 v6, v6, 0xffffff92, vcc_lo
	v_xor_b32_e32 v7, 1, v7
	v_add_nc_u32_e32 v6, v8, v6
	v_bfe_u32 v8, v14, 21, 1
	v_add_nc_u32_e32 v8, -1, v8
	v_cndmask_b32_e64 v8, 0, v8, s16
	s_mov_b32 s16, exec_lo
	v_add_nc_u32_e32 v8, v8, v14
	v_and_b32_e32 v8, 0x1fffff, v8
	v_add_nc_u32_e32 v8, v8, v14
                                        ; implicit-def: $vgpr14
	v_cmpx_ne_u32_e64 v6, v7
	s_xor_b32 s16, exec_lo, s16
; %bb.8767:                             ;   in Loop: Header=BB6_7994 Depth=3
	v_cmp_lt_u32_e32 vcc_lo, 0xffffff, v8
	v_sub_nc_u32_e32 v6, v6, v7
	v_cndmask_b32_e64 v7, 0, 1, vcc_lo
	v_add_co_ci_u32_e64 v14, null, 0, v6, vcc_lo
	v_lshrrev_b32_e32 v8, v7, v8
; %bb.8768:                             ;   in Loop: Header=BB6_7994 Depth=3
	s_andn2_saveexec_b32 s16, s16
; %bb.8769:                             ;   in Loop: Header=BB6_7994 Depth=3
	v_bfe_u32 v14, v8, 23, 1
; %bb.8770:                             ;   in Loop: Header=BB6_7994 Depth=3
	s_or_b32 exec_lo, exec_lo, s16
	v_lshrrev_b32_e32 v6, 21, v8
	v_min_i32_e32 v7, 31, v14
	v_cmp_gt_i32_e32 vcc_lo, 32, v14
	v_and_b32_sdwa v4, v4, v117 dst_sel:DWORD dst_unused:UNUSED_PAD src0_sel:BYTE_3 src1_sel:DWORD
	v_lshlrev_b32_e32 v7, 2, v7
	v_cndmask_b32_e32 v6, 3, v6, vcc_lo
	v_and_b32_e32 v7, 0xfc, v7
	v_or_b32_e32 v8, v14, v6
	v_and_b32_e32 v6, 3, v6
	v_cmp_ne_u32_e32 vcc_lo, 0, v8
	v_or3_b32 v4, v7, v4, v6
	v_cndmask_b32_e32 v90, 0, v4, vcc_lo
.LBB6_8771:                             ;   in Loop: Header=BB6_7994 Depth=3
	s_or_b32 exec_lo, exec_lo, s73
.LBB6_8772:                             ;   in Loop: Header=BB6_7994 Depth=3
	s_or_b32 exec_lo, exec_lo, s72
	v_cmp_gt_i16_sdwa s72, v9, v116 src0_sel:BYTE_3 src1_sel:DWORD
	s_mov_b32 s16, 0
	s_and_saveexec_b32 s73, s72
	s_xor_b32 s72, exec_lo, s73
	s_cbranch_execz .LBB6_10286
; %bb.8773:                             ;   in Loop: Header=BB6_7994 Depth=3
	v_cmp_eq_u16_sdwa s74, v9, v117 src0_sel:BYTE_3 src1_sel:DWORD
	s_mov_b32 s16, -1
	s_and_saveexec_b32 s73, s74
; %bb.8774:                             ;   in Loop: Header=BB6_7994 Depth=3
	s_xor_b32 s16, exec_lo, -1
; %bb.8775:                             ;   in Loop: Header=BB6_7994 Depth=3
	s_or_b32 exec_lo, exec_lo, s73
	s_and_b32 s16, s16, exec_lo
	s_or_saveexec_b32 s72, s72
	v_mov_b32_e32 v4, 0x7f800001
	s_xor_b32 exec_lo, exec_lo, s72
	s_cbranch_execnz .LBB6_10287
.LBB6_8776:                             ;   in Loop: Header=BB6_7994 Depth=3
	s_or_b32 exec_lo, exec_lo, s72
	s_and_saveexec_b32 s72, s16
	s_cbranch_execz .LBB6_8778
.LBB6_8777:                             ;   in Loop: Header=BB6_7994 Depth=3
	v_bfe_u32 v4, v9, 24, 2
	v_bfe_u32 v8, v9, 26, 5
	v_ffbh_u32_e32 v6, v4
	v_cmp_eq_u32_e32 vcc_lo, 0, v8
	v_min_u32_e32 v6, 32, v6
	v_subrev_nc_u32_e32 v7, 29, v6
	v_sub_nc_u32_e32 v6, 30, v6
	v_lshlrev_b32_sdwa v7, v7, v9 dst_sel:DWORD dst_unused:UNUSED_PAD src0_sel:DWORD src1_sel:BYTE_3
	v_cndmask_b32_e32 v6, v8, v6, vcc_lo
	v_and_b32_e32 v7, 3, v7
	v_lshl_add_u32 v6, v6, 23, 0x37800000
	v_cndmask_b32_e32 v4, v4, v7, vcc_lo
	v_and_b32_e32 v7, 0x80000000, v9
	v_lshlrev_b32_e32 v4, 21, v4
	v_or3_b32 v4, v7, v6, v4
.LBB6_8778:                             ;   in Loop: Header=BB6_7994 Depth=3
	s_or_b32 exec_lo, exec_lo, s72
	v_mul_f32_e32 v6, s23, v4
	v_and_b32_e32 v4, 0x7f800000, v6
	v_cmp_ne_u32_e32 vcc_lo, 0x7f800000, v4
	v_mov_b32_e32 v4, 0x8000
	s_and_saveexec_b32 s72, vcc_lo
	s_cbranch_execz .LBB6_8786
; %bb.8779:                             ;   in Loop: Header=BB6_7994 Depth=3
	v_mov_b32_e32 v4, 0
	s_mov_b32 s73, exec_lo
	v_cmpx_ne_u32_e32 0, v6
	s_cbranch_execz .LBB6_8785
; %bb.8780:                             ;   in Loop: Header=BB6_7994 Depth=3
	v_bfe_u32 v7, v6, 23, 8
	v_and_b32_e32 v4, 0x7fffff, v6
	v_cmp_gt_u32_e64 s16, 0x71, v7
	v_sub_nc_u32_e32 v8, 0x70, v7
	v_cmp_eq_u32_e32 vcc_lo, 0, v7
	v_or_b32_e32 v9, 0x800000, v4
	v_cndmask_b32_e64 v8, 0, v8, s16
	v_cndmask_b32_e32 v4, v9, v4, vcc_lo
	v_cndmask_b32_e64 v8, v8, 0x6f, vcc_lo
	v_lshl_add_u32 v9, 0x200000, v8, -1
	v_lshlrev_b32_e64 v14, v8, 0x100000
	v_and_b32_e32 v9, v9, v4
	v_cmp_eq_u32_e64 s16, v9, v14
	v_lshrrev_b32_e32 v9, v8, v4
	v_add_nc_u32_e32 v4, 0xffffff91, v7
	v_lshrrev_b32_e32 v7, 23, v9
	v_cndmask_b32_e64 v4, v4, 0xffffff92, vcc_lo
	v_xor_b32_e32 v7, 1, v7
	v_add_nc_u32_e32 v4, v8, v4
	v_bfe_u32 v8, v9, 21, 1
	v_add_nc_u32_e32 v8, -1, v8
	v_cndmask_b32_e64 v8, 0, v8, s16
	s_mov_b32 s16, exec_lo
	v_add_nc_u32_e32 v8, v8, v9
	v_and_b32_e32 v8, 0x1fffff, v8
	v_add_nc_u32_e32 v8, v8, v9
                                        ; implicit-def: $vgpr9
	v_cmpx_ne_u32_e64 v4, v7
	s_xor_b32 s16, exec_lo, s16
; %bb.8781:                             ;   in Loop: Header=BB6_7994 Depth=3
	v_cmp_lt_u32_e32 vcc_lo, 0xffffff, v8
	v_sub_nc_u32_e32 v4, v4, v7
	v_cndmask_b32_e64 v7, 0, 1, vcc_lo
	v_add_co_ci_u32_e64 v9, null, 0, v4, vcc_lo
	v_lshrrev_b32_e32 v8, v7, v8
; %bb.8782:                             ;   in Loop: Header=BB6_7994 Depth=3
	s_andn2_saveexec_b32 s16, s16
; %bb.8783:                             ;   in Loop: Header=BB6_7994 Depth=3
	v_bfe_u32 v9, v8, 23, 1
; %bb.8784:                             ;   in Loop: Header=BB6_7994 Depth=3
	s_or_b32 exec_lo, exec_lo, s16
	v_and_b32_sdwa v4, v6, v117 dst_sel:DWORD dst_unused:UNUSED_PAD src0_sel:BYTE_3 src1_sel:DWORD
	v_lshrrev_b32_e32 v6, 21, v8
	v_min_i32_e32 v7, 31, v9
	v_cmp_gt_i32_e32 vcc_lo, 32, v9
	v_lshlrev_b32_e32 v7, 2, v7
	v_cndmask_b32_e32 v6, 3, v6, vcc_lo
	v_and_b32_e32 v7, 0xfc, v7
	v_or_b32_e32 v8, v9, v6
	v_and_b32_e32 v6, 3, v6
	v_cmp_ne_u32_e32 vcc_lo, 0, v8
	v_or3_b32 v4, v4, v7, v6
	v_lshlrev_b32_e32 v4, 8, v4
	v_cndmask_b32_e32 v4, 0, v4, vcc_lo
.LBB6_8785:                             ;   in Loop: Header=BB6_7994 Depth=3
	s_or_b32 exec_lo, exec_lo, s73
.LBB6_8786:                             ;   in Loop: Header=BB6_7994 Depth=3
	s_or_b32 exec_lo, exec_lo, s72
	v_cmp_gt_i16_sdwa s16, v10, v116 src0_sel:BYTE_0 src1_sel:DWORD
	s_mov_b32 s72, 0
	s_and_saveexec_b32 s73, s16
	s_xor_b32 s16, exec_lo, s73
	s_cbranch_execz .LBB6_10288
; %bb.8787:                             ;   in Loop: Header=BB6_7994 Depth=3
	v_cmp_eq_u16_sdwa s74, v10, v117 src0_sel:BYTE_0 src1_sel:DWORD
	s_mov_b32 s72, -1
	s_and_saveexec_b32 s73, s74
; %bb.8788:                             ;   in Loop: Header=BB6_7994 Depth=3
	s_xor_b32 s72, exec_lo, -1
; %bb.8789:                             ;   in Loop: Header=BB6_7994 Depth=3
	s_or_b32 exec_lo, exec_lo, s73
	s_and_b32 s72, s72, exec_lo
	s_or_saveexec_b32 s16, s16
	v_mov_b32_e32 v6, 0x7f800001
	s_xor_b32 exec_lo, exec_lo, s16
	s_cbranch_execnz .LBB6_10289
.LBB6_8790:                             ;   in Loop: Header=BB6_7994 Depth=3
	s_or_b32 exec_lo, exec_lo, s16
	s_and_saveexec_b32 s16, s72
	s_cbranch_execz .LBB6_8792
.LBB6_8791:                             ;   in Loop: Header=BB6_7994 Depth=3
	v_and_b32_e32 v6, 3, v10
	v_bfe_u32 v7, v10, 2, 5
	v_ffbh_u32_e32 v8, v6
	v_cmp_eq_u32_e32 vcc_lo, 0, v7
	v_min_u32_e32 v8, 32, v8
	v_subrev_nc_u32_e32 v9, 29, v8
	v_sub_nc_u32_e32 v8, 30, v8
	v_lshlrev_b32_e32 v9, v9, v10
	v_cndmask_b32_e32 v7, v7, v8, vcc_lo
	v_lshlrev_b32_e32 v8, 24, v10
	v_and_b32_e32 v9, 3, v9
	v_lshl_add_u32 v7, v7, 23, 0x37800000
	v_and_b32_e32 v8, 0x80000000, v8
	v_cndmask_b32_e32 v6, v6, v9, vcc_lo
	v_lshlrev_b32_e32 v6, 21, v6
	v_or3_b32 v6, v8, v7, v6
.LBB6_8792:                             ;   in Loop: Header=BB6_7994 Depth=3
	s_or_b32 exec_lo, exec_lo, s16
	v_mul_f32_e32 v6, s23, v6
	v_mov_b32_e32 v52, 0x80
	s_mov_b32 s72, exec_lo
	v_and_b32_e32 v7, 0x7f800000, v6
	v_cmpx_ne_u32_e32 0x7f800000, v7
	s_cbranch_execz .LBB6_8800
; %bb.8793:                             ;   in Loop: Header=BB6_7994 Depth=3
	v_mov_b32_e32 v52, 0
	s_mov_b32 s73, exec_lo
	v_cmpx_ne_u32_e32 0, v6
	s_cbranch_execz .LBB6_8799
; %bb.8794:                             ;   in Loop: Header=BB6_7994 Depth=3
	v_bfe_u32 v8, v6, 23, 8
	v_and_b32_e32 v7, 0x7fffff, v6
	v_cmp_gt_u32_e64 s16, 0x71, v8
	v_sub_nc_u32_e32 v9, 0x70, v8
	v_cmp_eq_u32_e32 vcc_lo, 0, v8
	v_or_b32_e32 v14, 0x800000, v7
	v_cndmask_b32_e64 v9, 0, v9, s16
	v_cndmask_b32_e32 v7, v14, v7, vcc_lo
	v_cndmask_b32_e64 v9, v9, 0x6f, vcc_lo
	v_lshl_add_u32 v14, 0x200000, v9, -1
	v_lshlrev_b32_e64 v15, v9, 0x100000
	v_and_b32_e32 v14, v14, v7
	v_cmp_eq_u32_e64 s16, v14, v15
	v_lshrrev_b32_e32 v14, v9, v7
	v_add_nc_u32_e32 v7, 0xffffff91, v8
	v_lshrrev_b32_e32 v8, 23, v14
	v_cndmask_b32_e64 v7, v7, 0xffffff92, vcc_lo
	v_xor_b32_e32 v8, 1, v8
	v_add_nc_u32_e32 v7, v9, v7
	v_bfe_u32 v9, v14, 21, 1
	v_add_nc_u32_e32 v9, -1, v9
	v_cndmask_b32_e64 v9, 0, v9, s16
	s_mov_b32 s16, exec_lo
	v_add_nc_u32_e32 v9, v9, v14
	v_and_b32_e32 v9, 0x1fffff, v9
	v_add_nc_u32_e32 v9, v9, v14
                                        ; implicit-def: $vgpr14
	v_cmpx_ne_u32_e64 v7, v8
	s_xor_b32 s16, exec_lo, s16
; %bb.8795:                             ;   in Loop: Header=BB6_7994 Depth=3
	v_cmp_lt_u32_e32 vcc_lo, 0xffffff, v9
	v_sub_nc_u32_e32 v7, v7, v8
	v_cndmask_b32_e64 v8, 0, 1, vcc_lo
	v_add_co_ci_u32_e64 v14, null, 0, v7, vcc_lo
	v_lshrrev_b32_e32 v9, v8, v9
; %bb.8796:                             ;   in Loop: Header=BB6_7994 Depth=3
	s_andn2_saveexec_b32 s16, s16
; %bb.8797:                             ;   in Loop: Header=BB6_7994 Depth=3
	v_bfe_u32 v14, v9, 23, 1
; %bb.8798:                             ;   in Loop: Header=BB6_7994 Depth=3
	s_or_b32 exec_lo, exec_lo, s16
	v_lshrrev_b32_e32 v7, 21, v9
	v_min_i32_e32 v8, 31, v14
	v_cmp_gt_i32_e32 vcc_lo, 32, v14
	v_and_b32_sdwa v6, v6, v117 dst_sel:DWORD dst_unused:UNUSED_PAD src0_sel:BYTE_3 src1_sel:DWORD
	v_lshlrev_b32_e32 v8, 2, v8
	v_cndmask_b32_e32 v7, 3, v7, vcc_lo
	v_and_b32_e32 v8, 0xfc, v8
	v_or_b32_e32 v9, v14, v7
	v_and_b32_e32 v7, 3, v7
	v_cmp_ne_u32_e32 vcc_lo, 0, v9
	v_or3_b32 v6, v8, v6, v7
	v_cndmask_b32_e32 v52, 0, v6, vcc_lo
.LBB6_8799:                             ;   in Loop: Header=BB6_7994 Depth=3
	s_or_b32 exec_lo, exec_lo, s73
.LBB6_8800:                             ;   in Loop: Header=BB6_7994 Depth=3
	s_or_b32 exec_lo, exec_lo, s72
	v_cmp_gt_i16_sdwa s72, v10, v116 src0_sel:BYTE_1 src1_sel:DWORD
	s_mov_b32 s16, 0
	s_and_saveexec_b32 s73, s72
	s_xor_b32 s72, exec_lo, s73
	s_cbranch_execz .LBB6_10290
; %bb.8801:                             ;   in Loop: Header=BB6_7994 Depth=3
	v_cmp_eq_u16_sdwa s74, v10, v117 src0_sel:BYTE_1 src1_sel:DWORD
	s_mov_b32 s16, -1
	s_and_saveexec_b32 s73, s74
; %bb.8802:                             ;   in Loop: Header=BB6_7994 Depth=3
	s_xor_b32 s16, exec_lo, -1
; %bb.8803:                             ;   in Loop: Header=BB6_7994 Depth=3
	s_or_b32 exec_lo, exec_lo, s73
	s_and_b32 s16, s16, exec_lo
	s_or_saveexec_b32 s72, s72
	v_mov_b32_e32 v6, 0x7f800001
	s_xor_b32 exec_lo, exec_lo, s72
	s_cbranch_execnz .LBB6_10291
.LBB6_8804:                             ;   in Loop: Header=BB6_7994 Depth=3
	s_or_b32 exec_lo, exec_lo, s72
	s_and_saveexec_b32 s72, s16
	s_cbranch_execz .LBB6_8806
.LBB6_8805:                             ;   in Loop: Header=BB6_7994 Depth=3
	v_and_b32_sdwa v6, v118, v10 dst_sel:DWORD dst_unused:UNUSED_PAD src0_sel:DWORD src1_sel:BYTE_1
	v_and_b32_e32 v7, 3, v6
	v_bfe_u32 v14, v6, 2, 5
	v_ffbh_u32_e32 v8, v7
	v_cmp_eq_u32_e32 vcc_lo, 0, v14
	v_min_u32_e32 v8, 32, v8
	v_subrev_nc_u32_e32 v9, 29, v8
	v_sub_nc_u32_e32 v8, 30, v8
	v_lshlrev_b32_e32 v6, v9, v6
	v_lshlrev_b32_sdwa v9, v119, v10 dst_sel:DWORD dst_unused:UNUSED_PAD src0_sel:DWORD src1_sel:BYTE_1
	v_cndmask_b32_e32 v8, v14, v8, vcc_lo
	v_and_b32_e32 v6, 3, v6
	v_lshl_add_u32 v8, v8, 23, 0x37800000
	v_cndmask_b32_e32 v6, v7, v6, vcc_lo
	v_and_b32_e32 v7, 0x80000000, v9
	v_lshlrev_b32_e32 v6, 21, v6
	v_or3_b32 v6, v7, v8, v6
.LBB6_8806:                             ;   in Loop: Header=BB6_7994 Depth=3
	s_or_b32 exec_lo, exec_lo, s72
	v_mul_f32_e32 v6, s23, v6
	v_mov_b32_e32 v91, 0x8000
	s_mov_b32 s72, exec_lo
	v_and_b32_e32 v7, 0x7f800000, v6
	v_cmpx_ne_u32_e32 0x7f800000, v7
	s_cbranch_execz .LBB6_8814
; %bb.8807:                             ;   in Loop: Header=BB6_7994 Depth=3
	v_mov_b32_e32 v91, 0
	s_mov_b32 s73, exec_lo
	v_cmpx_ne_u32_e32 0, v6
	s_cbranch_execz .LBB6_8813
; %bb.8808:                             ;   in Loop: Header=BB6_7994 Depth=3
	v_bfe_u32 v8, v6, 23, 8
	v_and_b32_e32 v7, 0x7fffff, v6
	v_cmp_gt_u32_e64 s16, 0x71, v8
	v_sub_nc_u32_e32 v9, 0x70, v8
	v_cmp_eq_u32_e32 vcc_lo, 0, v8
	v_or_b32_e32 v14, 0x800000, v7
	v_cndmask_b32_e64 v9, 0, v9, s16
	v_cndmask_b32_e32 v7, v14, v7, vcc_lo
	v_cndmask_b32_e64 v9, v9, 0x6f, vcc_lo
	v_lshl_add_u32 v14, 0x200000, v9, -1
	v_lshlrev_b32_e64 v15, v9, 0x100000
	v_and_b32_e32 v14, v14, v7
	v_cmp_eq_u32_e64 s16, v14, v15
	v_lshrrev_b32_e32 v14, v9, v7
	v_add_nc_u32_e32 v7, 0xffffff91, v8
	v_lshrrev_b32_e32 v8, 23, v14
	v_cndmask_b32_e64 v7, v7, 0xffffff92, vcc_lo
	v_xor_b32_e32 v8, 1, v8
	v_add_nc_u32_e32 v7, v9, v7
	v_bfe_u32 v9, v14, 21, 1
	v_add_nc_u32_e32 v9, -1, v9
	v_cndmask_b32_e64 v9, 0, v9, s16
	s_mov_b32 s16, exec_lo
	v_add_nc_u32_e32 v9, v9, v14
	v_and_b32_e32 v9, 0x1fffff, v9
	v_add_nc_u32_e32 v9, v9, v14
                                        ; implicit-def: $vgpr14
	v_cmpx_ne_u32_e64 v7, v8
	s_xor_b32 s16, exec_lo, s16
; %bb.8809:                             ;   in Loop: Header=BB6_7994 Depth=3
	v_cmp_lt_u32_e32 vcc_lo, 0xffffff, v9
	v_sub_nc_u32_e32 v7, v7, v8
	v_cndmask_b32_e64 v8, 0, 1, vcc_lo
	v_add_co_ci_u32_e64 v14, null, 0, v7, vcc_lo
	v_lshrrev_b32_e32 v9, v8, v9
; %bb.8810:                             ;   in Loop: Header=BB6_7994 Depth=3
	s_andn2_saveexec_b32 s16, s16
; %bb.8811:                             ;   in Loop: Header=BB6_7994 Depth=3
	v_bfe_u32 v14, v9, 23, 1
; %bb.8812:                             ;   in Loop: Header=BB6_7994 Depth=3
	s_or_b32 exec_lo, exec_lo, s16
	v_lshrrev_b32_e32 v7, 21, v9
	v_min_i32_e32 v8, 31, v14
	v_cmp_gt_i32_e32 vcc_lo, 32, v14
	v_and_b32_sdwa v6, v6, v117 dst_sel:DWORD dst_unused:UNUSED_PAD src0_sel:BYTE_3 src1_sel:DWORD
	v_lshlrev_b32_e32 v8, 2, v8
	v_cndmask_b32_e32 v7, 3, v7, vcc_lo
	v_and_b32_e32 v8, 0xfc, v8
	v_or_b32_e32 v9, v14, v7
	v_and_b32_e32 v7, 3, v7
	v_cmp_ne_u32_e32 vcc_lo, 0, v9
	v_or3_b32 v6, v6, v8, v7
	v_lshlrev_b32_e32 v6, 8, v6
	v_cndmask_b32_e32 v91, 0, v6, vcc_lo
.LBB6_8813:                             ;   in Loop: Header=BB6_7994 Depth=3
	s_or_b32 exec_lo, exec_lo, s73
.LBB6_8814:                             ;   in Loop: Header=BB6_7994 Depth=3
	s_or_b32 exec_lo, exec_lo, s72
	v_and_b32_sdwa v7, v10, v40 dst_sel:DWORD dst_unused:UNUSED_PAD src0_sel:WORD_1 src1_sel:DWORD
	s_mov_b32 s72, 0
	s_mov_b32 s16, exec_lo
	v_cmpx_lt_i16_e32 0x7f, v7
	s_xor_b32 s16, exec_lo, s16
	s_cbranch_execz .LBB6_10292
; %bb.8815:                             ;   in Loop: Header=BB6_7994 Depth=3
	s_mov_b32 s72, -1
	s_mov_b32 s73, exec_lo
	v_cmpx_eq_u16_e32 0x80, v7
; %bb.8816:                             ;   in Loop: Header=BB6_7994 Depth=3
	s_xor_b32 s72, exec_lo, -1
; %bb.8817:                             ;   in Loop: Header=BB6_7994 Depth=3
	s_or_b32 exec_lo, exec_lo, s73
	s_and_b32 s72, s72, exec_lo
                                        ; implicit-def: $vgpr7
	s_or_saveexec_b32 s16, s16
	v_mov_b32_e32 v6, 0x7f800001
	s_xor_b32 exec_lo, exec_lo, s16
	s_cbranch_execnz .LBB6_10293
.LBB6_8818:                             ;   in Loop: Header=BB6_7994 Depth=3
	s_or_b32 exec_lo, exec_lo, s16
	s_and_saveexec_b32 s16, s72
	s_cbranch_execz .LBB6_8820
.LBB6_8819:                             ;   in Loop: Header=BB6_7994 Depth=3
	v_bfe_u32 v6, v10, 16, 2
	v_bfe_u32 v7, v10, 18, 5
	v_ffbh_u32_e32 v8, v6
	v_cmp_eq_u32_e32 vcc_lo, 0, v7
	v_min_u32_e32 v8, 32, v8
	v_subrev_nc_u32_e32 v9, 29, v8
	v_sub_nc_u32_e32 v8, 30, v8
	v_lshlrev_b32_sdwa v9, v9, v10 dst_sel:DWORD dst_unused:UNUSED_PAD src0_sel:DWORD src1_sel:WORD_1
	v_cndmask_b32_e32 v7, v7, v8, vcc_lo
	v_lshlrev_b32_e32 v8, 8, v10
	v_and_b32_e32 v9, 3, v9
	v_lshl_add_u32 v7, v7, 23, 0x37800000
	v_and_b32_e32 v8, 0x80000000, v8
	v_cndmask_b32_e32 v6, v6, v9, vcc_lo
	v_lshlrev_b32_e32 v6, 21, v6
	v_or3_b32 v6, v8, v7, v6
.LBB6_8820:                             ;   in Loop: Header=BB6_7994 Depth=3
	s_or_b32 exec_lo, exec_lo, s16
	v_mul_f32_e32 v6, s23, v6
	v_mov_b32_e32 v29, 0x80
	s_mov_b32 s72, exec_lo
	v_and_b32_e32 v7, 0x7f800000, v6
	v_cmpx_ne_u32_e32 0x7f800000, v7
	s_cbranch_execz .LBB6_8828
; %bb.8821:                             ;   in Loop: Header=BB6_7994 Depth=3
	v_mov_b32_e32 v29, 0
	s_mov_b32 s73, exec_lo
	v_cmpx_ne_u32_e32 0, v6
	s_cbranch_execz .LBB6_8827
; %bb.8822:                             ;   in Loop: Header=BB6_7994 Depth=3
	v_bfe_u32 v8, v6, 23, 8
	v_and_b32_e32 v7, 0x7fffff, v6
	v_cmp_gt_u32_e64 s16, 0x71, v8
	v_sub_nc_u32_e32 v9, 0x70, v8
	v_cmp_eq_u32_e32 vcc_lo, 0, v8
	v_or_b32_e32 v14, 0x800000, v7
	v_cndmask_b32_e64 v9, 0, v9, s16
	v_cndmask_b32_e32 v7, v14, v7, vcc_lo
	v_cndmask_b32_e64 v9, v9, 0x6f, vcc_lo
	v_lshl_add_u32 v14, 0x200000, v9, -1
	v_lshlrev_b32_e64 v15, v9, 0x100000
	v_and_b32_e32 v14, v14, v7
	v_cmp_eq_u32_e64 s16, v14, v15
	v_lshrrev_b32_e32 v14, v9, v7
	v_add_nc_u32_e32 v7, 0xffffff91, v8
	v_lshrrev_b32_e32 v8, 23, v14
	v_cndmask_b32_e64 v7, v7, 0xffffff92, vcc_lo
	v_xor_b32_e32 v8, 1, v8
	v_add_nc_u32_e32 v7, v9, v7
	v_bfe_u32 v9, v14, 21, 1
	v_add_nc_u32_e32 v9, -1, v9
	v_cndmask_b32_e64 v9, 0, v9, s16
	s_mov_b32 s16, exec_lo
	v_add_nc_u32_e32 v9, v9, v14
	v_and_b32_e32 v9, 0x1fffff, v9
	v_add_nc_u32_e32 v9, v9, v14
                                        ; implicit-def: $vgpr14
	v_cmpx_ne_u32_e64 v7, v8
	s_xor_b32 s16, exec_lo, s16
; %bb.8823:                             ;   in Loop: Header=BB6_7994 Depth=3
	v_cmp_lt_u32_e32 vcc_lo, 0xffffff, v9
	v_sub_nc_u32_e32 v7, v7, v8
	v_cndmask_b32_e64 v8, 0, 1, vcc_lo
	v_add_co_ci_u32_e64 v14, null, 0, v7, vcc_lo
	v_lshrrev_b32_e32 v9, v8, v9
; %bb.8824:                             ;   in Loop: Header=BB6_7994 Depth=3
	s_andn2_saveexec_b32 s16, s16
; %bb.8825:                             ;   in Loop: Header=BB6_7994 Depth=3
	v_bfe_u32 v14, v9, 23, 1
; %bb.8826:                             ;   in Loop: Header=BB6_7994 Depth=3
	s_or_b32 exec_lo, exec_lo, s16
	v_lshrrev_b32_e32 v7, 21, v9
	v_min_i32_e32 v8, 31, v14
	v_cmp_gt_i32_e32 vcc_lo, 32, v14
	v_and_b32_sdwa v6, v6, v117 dst_sel:DWORD dst_unused:UNUSED_PAD src0_sel:BYTE_3 src1_sel:DWORD
	v_lshlrev_b32_e32 v8, 2, v8
	v_cndmask_b32_e32 v7, 3, v7, vcc_lo
	v_and_b32_e32 v8, 0xfc, v8
	v_or_b32_e32 v9, v14, v7
	v_and_b32_e32 v7, 3, v7
	v_cmp_ne_u32_e32 vcc_lo, 0, v9
	v_or3_b32 v6, v8, v6, v7
	v_cndmask_b32_e32 v29, 0, v6, vcc_lo
.LBB6_8827:                             ;   in Loop: Header=BB6_7994 Depth=3
	s_or_b32 exec_lo, exec_lo, s73
.LBB6_8828:                             ;   in Loop: Header=BB6_7994 Depth=3
	s_or_b32 exec_lo, exec_lo, s72
	v_cmp_gt_i16_sdwa s72, v10, v116 src0_sel:BYTE_3 src1_sel:DWORD
	s_mov_b32 s16, 0
	s_and_saveexec_b32 s73, s72
	s_xor_b32 s72, exec_lo, s73
	s_cbranch_execz .LBB6_10294
; %bb.8829:                             ;   in Loop: Header=BB6_7994 Depth=3
	v_cmp_eq_u16_sdwa s74, v10, v117 src0_sel:BYTE_3 src1_sel:DWORD
	s_mov_b32 s16, -1
	s_and_saveexec_b32 s73, s74
; %bb.8830:                             ;   in Loop: Header=BB6_7994 Depth=3
	s_xor_b32 s16, exec_lo, -1
; %bb.8831:                             ;   in Loop: Header=BB6_7994 Depth=3
	s_or_b32 exec_lo, exec_lo, s73
	s_and_b32 s16, s16, exec_lo
	s_or_saveexec_b32 s72, s72
	v_mov_b32_e32 v6, 0x7f800001
	s_xor_b32 exec_lo, exec_lo, s72
	s_cbranch_execnz .LBB6_10295
.LBB6_8832:                             ;   in Loop: Header=BB6_7994 Depth=3
	s_or_b32 exec_lo, exec_lo, s72
	s_and_saveexec_b32 s72, s16
	s_cbranch_execz .LBB6_8834
.LBB6_8833:                             ;   in Loop: Header=BB6_7994 Depth=3
	v_bfe_u32 v6, v10, 24, 2
	v_bfe_u32 v9, v10, 26, 5
	v_ffbh_u32_e32 v7, v6
	v_cmp_eq_u32_e32 vcc_lo, 0, v9
	v_min_u32_e32 v7, 32, v7
	v_subrev_nc_u32_e32 v8, 29, v7
	v_sub_nc_u32_e32 v7, 30, v7
	v_lshlrev_b32_sdwa v8, v8, v10 dst_sel:DWORD dst_unused:UNUSED_PAD src0_sel:DWORD src1_sel:BYTE_3
	v_cndmask_b32_e32 v7, v9, v7, vcc_lo
	v_and_b32_e32 v8, 3, v8
	v_lshl_add_u32 v7, v7, 23, 0x37800000
	v_cndmask_b32_e32 v6, v6, v8, vcc_lo
	v_and_b32_e32 v8, 0x80000000, v10
	v_lshlrev_b32_e32 v6, 21, v6
	v_or3_b32 v6, v8, v7, v6
.LBB6_8834:                             ;   in Loop: Header=BB6_7994 Depth=3
	s_or_b32 exec_lo, exec_lo, s72
	v_mul_f32_e32 v6, s23, v6
	v_mov_b32_e32 v89, 0x8000
	s_mov_b32 s72, exec_lo
	v_and_b32_e32 v7, 0x7f800000, v6
	v_cmpx_ne_u32_e32 0x7f800000, v7
	s_cbranch_execz .LBB6_8842
; %bb.8835:                             ;   in Loop: Header=BB6_7994 Depth=3
	v_mov_b32_e32 v89, 0
	s_mov_b32 s73, exec_lo
	v_cmpx_ne_u32_e32 0, v6
	s_cbranch_execz .LBB6_8841
; %bb.8836:                             ;   in Loop: Header=BB6_7994 Depth=3
	v_bfe_u32 v8, v6, 23, 8
	v_and_b32_e32 v7, 0x7fffff, v6
	v_cmp_gt_u32_e64 s16, 0x71, v8
	v_sub_nc_u32_e32 v9, 0x70, v8
	v_cmp_eq_u32_e32 vcc_lo, 0, v8
	v_or_b32_e32 v10, 0x800000, v7
	v_cndmask_b32_e64 v9, 0, v9, s16
	v_cndmask_b32_e32 v7, v10, v7, vcc_lo
	v_cndmask_b32_e64 v9, v9, 0x6f, vcc_lo
	v_lshl_add_u32 v10, 0x200000, v9, -1
	v_lshlrev_b32_e64 v14, v9, 0x100000
	v_and_b32_e32 v10, v10, v7
	v_cmp_eq_u32_e64 s16, v10, v14
	v_lshrrev_b32_e32 v10, v9, v7
	v_add_nc_u32_e32 v7, 0xffffff91, v8
	v_lshrrev_b32_e32 v8, 23, v10
	v_cndmask_b32_e64 v7, v7, 0xffffff92, vcc_lo
	v_xor_b32_e32 v8, 1, v8
	v_add_nc_u32_e32 v7, v9, v7
	v_bfe_u32 v9, v10, 21, 1
	v_add_nc_u32_e32 v9, -1, v9
	v_cndmask_b32_e64 v9, 0, v9, s16
	s_mov_b32 s16, exec_lo
	v_add_nc_u32_e32 v9, v9, v10
	v_and_b32_e32 v9, 0x1fffff, v9
	v_add_nc_u32_e32 v9, v9, v10
                                        ; implicit-def: $vgpr10
	v_cmpx_ne_u32_e64 v7, v8
	s_xor_b32 s16, exec_lo, s16
; %bb.8837:                             ;   in Loop: Header=BB6_7994 Depth=3
	v_cmp_lt_u32_e32 vcc_lo, 0xffffff, v9
	v_sub_nc_u32_e32 v7, v7, v8
	v_cndmask_b32_e64 v8, 0, 1, vcc_lo
	v_add_co_ci_u32_e64 v10, null, 0, v7, vcc_lo
	v_lshrrev_b32_e32 v9, v8, v9
; %bb.8838:                             ;   in Loop: Header=BB6_7994 Depth=3
	s_andn2_saveexec_b32 s16, s16
; %bb.8839:                             ;   in Loop: Header=BB6_7994 Depth=3
	v_bfe_u32 v10, v9, 23, 1
; %bb.8840:                             ;   in Loop: Header=BB6_7994 Depth=3
	s_or_b32 exec_lo, exec_lo, s16
	v_lshrrev_b32_e32 v7, 21, v9
	v_min_i32_e32 v8, 31, v10
	v_cmp_gt_i32_e32 vcc_lo, 32, v10
	v_and_b32_sdwa v6, v6, v117 dst_sel:DWORD dst_unused:UNUSED_PAD src0_sel:BYTE_3 src1_sel:DWORD
	v_lshlrev_b32_e32 v8, 2, v8
	v_cndmask_b32_e32 v7, 3, v7, vcc_lo
	v_and_b32_e32 v8, 0xfc, v8
	v_or_b32_e32 v9, v10, v7
	v_and_b32_e32 v7, 3, v7
	v_cmp_ne_u32_e32 vcc_lo, 0, v9
	v_or3_b32 v6, v6, v8, v7
	v_lshlrev_b32_e32 v6, 8, v6
	v_cndmask_b32_e32 v89, 0, v6, vcc_lo
.LBB6_8841:                             ;   in Loop: Header=BB6_7994 Depth=3
	s_or_b32 exec_lo, exec_lo, s73
.LBB6_8842:                             ;   in Loop: Header=BB6_7994 Depth=3
	s_or_b32 exec_lo, exec_lo, s72
	v_cmp_gt_i16_sdwa s16, v11, v116 src0_sel:BYTE_0 src1_sel:DWORD
	s_mov_b32 s72, 0
	s_and_saveexec_b32 s73, s16
	s_xor_b32 s16, exec_lo, s73
	s_cbranch_execz .LBB6_10296
; %bb.8843:                             ;   in Loop: Header=BB6_7994 Depth=3
	v_cmp_eq_u16_sdwa s74, v11, v117 src0_sel:BYTE_0 src1_sel:DWORD
	s_mov_b32 s72, -1
	s_and_saveexec_b32 s73, s74
; %bb.8844:                             ;   in Loop: Header=BB6_7994 Depth=3
	s_xor_b32 s72, exec_lo, -1
; %bb.8845:                             ;   in Loop: Header=BB6_7994 Depth=3
	s_or_b32 exec_lo, exec_lo, s73
	s_and_b32 s72, s72, exec_lo
	s_or_saveexec_b32 s16, s16
	v_mov_b32_e32 v6, 0x7f800001
	s_xor_b32 exec_lo, exec_lo, s16
	s_cbranch_execnz .LBB6_10297
.LBB6_8846:                             ;   in Loop: Header=BB6_7994 Depth=3
	s_or_b32 exec_lo, exec_lo, s16
	s_and_saveexec_b32 s16, s72
	s_cbranch_execz .LBB6_8848
.LBB6_8847:                             ;   in Loop: Header=BB6_7994 Depth=3
	v_and_b32_e32 v6, 3, v11
	v_bfe_u32 v7, v11, 2, 5
	v_ffbh_u32_e32 v8, v6
	v_cmp_eq_u32_e32 vcc_lo, 0, v7
	v_min_u32_e32 v8, 32, v8
	v_subrev_nc_u32_e32 v9, 29, v8
	v_sub_nc_u32_e32 v8, 30, v8
	v_lshlrev_b32_e32 v9, v9, v11
	v_cndmask_b32_e32 v7, v7, v8, vcc_lo
	v_lshlrev_b32_e32 v8, 24, v11
	v_and_b32_e32 v9, 3, v9
	v_lshl_add_u32 v7, v7, 23, 0x37800000
	v_and_b32_e32 v8, 0x80000000, v8
	v_cndmask_b32_e32 v6, v6, v9, vcc_lo
	v_lshlrev_b32_e32 v6, 21, v6
	v_or3_b32 v6, v8, v7, v6
.LBB6_8848:                             ;   in Loop: Header=BB6_7994 Depth=3
	s_or_b32 exec_lo, exec_lo, s16
	v_mul_f32_e32 v6, s23, v6
	v_mov_b32_e32 v26, 0x80
	s_mov_b32 s72, exec_lo
	v_and_b32_e32 v7, 0x7f800000, v6
	v_cmpx_ne_u32_e32 0x7f800000, v7
	s_cbranch_execz .LBB6_8856
; %bb.8849:                             ;   in Loop: Header=BB6_7994 Depth=3
	v_mov_b32_e32 v26, 0
	s_mov_b32 s73, exec_lo
	v_cmpx_ne_u32_e32 0, v6
	s_cbranch_execz .LBB6_8855
; %bb.8850:                             ;   in Loop: Header=BB6_7994 Depth=3
	v_bfe_u32 v8, v6, 23, 8
	v_and_b32_e32 v7, 0x7fffff, v6
	v_cmp_gt_u32_e64 s16, 0x71, v8
	v_sub_nc_u32_e32 v9, 0x70, v8
	v_cmp_eq_u32_e32 vcc_lo, 0, v8
	v_or_b32_e32 v10, 0x800000, v7
	v_cndmask_b32_e64 v9, 0, v9, s16
	v_cndmask_b32_e32 v7, v10, v7, vcc_lo
	v_cndmask_b32_e64 v9, v9, 0x6f, vcc_lo
	v_lshl_add_u32 v10, 0x200000, v9, -1
	v_lshlrev_b32_e64 v14, v9, 0x100000
	v_and_b32_e32 v10, v10, v7
	v_cmp_eq_u32_e64 s16, v10, v14
	v_lshrrev_b32_e32 v10, v9, v7
	v_add_nc_u32_e32 v7, 0xffffff91, v8
	v_lshrrev_b32_e32 v8, 23, v10
	v_cndmask_b32_e64 v7, v7, 0xffffff92, vcc_lo
	v_xor_b32_e32 v8, 1, v8
	v_add_nc_u32_e32 v7, v9, v7
	v_bfe_u32 v9, v10, 21, 1
	v_add_nc_u32_e32 v9, -1, v9
	v_cndmask_b32_e64 v9, 0, v9, s16
	s_mov_b32 s16, exec_lo
	v_add_nc_u32_e32 v9, v9, v10
	v_and_b32_e32 v9, 0x1fffff, v9
	v_add_nc_u32_e32 v9, v9, v10
                                        ; implicit-def: $vgpr10
	v_cmpx_ne_u32_e64 v7, v8
	s_xor_b32 s16, exec_lo, s16
; %bb.8851:                             ;   in Loop: Header=BB6_7994 Depth=3
	v_cmp_lt_u32_e32 vcc_lo, 0xffffff, v9
	v_sub_nc_u32_e32 v7, v7, v8
	v_cndmask_b32_e64 v8, 0, 1, vcc_lo
	v_add_co_ci_u32_e64 v10, null, 0, v7, vcc_lo
	v_lshrrev_b32_e32 v9, v8, v9
; %bb.8852:                             ;   in Loop: Header=BB6_7994 Depth=3
	s_andn2_saveexec_b32 s16, s16
; %bb.8853:                             ;   in Loop: Header=BB6_7994 Depth=3
	v_bfe_u32 v10, v9, 23, 1
; %bb.8854:                             ;   in Loop: Header=BB6_7994 Depth=3
	s_or_b32 exec_lo, exec_lo, s16
	v_lshrrev_b32_e32 v7, 21, v9
	v_min_i32_e32 v8, 31, v10
	v_cmp_gt_i32_e32 vcc_lo, 32, v10
	v_and_b32_sdwa v6, v6, v117 dst_sel:DWORD dst_unused:UNUSED_PAD src0_sel:BYTE_3 src1_sel:DWORD
	v_lshlrev_b32_e32 v8, 2, v8
	v_cndmask_b32_e32 v7, 3, v7, vcc_lo
	v_and_b32_e32 v8, 0xfc, v8
	v_or_b32_e32 v9, v10, v7
	v_and_b32_e32 v7, 3, v7
	v_cmp_ne_u32_e32 vcc_lo, 0, v9
	v_or3_b32 v6, v8, v6, v7
	v_cndmask_b32_e32 v26, 0, v6, vcc_lo
.LBB6_8855:                             ;   in Loop: Header=BB6_7994 Depth=3
	s_or_b32 exec_lo, exec_lo, s73
.LBB6_8856:                             ;   in Loop: Header=BB6_7994 Depth=3
	s_or_b32 exec_lo, exec_lo, s72
	v_cmp_gt_i16_sdwa s72, v11, v116 src0_sel:BYTE_1 src1_sel:DWORD
	s_mov_b32 s16, 0
	s_and_saveexec_b32 s73, s72
	s_xor_b32 s72, exec_lo, s73
	s_cbranch_execz .LBB6_10298
; %bb.8857:                             ;   in Loop: Header=BB6_7994 Depth=3
	v_cmp_eq_u16_sdwa s74, v11, v117 src0_sel:BYTE_1 src1_sel:DWORD
	s_mov_b32 s16, -1
	s_and_saveexec_b32 s73, s74
; %bb.8858:                             ;   in Loop: Header=BB6_7994 Depth=3
	s_xor_b32 s16, exec_lo, -1
; %bb.8859:                             ;   in Loop: Header=BB6_7994 Depth=3
	s_or_b32 exec_lo, exec_lo, s73
	s_and_b32 s16, s16, exec_lo
	s_or_saveexec_b32 s72, s72
	v_mov_b32_e32 v6, 0x7f800001
	s_xor_b32 exec_lo, exec_lo, s72
	s_cbranch_execnz .LBB6_10299
.LBB6_8860:                             ;   in Loop: Header=BB6_7994 Depth=3
	s_or_b32 exec_lo, exec_lo, s72
	s_and_saveexec_b32 s72, s16
	s_cbranch_execz .LBB6_8862
.LBB6_8861:                             ;   in Loop: Header=BB6_7994 Depth=3
	v_and_b32_sdwa v6, v118, v11 dst_sel:DWORD dst_unused:UNUSED_PAD src0_sel:DWORD src1_sel:BYTE_1
	v_and_b32_e32 v7, 3, v6
	v_bfe_u32 v10, v6, 2, 5
	v_ffbh_u32_e32 v8, v7
	v_cmp_eq_u32_e32 vcc_lo, 0, v10
	v_min_u32_e32 v8, 32, v8
	v_subrev_nc_u32_e32 v9, 29, v8
	v_sub_nc_u32_e32 v8, 30, v8
	v_lshlrev_b32_e32 v6, v9, v6
	v_lshlrev_b32_sdwa v9, v119, v11 dst_sel:DWORD dst_unused:UNUSED_PAD src0_sel:DWORD src1_sel:BYTE_1
	v_cndmask_b32_e32 v8, v10, v8, vcc_lo
	v_and_b32_e32 v6, 3, v6
	v_lshl_add_u32 v8, v8, 23, 0x37800000
	v_cndmask_b32_e32 v6, v7, v6, vcc_lo
	v_and_b32_e32 v7, 0x80000000, v9
	v_lshlrev_b32_e32 v6, 21, v6
	v_or3_b32 v6, v7, v8, v6
.LBB6_8862:                             ;   in Loop: Header=BB6_7994 Depth=3
	s_or_b32 exec_lo, exec_lo, s72
	v_mul_f32_e32 v6, s23, v6
	v_mov_b32_e32 v30, 0x8000
	s_mov_b32 s72, exec_lo
	v_and_b32_e32 v7, 0x7f800000, v6
	v_cmpx_ne_u32_e32 0x7f800000, v7
	s_cbranch_execz .LBB6_8870
; %bb.8863:                             ;   in Loop: Header=BB6_7994 Depth=3
	v_mov_b32_e32 v30, 0
	s_mov_b32 s73, exec_lo
	v_cmpx_ne_u32_e32 0, v6
	s_cbranch_execz .LBB6_8869
; %bb.8864:                             ;   in Loop: Header=BB6_7994 Depth=3
	v_bfe_u32 v8, v6, 23, 8
	v_and_b32_e32 v7, 0x7fffff, v6
	v_cmp_gt_u32_e64 s16, 0x71, v8
	v_sub_nc_u32_e32 v9, 0x70, v8
	v_cmp_eq_u32_e32 vcc_lo, 0, v8
	v_or_b32_e32 v10, 0x800000, v7
	v_cndmask_b32_e64 v9, 0, v9, s16
	v_cndmask_b32_e32 v7, v10, v7, vcc_lo
	v_cndmask_b32_e64 v9, v9, 0x6f, vcc_lo
	v_lshl_add_u32 v10, 0x200000, v9, -1
	v_lshlrev_b32_e64 v14, v9, 0x100000
	v_and_b32_e32 v10, v10, v7
	v_cmp_eq_u32_e64 s16, v10, v14
	v_lshrrev_b32_e32 v10, v9, v7
	v_add_nc_u32_e32 v7, 0xffffff91, v8
	v_lshrrev_b32_e32 v8, 23, v10
	v_cndmask_b32_e64 v7, v7, 0xffffff92, vcc_lo
	v_xor_b32_e32 v8, 1, v8
	v_add_nc_u32_e32 v7, v9, v7
	v_bfe_u32 v9, v10, 21, 1
	v_add_nc_u32_e32 v9, -1, v9
	v_cndmask_b32_e64 v9, 0, v9, s16
	s_mov_b32 s16, exec_lo
	v_add_nc_u32_e32 v9, v9, v10
	v_and_b32_e32 v9, 0x1fffff, v9
	v_add_nc_u32_e32 v9, v9, v10
                                        ; implicit-def: $vgpr10
	v_cmpx_ne_u32_e64 v7, v8
	s_xor_b32 s16, exec_lo, s16
; %bb.8865:                             ;   in Loop: Header=BB6_7994 Depth=3
	v_cmp_lt_u32_e32 vcc_lo, 0xffffff, v9
	v_sub_nc_u32_e32 v7, v7, v8
	v_cndmask_b32_e64 v8, 0, 1, vcc_lo
	v_add_co_ci_u32_e64 v10, null, 0, v7, vcc_lo
	v_lshrrev_b32_e32 v9, v8, v9
; %bb.8866:                             ;   in Loop: Header=BB6_7994 Depth=3
	s_andn2_saveexec_b32 s16, s16
; %bb.8867:                             ;   in Loop: Header=BB6_7994 Depth=3
	v_bfe_u32 v10, v9, 23, 1
; %bb.8868:                             ;   in Loop: Header=BB6_7994 Depth=3
	s_or_b32 exec_lo, exec_lo, s16
	v_lshrrev_b32_e32 v7, 21, v9
	v_min_i32_e32 v8, 31, v10
	v_cmp_gt_i32_e32 vcc_lo, 32, v10
	v_and_b32_sdwa v6, v6, v117 dst_sel:DWORD dst_unused:UNUSED_PAD src0_sel:BYTE_3 src1_sel:DWORD
	v_lshlrev_b32_e32 v8, 2, v8
	v_cndmask_b32_e32 v7, 3, v7, vcc_lo
	v_and_b32_e32 v8, 0xfc, v8
	v_or_b32_e32 v9, v10, v7
	v_and_b32_e32 v7, 3, v7
	v_cmp_ne_u32_e32 vcc_lo, 0, v9
	v_or3_b32 v6, v6, v8, v7
	v_lshlrev_b32_e32 v6, 8, v6
	v_cndmask_b32_e32 v30, 0, v6, vcc_lo
.LBB6_8869:                             ;   in Loop: Header=BB6_7994 Depth=3
	s_or_b32 exec_lo, exec_lo, s73
.LBB6_8870:                             ;   in Loop: Header=BB6_7994 Depth=3
	s_or_b32 exec_lo, exec_lo, s72
	v_and_b32_sdwa v7, v11, v40 dst_sel:DWORD dst_unused:UNUSED_PAD src0_sel:WORD_1 src1_sel:DWORD
	s_mov_b32 s72, 0
	s_mov_b32 s16, exec_lo
	v_cmpx_lt_i16_e32 0x7f, v7
	s_xor_b32 s16, exec_lo, s16
	s_cbranch_execz .LBB6_10300
; %bb.8871:                             ;   in Loop: Header=BB6_7994 Depth=3
	s_mov_b32 s72, -1
	s_mov_b32 s73, exec_lo
	v_cmpx_eq_u16_e32 0x80, v7
; %bb.8872:                             ;   in Loop: Header=BB6_7994 Depth=3
	s_xor_b32 s72, exec_lo, -1
; %bb.8873:                             ;   in Loop: Header=BB6_7994 Depth=3
	s_or_b32 exec_lo, exec_lo, s73
	s_and_b32 s72, s72, exec_lo
                                        ; implicit-def: $vgpr7
	s_or_saveexec_b32 s16, s16
	v_mov_b32_e32 v6, 0x7f800001
	s_xor_b32 exec_lo, exec_lo, s16
	s_cbranch_execnz .LBB6_10301
.LBB6_8874:                             ;   in Loop: Header=BB6_7994 Depth=3
	s_or_b32 exec_lo, exec_lo, s16
	s_and_saveexec_b32 s16, s72
	s_cbranch_execz .LBB6_8876
.LBB6_8875:                             ;   in Loop: Header=BB6_7994 Depth=3
	v_bfe_u32 v6, v11, 16, 2
	v_bfe_u32 v7, v11, 18, 5
	v_ffbh_u32_e32 v8, v6
	v_cmp_eq_u32_e32 vcc_lo, 0, v7
	v_min_u32_e32 v8, 32, v8
	v_subrev_nc_u32_e32 v9, 29, v8
	v_sub_nc_u32_e32 v8, 30, v8
	v_lshlrev_b32_sdwa v9, v9, v11 dst_sel:DWORD dst_unused:UNUSED_PAD src0_sel:DWORD src1_sel:WORD_1
	v_cndmask_b32_e32 v7, v7, v8, vcc_lo
	v_lshlrev_b32_e32 v8, 8, v11
	v_and_b32_e32 v9, 3, v9
	v_lshl_add_u32 v7, v7, 23, 0x37800000
	v_and_b32_e32 v8, 0x80000000, v8
	v_cndmask_b32_e32 v6, v6, v9, vcc_lo
	v_lshlrev_b32_e32 v6, 21, v6
	v_or3_b32 v6, v8, v7, v6
.LBB6_8876:                             ;   in Loop: Header=BB6_7994 Depth=3
	s_or_b32 exec_lo, exec_lo, s16
	v_mul_f32_e32 v6, s23, v6
	v_mov_b32_e32 v25, 0x80
	s_mov_b32 s72, exec_lo
	v_and_b32_e32 v7, 0x7f800000, v6
	v_cmpx_ne_u32_e32 0x7f800000, v7
	s_cbranch_execz .LBB6_8884
; %bb.8877:                             ;   in Loop: Header=BB6_7994 Depth=3
	v_mov_b32_e32 v25, 0
	s_mov_b32 s73, exec_lo
	v_cmpx_ne_u32_e32 0, v6
	s_cbranch_execz .LBB6_8883
; %bb.8878:                             ;   in Loop: Header=BB6_7994 Depth=3
	v_bfe_u32 v8, v6, 23, 8
	v_and_b32_e32 v7, 0x7fffff, v6
	v_cmp_gt_u32_e64 s16, 0x71, v8
	v_sub_nc_u32_e32 v9, 0x70, v8
	v_cmp_eq_u32_e32 vcc_lo, 0, v8
	v_or_b32_e32 v10, 0x800000, v7
	v_cndmask_b32_e64 v9, 0, v9, s16
	v_cndmask_b32_e32 v7, v10, v7, vcc_lo
	v_cndmask_b32_e64 v9, v9, 0x6f, vcc_lo
	v_lshl_add_u32 v10, 0x200000, v9, -1
	v_lshlrev_b32_e64 v14, v9, 0x100000
	v_and_b32_e32 v10, v10, v7
	v_cmp_eq_u32_e64 s16, v10, v14
	v_lshrrev_b32_e32 v10, v9, v7
	v_add_nc_u32_e32 v7, 0xffffff91, v8
	v_lshrrev_b32_e32 v8, 23, v10
	v_cndmask_b32_e64 v7, v7, 0xffffff92, vcc_lo
	v_xor_b32_e32 v8, 1, v8
	v_add_nc_u32_e32 v7, v9, v7
	v_bfe_u32 v9, v10, 21, 1
	v_add_nc_u32_e32 v9, -1, v9
	v_cndmask_b32_e64 v9, 0, v9, s16
	s_mov_b32 s16, exec_lo
	v_add_nc_u32_e32 v9, v9, v10
	v_and_b32_e32 v9, 0x1fffff, v9
	v_add_nc_u32_e32 v9, v9, v10
                                        ; implicit-def: $vgpr10
	v_cmpx_ne_u32_e64 v7, v8
	s_xor_b32 s16, exec_lo, s16
; %bb.8879:                             ;   in Loop: Header=BB6_7994 Depth=3
	v_cmp_lt_u32_e32 vcc_lo, 0xffffff, v9
	v_sub_nc_u32_e32 v7, v7, v8
	v_cndmask_b32_e64 v8, 0, 1, vcc_lo
	v_add_co_ci_u32_e64 v10, null, 0, v7, vcc_lo
	v_lshrrev_b32_e32 v9, v8, v9
; %bb.8880:                             ;   in Loop: Header=BB6_7994 Depth=3
	s_andn2_saveexec_b32 s16, s16
; %bb.8881:                             ;   in Loop: Header=BB6_7994 Depth=3
	v_bfe_u32 v10, v9, 23, 1
; %bb.8882:                             ;   in Loop: Header=BB6_7994 Depth=3
	s_or_b32 exec_lo, exec_lo, s16
	v_lshrrev_b32_e32 v7, 21, v9
	v_min_i32_e32 v8, 31, v10
	v_cmp_gt_i32_e32 vcc_lo, 32, v10
	v_and_b32_sdwa v6, v6, v117 dst_sel:DWORD dst_unused:UNUSED_PAD src0_sel:BYTE_3 src1_sel:DWORD
	v_lshlrev_b32_e32 v8, 2, v8
	v_cndmask_b32_e32 v7, 3, v7, vcc_lo
	v_and_b32_e32 v8, 0xfc, v8
	v_or_b32_e32 v9, v10, v7
	v_and_b32_e32 v7, 3, v7
	v_cmp_ne_u32_e32 vcc_lo, 0, v9
	v_or3_b32 v6, v8, v6, v7
	v_cndmask_b32_e32 v25, 0, v6, vcc_lo
.LBB6_8883:                             ;   in Loop: Header=BB6_7994 Depth=3
	s_or_b32 exec_lo, exec_lo, s73
.LBB6_8884:                             ;   in Loop: Header=BB6_7994 Depth=3
	s_or_b32 exec_lo, exec_lo, s72
	v_cmp_gt_i16_sdwa s72, v11, v116 src0_sel:BYTE_3 src1_sel:DWORD
	s_mov_b32 s16, 0
	s_and_saveexec_b32 s73, s72
	s_xor_b32 s72, exec_lo, s73
	s_cbranch_execz .LBB6_10302
; %bb.8885:                             ;   in Loop: Header=BB6_7994 Depth=3
	v_cmp_eq_u16_sdwa s74, v11, v117 src0_sel:BYTE_3 src1_sel:DWORD
	s_mov_b32 s16, -1
	s_and_saveexec_b32 s73, s74
; %bb.8886:                             ;   in Loop: Header=BB6_7994 Depth=3
	s_xor_b32 s16, exec_lo, -1
; %bb.8887:                             ;   in Loop: Header=BB6_7994 Depth=3
	s_or_b32 exec_lo, exec_lo, s73
	s_and_b32 s16, s16, exec_lo
	s_or_saveexec_b32 s72, s72
	v_mov_b32_e32 v6, 0x7f800001
	s_xor_b32 exec_lo, exec_lo, s72
	s_cbranch_execnz .LBB6_10303
.LBB6_8888:                             ;   in Loop: Header=BB6_7994 Depth=3
	s_or_b32 exec_lo, exec_lo, s72
	s_and_saveexec_b32 s72, s16
	s_cbranch_execz .LBB6_8890
.LBB6_8889:                             ;   in Loop: Header=BB6_7994 Depth=3
	v_bfe_u32 v6, v11, 24, 2
	v_bfe_u32 v9, v11, 26, 5
	v_ffbh_u32_e32 v7, v6
	v_cmp_eq_u32_e32 vcc_lo, 0, v9
	v_min_u32_e32 v7, 32, v7
	v_subrev_nc_u32_e32 v8, 29, v7
	v_sub_nc_u32_e32 v7, 30, v7
	v_lshlrev_b32_sdwa v8, v8, v11 dst_sel:DWORD dst_unused:UNUSED_PAD src0_sel:DWORD src1_sel:BYTE_3
	v_cndmask_b32_e32 v7, v9, v7, vcc_lo
	v_and_b32_e32 v8, 3, v8
	v_lshl_add_u32 v7, v7, 23, 0x37800000
	v_cndmask_b32_e32 v6, v6, v8, vcc_lo
	v_and_b32_e32 v8, 0x80000000, v11
	v_lshlrev_b32_e32 v6, 21, v6
	v_or3_b32 v6, v8, v7, v6
.LBB6_8890:                             ;   in Loop: Header=BB6_7994 Depth=3
	s_or_b32 exec_lo, exec_lo, s72
	v_mul_f32_e32 v6, s23, v6
	v_mov_b32_e32 v28, 0x8000
	s_mov_b32 s23, exec_lo
	v_and_b32_e32 v7, 0x7f800000, v6
	v_cmpx_ne_u32_e32 0x7f800000, v7
	s_cbranch_execz .LBB6_8898
; %bb.8891:                             ;   in Loop: Header=BB6_7994 Depth=3
	v_mov_b32_e32 v28, 0
	s_mov_b32 s72, exec_lo
	v_cmpx_ne_u32_e32 0, v6
	s_cbranch_execz .LBB6_8897
; %bb.8892:                             ;   in Loop: Header=BB6_7994 Depth=3
	v_bfe_u32 v8, v6, 23, 8
	v_and_b32_e32 v7, 0x7fffff, v6
	v_cmp_gt_u32_e64 s16, 0x71, v8
	v_sub_nc_u32_e32 v9, 0x70, v8
	v_cmp_eq_u32_e32 vcc_lo, 0, v8
	v_or_b32_e32 v10, 0x800000, v7
	v_cndmask_b32_e64 v9, 0, v9, s16
	v_cndmask_b32_e32 v7, v10, v7, vcc_lo
	v_cndmask_b32_e64 v9, v9, 0x6f, vcc_lo
	v_lshl_add_u32 v10, 0x200000, v9, -1
	v_lshlrev_b32_e64 v11, v9, 0x100000
	v_and_b32_e32 v10, v10, v7
	v_cmp_eq_u32_e64 s16, v10, v11
	v_lshrrev_b32_e32 v10, v9, v7
	v_add_nc_u32_e32 v7, 0xffffff91, v8
	v_lshrrev_b32_e32 v8, 23, v10
	v_cndmask_b32_e64 v7, v7, 0xffffff92, vcc_lo
	v_xor_b32_e32 v8, 1, v8
	v_add_nc_u32_e32 v7, v9, v7
	v_bfe_u32 v9, v10, 21, 1
	v_add_nc_u32_e32 v9, -1, v9
	v_cndmask_b32_e64 v9, 0, v9, s16
	s_mov_b32 s16, exec_lo
	v_add_nc_u32_e32 v9, v9, v10
	v_and_b32_e32 v9, 0x1fffff, v9
	v_add_nc_u32_e32 v9, v9, v10
                                        ; implicit-def: $vgpr10
	v_cmpx_ne_u32_e64 v7, v8
	s_xor_b32 s16, exec_lo, s16
; %bb.8893:                             ;   in Loop: Header=BB6_7994 Depth=3
	v_cmp_lt_u32_e32 vcc_lo, 0xffffff, v9
	v_sub_nc_u32_e32 v7, v7, v8
	v_cndmask_b32_e64 v8, 0, 1, vcc_lo
	v_add_co_ci_u32_e64 v10, null, 0, v7, vcc_lo
	v_lshrrev_b32_e32 v9, v8, v9
; %bb.8894:                             ;   in Loop: Header=BB6_7994 Depth=3
	s_andn2_saveexec_b32 s16, s16
; %bb.8895:                             ;   in Loop: Header=BB6_7994 Depth=3
	v_bfe_u32 v10, v9, 23, 1
; %bb.8896:                             ;   in Loop: Header=BB6_7994 Depth=3
	s_or_b32 exec_lo, exec_lo, s16
	v_lshrrev_b32_e32 v7, 21, v9
	v_min_i32_e32 v8, 31, v10
	v_cmp_gt_i32_e32 vcc_lo, 32, v10
	v_and_b32_sdwa v6, v6, v117 dst_sel:DWORD dst_unused:UNUSED_PAD src0_sel:BYTE_3 src1_sel:DWORD
	v_lshlrev_b32_e32 v8, 2, v8
	v_cndmask_b32_e32 v7, 3, v7, vcc_lo
	v_and_b32_e32 v8, 0xfc, v8
	v_or_b32_e32 v9, v10, v7
	v_and_b32_e32 v7, 3, v7
	v_cmp_ne_u32_e32 vcc_lo, 0, v9
	v_or3_b32 v6, v6, v8, v7
	v_lshlrev_b32_e32 v6, 8, v6
	v_cndmask_b32_e32 v28, 0, v6, vcc_lo
.LBB6_8897:                             ;   in Loop: Header=BB6_7994 Depth=3
	s_or_b32 exec_lo, exec_lo, s72
.LBB6_8898:                             ;   in Loop: Header=BB6_7994 Depth=3
	s_or_b32 exec_lo, exec_lo, s23
	v_or_b32_e32 v6, v13, v12
	s_clause 0x3
	global_load_dwordx4 v[20:23], v[98:99], off slc
	global_load_dwordx4 v[16:19], v[98:99], off offset:512 slc
	global_load_dwordx4 v[12:15], v[98:99], off offset:1024 slc
	;; [unrolled: 1-line block ×3, first 2 shown]
	s_mov_b32 s23, 0
	v_cmp_gt_i16_sdwa s16, v6, v116 src0_sel:BYTE_0 src1_sel:DWORD
	s_and_saveexec_b32 s72, s16
	s_xor_b32 s16, exec_lo, s72
	s_cbranch_execz .LBB6_10304
; %bb.8899:                             ;   in Loop: Header=BB6_7994 Depth=3
	v_cmp_eq_u16_sdwa s73, v6, v117 src0_sel:BYTE_0 src1_sel:DWORD
	s_mov_b32 s23, -1
	s_and_saveexec_b32 s72, s73
; %bb.8900:                             ;   in Loop: Header=BB6_7994 Depth=3
	s_xor_b32 s23, exec_lo, -1
; %bb.8901:                             ;   in Loop: Header=BB6_7994 Depth=3
	s_or_b32 exec_lo, exec_lo, s72
	s_and_b32 s23, s23, exec_lo
	s_or_saveexec_b32 s16, s16
	v_mov_b32_e32 v7, 0x7f800001
	s_xor_b32 exec_lo, exec_lo, s16
	s_cbranch_execnz .LBB6_10305
.LBB6_8902:                             ;   in Loop: Header=BB6_7994 Depth=3
	s_or_b32 exec_lo, exec_lo, s16
	s_and_saveexec_b32 s16, s23
	s_cbranch_execz .LBB6_8904
.LBB6_8903:                             ;   in Loop: Header=BB6_7994 Depth=3
	v_and_b32_e32 v7, 3, v6
	v_bfe_u32 v24, v6, 2, 5
	v_ffbh_u32_e32 v27, v7
	v_cmp_eq_u32_e32 vcc_lo, 0, v24
	v_min_u32_e32 v27, 32, v27
	v_subrev_nc_u32_e32 v36, 29, v27
	v_sub_nc_u32_e32 v27, 30, v27
	v_lshlrev_b32_e32 v36, v36, v6
	v_cndmask_b32_e32 v24, v24, v27, vcc_lo
	v_lshlrev_b32_e32 v27, 24, v6
	v_and_b32_e32 v36, 3, v36
	v_lshl_add_u32 v24, v24, 23, 0x37800000
	v_and_b32_e32 v27, 0x80000000, v27
	v_cndmask_b32_e32 v7, v7, v36, vcc_lo
	v_lshlrev_b32_e32 v7, 21, v7
	v_or3_b32 v7, v27, v24, v7
.LBB6_8904:                             ;   in Loop: Header=BB6_7994 Depth=3
	s_or_b32 exec_lo, exec_lo, s16
	s_waitcnt vmcnt(3)
	v_cmp_gt_i16_sdwa s16, v20, v116 src0_sel:BYTE_0 src1_sel:DWORD
	s_mov_b32 s23, 0
	s_and_saveexec_b32 s72, s16
	s_xor_b32 s16, exec_lo, s72
	s_cbranch_execz .LBB6_10306
; %bb.8905:                             ;   in Loop: Header=BB6_7994 Depth=3
	v_cmp_eq_u16_sdwa s73, v20, v117 src0_sel:BYTE_0 src1_sel:DWORD
	s_mov_b32 s23, -1
	s_and_saveexec_b32 s72, s73
; %bb.8906:                             ;   in Loop: Header=BB6_7994 Depth=3
	s_xor_b32 s23, exec_lo, -1
; %bb.8907:                             ;   in Loop: Header=BB6_7994 Depth=3
	s_or_b32 exec_lo, exec_lo, s72
	s_and_b32 s23, s23, exec_lo
	s_or_saveexec_b32 s16, s16
	v_mov_b32_e32 v24, 0x7f800001
	s_xor_b32 exec_lo, exec_lo, s16
	s_cbranch_execnz .LBB6_10307
.LBB6_8908:                             ;   in Loop: Header=BB6_7994 Depth=3
	s_or_b32 exec_lo, exec_lo, s16
	s_and_saveexec_b32 s16, s23
	s_cbranch_execz .LBB6_8910
.LBB6_8909:                             ;   in Loop: Header=BB6_7994 Depth=3
	v_and_b32_e32 v24, 3, v20
	v_bfe_u32 v27, v20, 2, 5
	v_ffbh_u32_e32 v36, v24
	v_cmp_eq_u32_e32 vcc_lo, 0, v27
	v_min_u32_e32 v36, 32, v36
	v_subrev_nc_u32_e32 v37, 29, v36
	v_sub_nc_u32_e32 v36, 30, v36
	v_lshlrev_b32_e32 v37, v37, v20
	v_cndmask_b32_e32 v27, v27, v36, vcc_lo
	v_lshlrev_b32_e32 v36, 24, v20
	v_and_b32_e32 v37, 3, v37
	v_lshl_add_u32 v27, v27, 23, 0x37800000
	v_and_b32_e32 v36, 0x80000000, v36
	v_cndmask_b32_e32 v24, v24, v37, vcc_lo
	v_lshlrev_b32_e32 v24, 21, v24
	v_or3_b32 v24, v36, v27, v24
.LBB6_8910:                             ;   in Loop: Header=BB6_7994 Depth=3
	s_or_b32 exec_lo, exec_lo, s16
	v_add_f32_e32 v7, v7, v24
	v_and_b32_e32 v24, 0x7f800000, v7
	v_cmp_ne_u32_e32 vcc_lo, 0x7f800000, v24
	v_mov_b32_e32 v24, 0x80
	s_and_saveexec_b32 s23, vcc_lo
	s_cbranch_execz .LBB6_8918
; %bb.8911:                             ;   in Loop: Header=BB6_7994 Depth=3
	v_mov_b32_e32 v24, 0
	s_mov_b32 s72, exec_lo
	v_cmpx_ne_u32_e32 0, v7
	s_cbranch_execz .LBB6_8917
; %bb.8912:                             ;   in Loop: Header=BB6_7994 Depth=3
	v_bfe_u32 v27, v7, 23, 8
	v_and_b32_e32 v24, 0x7fffff, v7
	v_cmp_gt_u32_e64 s16, 0x71, v27
	v_sub_nc_u32_e32 v36, 0x70, v27
	v_cmp_eq_u32_e32 vcc_lo, 0, v27
	v_or_b32_e32 v37, 0x800000, v24
	v_cndmask_b32_e64 v36, 0, v36, s16
	v_cndmask_b32_e32 v24, v37, v24, vcc_lo
	v_cndmask_b32_e64 v36, v36, 0x6f, vcc_lo
	v_lshl_add_u32 v37, 0x200000, v36, -1
	v_lshlrev_b32_e64 v101, v36, 0x100000
	v_and_b32_e32 v37, v37, v24
	v_cmp_eq_u32_e64 s16, v37, v101
	v_lshrrev_b32_e32 v37, v36, v24
	v_add_nc_u32_e32 v24, 0xffffff91, v27
	v_lshrrev_b32_e32 v27, 23, v37
	v_cndmask_b32_e64 v24, v24, 0xffffff92, vcc_lo
	v_xor_b32_e32 v27, 1, v27
	v_add_nc_u32_e32 v24, v36, v24
	v_bfe_u32 v36, v37, 21, 1
	v_add_nc_u32_e32 v36, -1, v36
	v_cndmask_b32_e64 v36, 0, v36, s16
	s_mov_b32 s16, exec_lo
	v_add_nc_u32_e32 v36, v36, v37
	v_and_b32_e32 v36, 0x1fffff, v36
	v_add_nc_u32_e32 v36, v36, v37
                                        ; implicit-def: $vgpr37
	v_cmpx_ne_u32_e64 v24, v27
	s_xor_b32 s16, exec_lo, s16
; %bb.8913:                             ;   in Loop: Header=BB6_7994 Depth=3
	v_cmp_lt_u32_e32 vcc_lo, 0xffffff, v36
	v_sub_nc_u32_e32 v24, v24, v27
	v_cndmask_b32_e64 v27, 0, 1, vcc_lo
	v_add_co_ci_u32_e64 v37, null, 0, v24, vcc_lo
	v_lshrrev_b32_e32 v36, v27, v36
; %bb.8914:                             ;   in Loop: Header=BB6_7994 Depth=3
	s_andn2_saveexec_b32 s16, s16
; %bb.8915:                             ;   in Loop: Header=BB6_7994 Depth=3
	v_bfe_u32 v37, v36, 23, 1
; %bb.8916:                             ;   in Loop: Header=BB6_7994 Depth=3
	s_or_b32 exec_lo, exec_lo, s16
	v_lshrrev_b32_e32 v24, 21, v36
	v_min_i32_e32 v27, 31, v37
	v_cmp_gt_i32_e32 vcc_lo, 32, v37
	v_and_b32_sdwa v7, v7, v117 dst_sel:DWORD dst_unused:UNUSED_PAD src0_sel:BYTE_3 src1_sel:DWORD
	v_lshlrev_b32_e32 v27, 2, v27
	v_cndmask_b32_e32 v24, 3, v24, vcc_lo
	v_and_b32_e32 v27, 0xfc, v27
	v_or_b32_e32 v36, v37, v24
	v_and_b32_e32 v24, 3, v24
	v_cmp_ne_u32_e32 vcc_lo, 0, v36
	v_or3_b32 v7, v27, v7, v24
	v_cndmask_b32_e32 v24, 0, v7, vcc_lo
.LBB6_8917:                             ;   in Loop: Header=BB6_7994 Depth=3
	s_or_b32 exec_lo, exec_lo, s72
.LBB6_8918:                             ;   in Loop: Header=BB6_7994 Depth=3
	s_or_b32 exec_lo, exec_lo, s23
	v_cmp_gt_i16_sdwa s16, v6, v116 src0_sel:BYTE_1 src1_sel:DWORD
	s_mov_b32 s23, 0
	s_and_saveexec_b32 s72, s16
	s_xor_b32 s16, exec_lo, s72
	s_cbranch_execz .LBB6_10308
; %bb.8919:                             ;   in Loop: Header=BB6_7994 Depth=3
	v_cmp_eq_u16_sdwa s73, v6, v117 src0_sel:BYTE_1 src1_sel:DWORD
	s_mov_b32 s23, -1
	s_and_saveexec_b32 s72, s73
; %bb.8920:                             ;   in Loop: Header=BB6_7994 Depth=3
	s_xor_b32 s23, exec_lo, -1
; %bb.8921:                             ;   in Loop: Header=BB6_7994 Depth=3
	s_or_b32 exec_lo, exec_lo, s72
	s_and_b32 s23, s23, exec_lo
	s_or_saveexec_b32 s16, s16
	v_mov_b32_e32 v7, 0x7f800001
	s_xor_b32 exec_lo, exec_lo, s16
	s_cbranch_execnz .LBB6_10309
.LBB6_8922:                             ;   in Loop: Header=BB6_7994 Depth=3
	s_or_b32 exec_lo, exec_lo, s16
	s_and_saveexec_b32 s16, s23
	s_cbranch_execz .LBB6_8924
.LBB6_8923:                             ;   in Loop: Header=BB6_7994 Depth=3
	v_and_b32_sdwa v7, v118, v6 dst_sel:DWORD dst_unused:UNUSED_PAD src0_sel:DWORD src1_sel:BYTE_1
	v_and_b32_e32 v27, 3, v7
	v_bfe_u32 v101, v7, 2, 5
	v_ffbh_u32_e32 v36, v27
	v_cmp_eq_u32_e32 vcc_lo, 0, v101
	v_min_u32_e32 v36, 32, v36
	v_subrev_nc_u32_e32 v37, 29, v36
	v_sub_nc_u32_e32 v36, 30, v36
	v_lshlrev_b32_e32 v7, v37, v7
	v_lshlrev_b32_sdwa v37, v119, v6 dst_sel:DWORD dst_unused:UNUSED_PAD src0_sel:DWORD src1_sel:BYTE_1
	v_cndmask_b32_e32 v36, v101, v36, vcc_lo
	v_and_b32_e32 v7, 3, v7
	v_lshl_add_u32 v36, v36, 23, 0x37800000
	v_cndmask_b32_e32 v7, v27, v7, vcc_lo
	v_and_b32_e32 v27, 0x80000000, v37
	v_lshlrev_b32_e32 v7, 21, v7
	v_or3_b32 v7, v27, v36, v7
.LBB6_8924:                             ;   in Loop: Header=BB6_7994 Depth=3
	s_or_b32 exec_lo, exec_lo, s16
	v_cmp_gt_i16_sdwa s16, v20, v116 src0_sel:BYTE_1 src1_sel:DWORD
	s_mov_b32 s23, 0
	s_and_saveexec_b32 s72, s16
	s_xor_b32 s16, exec_lo, s72
	s_cbranch_execz .LBB6_10310
; %bb.8925:                             ;   in Loop: Header=BB6_7994 Depth=3
	v_cmp_eq_u16_sdwa s73, v20, v117 src0_sel:BYTE_1 src1_sel:DWORD
	s_mov_b32 s23, -1
	s_and_saveexec_b32 s72, s73
; %bb.8926:                             ;   in Loop: Header=BB6_7994 Depth=3
	s_xor_b32 s23, exec_lo, -1
; %bb.8927:                             ;   in Loop: Header=BB6_7994 Depth=3
	s_or_b32 exec_lo, exec_lo, s72
	s_and_b32 s23, s23, exec_lo
	s_or_saveexec_b32 s16, s16
	v_mov_b32_e32 v27, 0x7f800001
	s_xor_b32 exec_lo, exec_lo, s16
	s_cbranch_execnz .LBB6_10311
.LBB6_8928:                             ;   in Loop: Header=BB6_7994 Depth=3
	s_or_b32 exec_lo, exec_lo, s16
	s_and_saveexec_b32 s16, s23
	s_cbranch_execz .LBB6_8930
.LBB6_8929:                             ;   in Loop: Header=BB6_7994 Depth=3
	v_and_b32_sdwa v27, v118, v20 dst_sel:DWORD dst_unused:UNUSED_PAD src0_sel:DWORD src1_sel:BYTE_1
	v_and_b32_e32 v36, 3, v27
	v_bfe_u32 v42, v27, 2, 5
	v_ffbh_u32_e32 v37, v36
	v_cmp_eq_u32_e32 vcc_lo, 0, v42
	v_min_u32_e32 v37, 32, v37
	v_subrev_nc_u32_e32 v101, 29, v37
	v_sub_nc_u32_e32 v37, 30, v37
	v_lshlrev_b32_e32 v27, v101, v27
	v_lshlrev_b32_sdwa v101, v119, v20 dst_sel:DWORD dst_unused:UNUSED_PAD src0_sel:DWORD src1_sel:BYTE_1
	v_cndmask_b32_e32 v37, v42, v37, vcc_lo
	v_and_b32_e32 v27, 3, v27
	v_lshl_add_u32 v37, v37, 23, 0x37800000
	v_cndmask_b32_e32 v27, v36, v27, vcc_lo
	v_and_b32_e32 v36, 0x80000000, v101
	v_lshlrev_b32_e32 v27, 21, v27
	v_or3_b32 v27, v36, v37, v27
.LBB6_8930:                             ;   in Loop: Header=BB6_7994 Depth=3
	s_or_b32 exec_lo, exec_lo, s16
	v_add_f32_e32 v7, v7, v27
	v_and_b32_e32 v27, 0x7f800000, v7
	v_cmp_ne_u32_e32 vcc_lo, 0x7f800000, v27
	v_mov_b32_e32 v27, 0x8000
	s_and_saveexec_b32 s23, vcc_lo
	s_cbranch_execz .LBB6_8938
; %bb.8931:                             ;   in Loop: Header=BB6_7994 Depth=3
	v_mov_b32_e32 v27, 0
	s_mov_b32 s72, exec_lo
	v_cmpx_ne_u32_e32 0, v7
	s_cbranch_execz .LBB6_8937
; %bb.8932:                             ;   in Loop: Header=BB6_7994 Depth=3
	v_bfe_u32 v36, v7, 23, 8
	v_and_b32_e32 v27, 0x7fffff, v7
	v_cmp_gt_u32_e64 s16, 0x71, v36
	v_sub_nc_u32_e32 v37, 0x70, v36
	v_cmp_eq_u32_e32 vcc_lo, 0, v36
	v_or_b32_e32 v101, 0x800000, v27
	v_cndmask_b32_e64 v37, 0, v37, s16
	v_cndmask_b32_e32 v27, v101, v27, vcc_lo
	v_cndmask_b32_e64 v37, v37, 0x6f, vcc_lo
	v_lshl_add_u32 v101, 0x200000, v37, -1
	v_lshlrev_b32_e64 v42, v37, 0x100000
	v_and_b32_e32 v101, v101, v27
	v_cmp_eq_u32_e64 s16, v101, v42
	v_lshrrev_b32_e32 v101, v37, v27
	v_add_nc_u32_e32 v27, 0xffffff91, v36
	v_lshrrev_b32_e32 v36, 23, v101
	v_cndmask_b32_e64 v27, v27, 0xffffff92, vcc_lo
	v_xor_b32_e32 v36, 1, v36
	v_add_nc_u32_e32 v27, v37, v27
	v_bfe_u32 v37, v101, 21, 1
	v_add_nc_u32_e32 v37, -1, v37
	v_cndmask_b32_e64 v37, 0, v37, s16
	s_mov_b32 s16, exec_lo
	v_add_nc_u32_e32 v37, v37, v101
	v_and_b32_e32 v37, 0x1fffff, v37
	v_add_nc_u32_e32 v37, v37, v101
                                        ; implicit-def: $vgpr101
	v_cmpx_ne_u32_e64 v27, v36
	s_xor_b32 s16, exec_lo, s16
; %bb.8933:                             ;   in Loop: Header=BB6_7994 Depth=3
	v_cmp_lt_u32_e32 vcc_lo, 0xffffff, v37
	v_sub_nc_u32_e32 v27, v27, v36
	v_cndmask_b32_e64 v36, 0, 1, vcc_lo
	v_add_co_ci_u32_e64 v101, null, 0, v27, vcc_lo
	v_lshrrev_b32_e32 v37, v36, v37
; %bb.8934:                             ;   in Loop: Header=BB6_7994 Depth=3
	s_andn2_saveexec_b32 s16, s16
; %bb.8935:                             ;   in Loop: Header=BB6_7994 Depth=3
	v_bfe_u32 v101, v37, 23, 1
; %bb.8936:                             ;   in Loop: Header=BB6_7994 Depth=3
	s_or_b32 exec_lo, exec_lo, s16
	v_lshrrev_b32_e32 v27, 21, v37
	v_min_i32_e32 v36, 31, v101
	v_cmp_gt_i32_e32 vcc_lo, 32, v101
	v_and_b32_sdwa v7, v7, v117 dst_sel:DWORD dst_unused:UNUSED_PAD src0_sel:BYTE_3 src1_sel:DWORD
	v_lshlrev_b32_e32 v36, 2, v36
	v_cndmask_b32_e32 v27, 3, v27, vcc_lo
	v_and_b32_e32 v36, 0xfc, v36
	v_or_b32_e32 v37, v101, v27
	v_and_b32_e32 v27, 3, v27
	v_cmp_ne_u32_e32 vcc_lo, 0, v37
	v_or3_b32 v7, v7, v36, v27
	v_lshlrev_b32_e32 v7, 8, v7
	v_cndmask_b32_e32 v27, 0, v7, vcc_lo
.LBB6_8937:                             ;   in Loop: Header=BB6_7994 Depth=3
	s_or_b32 exec_lo, exec_lo, s72
.LBB6_8938:                             ;   in Loop: Header=BB6_7994 Depth=3
	s_or_b32 exec_lo, exec_lo, s23
	v_or_b32_e32 v36, v106, v53
	s_mov_b32 s23, 0
	v_cmp_gt_i16_sdwa s16, v36, v116 src0_sel:BYTE_0 src1_sel:DWORD
	s_and_saveexec_b32 s72, s16
	s_xor_b32 s16, exec_lo, s72
	s_cbranch_execz .LBB6_10312
; %bb.8939:                             ;   in Loop: Header=BB6_7994 Depth=3
	v_cmp_eq_u16_sdwa s73, v36, v117 src0_sel:BYTE_0 src1_sel:DWORD
	s_mov_b32 s23, -1
	s_and_saveexec_b32 s72, s73
; %bb.8940:                             ;   in Loop: Header=BB6_7994 Depth=3
	s_xor_b32 s23, exec_lo, -1
; %bb.8941:                             ;   in Loop: Header=BB6_7994 Depth=3
	s_or_b32 exec_lo, exec_lo, s72
	s_and_b32 s23, s23, exec_lo
	s_or_saveexec_b32 s16, s16
	v_mov_b32_e32 v7, 0x7f800001
	s_xor_b32 exec_lo, exec_lo, s16
	s_cbranch_execnz .LBB6_10313
.LBB6_8942:                             ;   in Loop: Header=BB6_7994 Depth=3
	s_or_b32 exec_lo, exec_lo, s16
	v_lshl_or_b32 v6, v36, 16, v6
	s_and_saveexec_b32 s16, s23
	s_cbranch_execz .LBB6_8944
.LBB6_8943:                             ;   in Loop: Header=BB6_7994 Depth=3
	v_bfe_u32 v7, v6, 16, 2
	v_bfe_u32 v36, v6, 18, 5
	v_ffbh_u32_e32 v37, v7
	v_cmp_eq_u32_e32 vcc_lo, 0, v36
	v_min_u32_e32 v37, 32, v37
	v_subrev_nc_u32_e32 v53, 29, v37
	v_sub_nc_u32_e32 v37, 30, v37
	v_lshlrev_b32_sdwa v53, v53, v6 dst_sel:DWORD dst_unused:UNUSED_PAD src0_sel:DWORD src1_sel:WORD_1
	v_cndmask_b32_e32 v36, v36, v37, vcc_lo
	v_lshlrev_b32_e32 v37, 8, v6
	v_and_b32_e32 v53, 3, v53
	v_lshl_add_u32 v36, v36, 23, 0x37800000
	v_and_b32_e32 v37, 0x80000000, v37
	v_cndmask_b32_e32 v7, v7, v53, vcc_lo
	v_lshlrev_b32_e32 v7, 21, v7
	v_or3_b32 v7, v37, v36, v7
.LBB6_8944:                             ;   in Loop: Header=BB6_7994 Depth=3
	s_or_b32 exec_lo, exec_lo, s16
	v_and_b32_sdwa v37, v20, v40 dst_sel:DWORD dst_unused:UNUSED_PAD src0_sel:WORD_1 src1_sel:DWORD
	s_mov_b32 s23, 0
	s_mov_b32 s16, exec_lo
	v_cmpx_lt_i16_e32 0x7f, v37
	s_xor_b32 s16, exec_lo, s16
	s_cbranch_execz .LBB6_10314
; %bb.8945:                             ;   in Loop: Header=BB6_7994 Depth=3
	s_mov_b32 s23, -1
	s_mov_b32 s72, exec_lo
	v_cmpx_eq_u16_e32 0x80, v37
; %bb.8946:                             ;   in Loop: Header=BB6_7994 Depth=3
	s_xor_b32 s23, exec_lo, -1
; %bb.8947:                             ;   in Loop: Header=BB6_7994 Depth=3
	s_or_b32 exec_lo, exec_lo, s72
	s_and_b32 s23, s23, exec_lo
                                        ; implicit-def: $vgpr37
	s_or_saveexec_b32 s16, s16
	v_mov_b32_e32 v36, 0x7f800001
	s_xor_b32 exec_lo, exec_lo, s16
	s_cbranch_execnz .LBB6_10315
.LBB6_8948:                             ;   in Loop: Header=BB6_7994 Depth=3
	s_or_b32 exec_lo, exec_lo, s16
	s_and_saveexec_b32 s16, s23
	s_cbranch_execz .LBB6_8950
.LBB6_8949:                             ;   in Loop: Header=BB6_7994 Depth=3
	v_bfe_u32 v36, v20, 16, 2
	v_bfe_u32 v37, v20, 18, 5
	v_ffbh_u32_e32 v53, v36
	v_cmp_eq_u32_e32 vcc_lo, 0, v37
	v_min_u32_e32 v53, 32, v53
	v_subrev_nc_u32_e32 v101, 29, v53
	v_sub_nc_u32_e32 v53, 30, v53
	v_lshlrev_b32_sdwa v101, v101, v20 dst_sel:DWORD dst_unused:UNUSED_PAD src0_sel:DWORD src1_sel:WORD_1
	v_cndmask_b32_e32 v37, v37, v53, vcc_lo
	v_lshlrev_b32_e32 v53, 8, v20
	v_and_b32_e32 v101, 3, v101
	v_lshl_add_u32 v37, v37, 23, 0x37800000
	v_and_b32_e32 v53, 0x80000000, v53
	v_cndmask_b32_e32 v36, v36, v101, vcc_lo
	v_lshlrev_b32_e32 v36, 21, v36
	v_or3_b32 v36, v53, v37, v36
.LBB6_8950:                             ;   in Loop: Header=BB6_7994 Depth=3
	s_or_b32 exec_lo, exec_lo, s16
	v_add_f32_e32 v7, v7, v36
	v_mov_b32_e32 v53, 0x80
	s_mov_b32 s23, exec_lo
	v_and_b32_e32 v36, 0x7f800000, v7
	v_cmpx_ne_u32_e32 0x7f800000, v36
	s_cbranch_execz .LBB6_8958
; %bb.8951:                             ;   in Loop: Header=BB6_7994 Depth=3
	v_mov_b32_e32 v53, 0
	s_mov_b32 s72, exec_lo
	v_cmpx_ne_u32_e32 0, v7
	s_cbranch_execz .LBB6_8957
; %bb.8952:                             ;   in Loop: Header=BB6_7994 Depth=3
	v_bfe_u32 v37, v7, 23, 8
	v_and_b32_e32 v36, 0x7fffff, v7
	v_cmp_gt_u32_e64 s16, 0x71, v37
	v_sub_nc_u32_e32 v53, 0x70, v37
	v_cmp_eq_u32_e32 vcc_lo, 0, v37
	v_or_b32_e32 v101, 0x800000, v36
	v_cndmask_b32_e64 v53, 0, v53, s16
	v_cndmask_b32_e32 v36, v101, v36, vcc_lo
	v_cndmask_b32_e64 v53, v53, 0x6f, vcc_lo
	v_lshl_add_u32 v101, 0x200000, v53, -1
	v_lshlrev_b32_e64 v42, v53, 0x100000
	v_and_b32_e32 v101, v101, v36
	v_cmp_eq_u32_e64 s16, v101, v42
	v_lshrrev_b32_e32 v101, v53, v36
	v_add_nc_u32_e32 v36, 0xffffff91, v37
	v_lshrrev_b32_e32 v37, 23, v101
	v_cndmask_b32_e64 v36, v36, 0xffffff92, vcc_lo
	v_xor_b32_e32 v37, 1, v37
	v_add_nc_u32_e32 v36, v53, v36
	v_bfe_u32 v53, v101, 21, 1
	v_add_nc_u32_e32 v53, -1, v53
	v_cndmask_b32_e64 v53, 0, v53, s16
	s_mov_b32 s16, exec_lo
	v_add_nc_u32_e32 v53, v53, v101
	v_and_b32_e32 v53, 0x1fffff, v53
	v_add_nc_u32_e32 v53, v53, v101
                                        ; implicit-def: $vgpr101
	v_cmpx_ne_u32_e64 v36, v37
	s_xor_b32 s16, exec_lo, s16
; %bb.8953:                             ;   in Loop: Header=BB6_7994 Depth=3
	v_cmp_lt_u32_e32 vcc_lo, 0xffffff, v53
	v_sub_nc_u32_e32 v36, v36, v37
	v_cndmask_b32_e64 v37, 0, 1, vcc_lo
	v_add_co_ci_u32_e64 v101, null, 0, v36, vcc_lo
	v_lshrrev_b32_e32 v53, v37, v53
; %bb.8954:                             ;   in Loop: Header=BB6_7994 Depth=3
	s_andn2_saveexec_b32 s16, s16
; %bb.8955:                             ;   in Loop: Header=BB6_7994 Depth=3
	v_bfe_u32 v101, v53, 23, 1
; %bb.8956:                             ;   in Loop: Header=BB6_7994 Depth=3
	s_or_b32 exec_lo, exec_lo, s16
	v_lshrrev_b32_e32 v36, 21, v53
	v_min_i32_e32 v37, 31, v101
	v_cmp_gt_i32_e32 vcc_lo, 32, v101
	v_and_b32_sdwa v7, v7, v117 dst_sel:DWORD dst_unused:UNUSED_PAD src0_sel:BYTE_3 src1_sel:DWORD
	v_lshlrev_b32_e32 v37, 2, v37
	v_cndmask_b32_e32 v36, 3, v36, vcc_lo
	v_and_b32_e32 v37, 0xfc, v37
	v_or_b32_e32 v53, v101, v36
	v_and_b32_e32 v36, 3, v36
	v_cmp_ne_u32_e32 vcc_lo, 0, v53
	v_or3_b32 v7, v37, v7, v36
	v_cndmask_b32_e32 v53, 0, v7, vcc_lo
.LBB6_8957:                             ;   in Loop: Header=BB6_7994 Depth=3
	s_or_b32 exec_lo, exec_lo, s72
.LBB6_8958:                             ;   in Loop: Header=BB6_7994 Depth=3
	s_or_b32 exec_lo, exec_lo, s23
	v_cmp_gt_i16_sdwa s16, v6, v116 src0_sel:BYTE_3 src1_sel:DWORD
	s_mov_b32 s23, 0
	s_and_saveexec_b32 s72, s16
	s_xor_b32 s16, exec_lo, s72
	s_cbranch_execz .LBB6_10316
; %bb.8959:                             ;   in Loop: Header=BB6_7994 Depth=3
	v_cmp_eq_u16_sdwa s73, v6, v117 src0_sel:BYTE_3 src1_sel:DWORD
	s_mov_b32 s23, -1
	s_and_saveexec_b32 s72, s73
; %bb.8960:                             ;   in Loop: Header=BB6_7994 Depth=3
	s_xor_b32 s23, exec_lo, -1
; %bb.8961:                             ;   in Loop: Header=BB6_7994 Depth=3
	s_or_b32 exec_lo, exec_lo, s72
	s_and_b32 s23, s23, exec_lo
	s_or_saveexec_b32 s16, s16
	v_mov_b32_e32 v7, 0x7f800001
	s_xor_b32 exec_lo, exec_lo, s16
	s_cbranch_execnz .LBB6_10317
.LBB6_8962:                             ;   in Loop: Header=BB6_7994 Depth=3
	s_or_b32 exec_lo, exec_lo, s16
	s_and_saveexec_b32 s16, s23
	s_cbranch_execz .LBB6_8964
.LBB6_8963:                             ;   in Loop: Header=BB6_7994 Depth=3
	v_bfe_u32 v7, v6, 24, 2
	v_bfe_u32 v101, v6, 26, 5
	v_ffbh_u32_e32 v36, v7
	v_cmp_eq_u32_e32 vcc_lo, 0, v101
	v_min_u32_e32 v36, 32, v36
	v_subrev_nc_u32_e32 v37, 29, v36
	v_sub_nc_u32_e32 v36, 30, v36
	v_lshlrev_b32_sdwa v37, v37, v6 dst_sel:DWORD dst_unused:UNUSED_PAD src0_sel:DWORD src1_sel:BYTE_3
	v_cndmask_b32_e32 v36, v101, v36, vcc_lo
	v_and_b32_e32 v6, 0x80000000, v6
	v_and_b32_e32 v37, 3, v37
	v_lshl_add_u32 v36, v36, 23, 0x37800000
	v_cndmask_b32_e32 v7, v7, v37, vcc_lo
	v_lshlrev_b32_e32 v7, 21, v7
	v_or3_b32 v7, v6, v36, v7
.LBB6_8964:                             ;   in Loop: Header=BB6_7994 Depth=3
	s_or_b32 exec_lo, exec_lo, s16
	v_cmp_gt_i16_sdwa s16, v20, v116 src0_sel:BYTE_3 src1_sel:DWORD
	s_mov_b32 s23, 0
	s_and_saveexec_b32 s72, s16
	s_xor_b32 s16, exec_lo, s72
	s_cbranch_execz .LBB6_10318
; %bb.8965:                             ;   in Loop: Header=BB6_7994 Depth=3
	v_cmp_eq_u16_sdwa s73, v20, v117 src0_sel:BYTE_3 src1_sel:DWORD
	s_mov_b32 s23, -1
	s_and_saveexec_b32 s72, s73
; %bb.8966:                             ;   in Loop: Header=BB6_7994 Depth=3
	s_xor_b32 s23, exec_lo, -1
; %bb.8967:                             ;   in Loop: Header=BB6_7994 Depth=3
	s_or_b32 exec_lo, exec_lo, s72
	s_and_b32 s23, s23, exec_lo
	s_or_saveexec_b32 s16, s16
	v_mov_b32_e32 v6, 0x7f800001
	s_xor_b32 exec_lo, exec_lo, s16
	s_cbranch_execnz .LBB6_10319
.LBB6_8968:                             ;   in Loop: Header=BB6_7994 Depth=3
	s_or_b32 exec_lo, exec_lo, s16
	s_and_saveexec_b32 s16, s23
	s_cbranch_execz .LBB6_8970
.LBB6_8969:                             ;   in Loop: Header=BB6_7994 Depth=3
	v_bfe_u32 v6, v20, 24, 2
	v_bfe_u32 v101, v20, 26, 5
	v_ffbh_u32_e32 v36, v6
	v_cmp_eq_u32_e32 vcc_lo, 0, v101
	v_min_u32_e32 v36, 32, v36
	v_subrev_nc_u32_e32 v37, 29, v36
	v_sub_nc_u32_e32 v36, 30, v36
	v_lshlrev_b32_sdwa v37, v37, v20 dst_sel:DWORD dst_unused:UNUSED_PAD src0_sel:DWORD src1_sel:BYTE_3
	v_cndmask_b32_e32 v36, v101, v36, vcc_lo
	v_and_b32_e32 v20, 0x80000000, v20
	v_and_b32_e32 v37, 3, v37
	v_lshl_add_u32 v36, v36, 23, 0x37800000
	v_cndmask_b32_e32 v6, v6, v37, vcc_lo
	v_lshlrev_b32_e32 v6, 21, v6
	v_or3_b32 v6, v20, v36, v6
.LBB6_8970:                             ;   in Loop: Header=BB6_7994 Depth=3
	s_or_b32 exec_lo, exec_lo, s16
	v_add_f32_e32 v6, v7, v6
	v_mov_b32_e32 v20, 0x8000
	s_mov_b32 s23, exec_lo
	v_and_b32_e32 v7, 0x7f800000, v6
	v_cmpx_ne_u32_e32 0x7f800000, v7
	s_cbranch_execz .LBB6_8978
; %bb.8971:                             ;   in Loop: Header=BB6_7994 Depth=3
	v_mov_b32_e32 v20, 0
	s_mov_b32 s72, exec_lo
	v_cmpx_ne_u32_e32 0, v6
	s_cbranch_execz .LBB6_8977
; %bb.8972:                             ;   in Loop: Header=BB6_7994 Depth=3
	v_bfe_u32 v20, v6, 23, 8
	v_and_b32_e32 v7, 0x7fffff, v6
	v_cmp_gt_u32_e64 s16, 0x71, v20
	v_sub_nc_u32_e32 v36, 0x70, v20
	v_cmp_eq_u32_e32 vcc_lo, 0, v20
	v_or_b32_e32 v37, 0x800000, v7
	v_cndmask_b32_e64 v36, 0, v36, s16
	v_cndmask_b32_e32 v7, v37, v7, vcc_lo
	v_cndmask_b32_e64 v36, v36, 0x6f, vcc_lo
	v_lshl_add_u32 v37, 0x200000, v36, -1
	v_lshlrev_b32_e64 v101, v36, 0x100000
	v_and_b32_e32 v37, v37, v7
	v_cmp_eq_u32_e64 s16, v37, v101
	v_lshrrev_b32_e32 v37, v36, v7
	v_add_nc_u32_e32 v7, 0xffffff91, v20
	v_lshrrev_b32_e32 v20, 23, v37
	v_cndmask_b32_e64 v7, v7, 0xffffff92, vcc_lo
	v_xor_b32_e32 v20, 1, v20
	v_add_nc_u32_e32 v7, v36, v7
	v_bfe_u32 v36, v37, 21, 1
	v_add_nc_u32_e32 v36, -1, v36
	v_cndmask_b32_e64 v36, 0, v36, s16
	s_mov_b32 s16, exec_lo
	v_add_nc_u32_e32 v36, v36, v37
	v_and_b32_e32 v36, 0x1fffff, v36
	v_add_nc_u32_e32 v36, v36, v37
                                        ; implicit-def: $vgpr37
	v_cmpx_ne_u32_e64 v7, v20
	s_xor_b32 s16, exec_lo, s16
; %bb.8973:                             ;   in Loop: Header=BB6_7994 Depth=3
	v_cmp_lt_u32_e32 vcc_lo, 0xffffff, v36
	v_sub_nc_u32_e32 v7, v7, v20
	v_cndmask_b32_e64 v20, 0, 1, vcc_lo
	v_add_co_ci_u32_e64 v37, null, 0, v7, vcc_lo
	v_lshrrev_b32_e32 v36, v20, v36
; %bb.8974:                             ;   in Loop: Header=BB6_7994 Depth=3
	s_andn2_saveexec_b32 s16, s16
; %bb.8975:                             ;   in Loop: Header=BB6_7994 Depth=3
	v_bfe_u32 v37, v36, 23, 1
; %bb.8976:                             ;   in Loop: Header=BB6_7994 Depth=3
	s_or_b32 exec_lo, exec_lo, s16
	v_lshrrev_b32_e32 v7, 21, v36
	v_min_i32_e32 v20, 31, v37
	v_cmp_gt_i32_e32 vcc_lo, 32, v37
	v_and_b32_sdwa v6, v6, v117 dst_sel:DWORD dst_unused:UNUSED_PAD src0_sel:BYTE_3 src1_sel:DWORD
	v_lshlrev_b32_e32 v20, 2, v20
	v_cndmask_b32_e32 v7, 3, v7, vcc_lo
	v_and_b32_e32 v20, 0xfc, v20
	v_or_b32_e32 v36, v37, v7
	v_and_b32_e32 v7, 3, v7
	v_cmp_ne_u32_e32 vcc_lo, 0, v36
	v_or3_b32 v6, v6, v20, v7
	v_lshlrev_b32_e32 v6, 8, v6
	v_cndmask_b32_e32 v20, 0, v6, vcc_lo
.LBB6_8977:                             ;   in Loop: Header=BB6_7994 Depth=3
	s_or_b32 exec_lo, exec_lo, s72
.LBB6_8978:                             ;   in Loop: Header=BB6_7994 Depth=3
	s_or_b32 exec_lo, exec_lo, s23
	v_or_b32_e32 v6, v115, v95
	s_mov_b32 s23, 0
	v_cmp_gt_i16_sdwa s16, v6, v116 src0_sel:BYTE_0 src1_sel:DWORD
	s_and_saveexec_b32 s72, s16
	s_xor_b32 s16, exec_lo, s72
	s_cbranch_execz .LBB6_10320
; %bb.8979:                             ;   in Loop: Header=BB6_7994 Depth=3
	v_cmp_eq_u16_sdwa s73, v6, v117 src0_sel:BYTE_0 src1_sel:DWORD
	s_mov_b32 s23, -1
	s_and_saveexec_b32 s72, s73
; %bb.8980:                             ;   in Loop: Header=BB6_7994 Depth=3
	s_xor_b32 s23, exec_lo, -1
; %bb.8981:                             ;   in Loop: Header=BB6_7994 Depth=3
	s_or_b32 exec_lo, exec_lo, s72
	s_and_b32 s23, s23, exec_lo
	s_or_saveexec_b32 s16, s16
	v_mov_b32_e32 v7, 0x7f800001
	s_xor_b32 exec_lo, exec_lo, s16
	s_cbranch_execnz .LBB6_10321
.LBB6_8982:                             ;   in Loop: Header=BB6_7994 Depth=3
	s_or_b32 exec_lo, exec_lo, s16
	s_and_saveexec_b32 s16, s23
	s_cbranch_execz .LBB6_8984
.LBB6_8983:                             ;   in Loop: Header=BB6_7994 Depth=3
	v_and_b32_e32 v7, 3, v6
	v_bfe_u32 v36, v6, 2, 5
	v_ffbh_u32_e32 v37, v7
	v_cmp_eq_u32_e32 vcc_lo, 0, v36
	v_min_u32_e32 v37, 32, v37
	v_subrev_nc_u32_e32 v101, 29, v37
	v_sub_nc_u32_e32 v37, 30, v37
	v_lshlrev_b32_e32 v101, v101, v6
	v_cndmask_b32_e32 v36, v36, v37, vcc_lo
	v_lshlrev_b32_e32 v37, 24, v6
	v_and_b32_e32 v101, 3, v101
	v_lshl_add_u32 v36, v36, 23, 0x37800000
	v_and_b32_e32 v37, 0x80000000, v37
	v_cndmask_b32_e32 v7, v7, v101, vcc_lo
	v_lshlrev_b32_e32 v7, 21, v7
	v_or3_b32 v7, v37, v36, v7
.LBB6_8984:                             ;   in Loop: Header=BB6_7994 Depth=3
	s_or_b32 exec_lo, exec_lo, s16
	v_cmp_gt_i16_sdwa s16, v21, v116 src0_sel:BYTE_0 src1_sel:DWORD
	s_mov_b32 s23, 0
	s_and_saveexec_b32 s72, s16
	s_xor_b32 s16, exec_lo, s72
	s_cbranch_execz .LBB6_10322
; %bb.8985:                             ;   in Loop: Header=BB6_7994 Depth=3
	v_cmp_eq_u16_sdwa s73, v21, v117 src0_sel:BYTE_0 src1_sel:DWORD
	s_mov_b32 s23, -1
	s_and_saveexec_b32 s72, s73
; %bb.8986:                             ;   in Loop: Header=BB6_7994 Depth=3
	s_xor_b32 s23, exec_lo, -1
; %bb.8987:                             ;   in Loop: Header=BB6_7994 Depth=3
	s_or_b32 exec_lo, exec_lo, s72
	s_and_b32 s23, s23, exec_lo
	s_or_saveexec_b32 s16, s16
	v_mov_b32_e32 v36, 0x7f800001
	s_xor_b32 exec_lo, exec_lo, s16
	s_cbranch_execnz .LBB6_10323
.LBB6_8988:                             ;   in Loop: Header=BB6_7994 Depth=3
	s_or_b32 exec_lo, exec_lo, s16
	s_and_saveexec_b32 s16, s23
	s_cbranch_execz .LBB6_8990
.LBB6_8989:                             ;   in Loop: Header=BB6_7994 Depth=3
	v_and_b32_e32 v36, 3, v21
	v_bfe_u32 v37, v21, 2, 5
	v_ffbh_u32_e32 v101, v36
	v_cmp_eq_u32_e32 vcc_lo, 0, v37
	v_min_u32_e32 v101, 32, v101
	v_subrev_nc_u32_e32 v115, 29, v101
	v_sub_nc_u32_e32 v101, 30, v101
	v_lshlrev_b32_e32 v115, v115, v21
	v_cndmask_b32_e32 v37, v37, v101, vcc_lo
	v_lshlrev_b32_e32 v101, 24, v21
	v_and_b32_e32 v115, 3, v115
	v_lshl_add_u32 v37, v37, 23, 0x37800000
	v_and_b32_e32 v101, 0x80000000, v101
	v_cndmask_b32_e32 v36, v36, v115, vcc_lo
	v_lshlrev_b32_e32 v36, 21, v36
	v_or3_b32 v36, v101, v37, v36
.LBB6_8990:                             ;   in Loop: Header=BB6_7994 Depth=3
	s_or_b32 exec_lo, exec_lo, s16
	v_add_f32_e32 v7, v7, v36
	v_mov_b32_e32 v95, 0x80
	s_mov_b32 s23, exec_lo
	v_and_b32_e32 v36, 0x7f800000, v7
	v_cmpx_ne_u32_e32 0x7f800000, v36
	s_cbranch_execz .LBB6_8998
; %bb.8991:                             ;   in Loop: Header=BB6_7994 Depth=3
	v_mov_b32_e32 v95, 0
	s_mov_b32 s72, exec_lo
	v_cmpx_ne_u32_e32 0, v7
	s_cbranch_execz .LBB6_8997
; %bb.8992:                             ;   in Loop: Header=BB6_7994 Depth=3
	v_bfe_u32 v37, v7, 23, 8
	v_and_b32_e32 v36, 0x7fffff, v7
	v_cmp_gt_u32_e64 s16, 0x71, v37
	v_sub_nc_u32_e32 v101, 0x70, v37
	v_cmp_eq_u32_e32 vcc_lo, 0, v37
	v_or_b32_e32 v115, 0x800000, v36
	v_cndmask_b32_e64 v101, 0, v101, s16
	v_cndmask_b32_e32 v36, v115, v36, vcc_lo
	v_cndmask_b32_e64 v101, v101, 0x6f, vcc_lo
	v_lshl_add_u32 v115, 0x200000, v101, -1
	v_lshlrev_b32_e64 v42, v101, 0x100000
	v_and_b32_e32 v115, v115, v36
	v_cmp_eq_u32_e64 s16, v115, v42
	v_lshrrev_b32_e32 v115, v101, v36
	v_add_nc_u32_e32 v36, 0xffffff91, v37
	v_lshrrev_b32_e32 v37, 23, v115
	v_cndmask_b32_e64 v36, v36, 0xffffff92, vcc_lo
	v_xor_b32_e32 v37, 1, v37
	v_add_nc_u32_e32 v36, v101, v36
	v_bfe_u32 v101, v115, 21, 1
	v_add_nc_u32_e32 v101, -1, v101
	v_cndmask_b32_e64 v101, 0, v101, s16
	s_mov_b32 s16, exec_lo
	v_add_nc_u32_e32 v101, v101, v115
	v_and_b32_e32 v101, 0x1fffff, v101
	v_add_nc_u32_e32 v101, v101, v115
                                        ; implicit-def: $vgpr115
	v_cmpx_ne_u32_e64 v36, v37
	s_xor_b32 s16, exec_lo, s16
; %bb.8993:                             ;   in Loop: Header=BB6_7994 Depth=3
	v_cmp_lt_u32_e32 vcc_lo, 0xffffff, v101
	v_sub_nc_u32_e32 v36, v36, v37
	v_cndmask_b32_e64 v37, 0, 1, vcc_lo
	v_add_co_ci_u32_e64 v115, null, 0, v36, vcc_lo
	v_lshrrev_b32_e32 v101, v37, v101
; %bb.8994:                             ;   in Loop: Header=BB6_7994 Depth=3
	s_andn2_saveexec_b32 s16, s16
; %bb.8995:                             ;   in Loop: Header=BB6_7994 Depth=3
	v_bfe_u32 v115, v101, 23, 1
; %bb.8996:                             ;   in Loop: Header=BB6_7994 Depth=3
	s_or_b32 exec_lo, exec_lo, s16
	v_lshrrev_b32_e32 v36, 21, v101
	v_min_i32_e32 v37, 31, v115
	v_cmp_gt_i32_e32 vcc_lo, 32, v115
	v_and_b32_sdwa v7, v7, v117 dst_sel:DWORD dst_unused:UNUSED_PAD src0_sel:BYTE_3 src1_sel:DWORD
	v_lshlrev_b32_e32 v37, 2, v37
	v_cndmask_b32_e32 v36, 3, v36, vcc_lo
	v_and_b32_e32 v37, 0xfc, v37
	v_or_b32_e32 v101, v115, v36
	v_and_b32_e32 v36, 3, v36
	v_cmp_ne_u32_e32 vcc_lo, 0, v101
	v_or3_b32 v7, v37, v7, v36
	v_cndmask_b32_e32 v95, 0, v7, vcc_lo
.LBB6_8997:                             ;   in Loop: Header=BB6_7994 Depth=3
	s_or_b32 exec_lo, exec_lo, s72
.LBB6_8998:                             ;   in Loop: Header=BB6_7994 Depth=3
	s_or_b32 exec_lo, exec_lo, s23
	v_cmp_gt_i16_sdwa s16, v6, v116 src0_sel:BYTE_1 src1_sel:DWORD
	s_mov_b32 s23, 0
	s_and_saveexec_b32 s72, s16
	s_xor_b32 s16, exec_lo, s72
	s_cbranch_execz .LBB6_10324
; %bb.8999:                             ;   in Loop: Header=BB6_7994 Depth=3
	v_cmp_eq_u16_sdwa s73, v6, v117 src0_sel:BYTE_1 src1_sel:DWORD
	s_mov_b32 s23, -1
	s_and_saveexec_b32 s72, s73
; %bb.9000:                             ;   in Loop: Header=BB6_7994 Depth=3
	s_xor_b32 s23, exec_lo, -1
; %bb.9001:                             ;   in Loop: Header=BB6_7994 Depth=3
	s_or_b32 exec_lo, exec_lo, s72
	s_and_b32 s23, s23, exec_lo
	s_or_saveexec_b32 s16, s16
	v_mov_b32_e32 v7, 0x7f800001
	s_xor_b32 exec_lo, exec_lo, s16
	s_cbranch_execnz .LBB6_10325
.LBB6_9002:                             ;   in Loop: Header=BB6_7994 Depth=3
	s_or_b32 exec_lo, exec_lo, s16
	s_and_saveexec_b32 s16, s23
	s_cbranch_execz .LBB6_9004
.LBB6_9003:                             ;   in Loop: Header=BB6_7994 Depth=3
	v_and_b32_sdwa v7, v118, v6 dst_sel:DWORD dst_unused:UNUSED_PAD src0_sel:DWORD src1_sel:BYTE_1
	v_and_b32_e32 v36, 3, v7
	v_bfe_u32 v115, v7, 2, 5
	v_ffbh_u32_e32 v37, v36
	v_cmp_eq_u32_e32 vcc_lo, 0, v115
	v_min_u32_e32 v37, 32, v37
	v_subrev_nc_u32_e32 v101, 29, v37
	v_sub_nc_u32_e32 v37, 30, v37
	v_lshlrev_b32_e32 v7, v101, v7
	v_lshlrev_b32_sdwa v101, v119, v6 dst_sel:DWORD dst_unused:UNUSED_PAD src0_sel:DWORD src1_sel:BYTE_1
	v_cndmask_b32_e32 v37, v115, v37, vcc_lo
	v_and_b32_e32 v7, 3, v7
	v_lshl_add_u32 v37, v37, 23, 0x37800000
	v_cndmask_b32_e32 v7, v36, v7, vcc_lo
	v_and_b32_e32 v36, 0x80000000, v101
	v_lshlrev_b32_e32 v7, 21, v7
	v_or3_b32 v7, v36, v37, v7
.LBB6_9004:                             ;   in Loop: Header=BB6_7994 Depth=3
	s_or_b32 exec_lo, exec_lo, s16
	v_cmp_gt_i16_sdwa s16, v21, v116 src0_sel:BYTE_1 src1_sel:DWORD
	s_mov_b32 s23, 0
	s_and_saveexec_b32 s72, s16
	s_xor_b32 s16, exec_lo, s72
	s_cbranch_execz .LBB6_10326
; %bb.9005:                             ;   in Loop: Header=BB6_7994 Depth=3
	v_cmp_eq_u16_sdwa s73, v21, v117 src0_sel:BYTE_1 src1_sel:DWORD
	s_mov_b32 s23, -1
	s_and_saveexec_b32 s72, s73
; %bb.9006:                             ;   in Loop: Header=BB6_7994 Depth=3
	s_xor_b32 s23, exec_lo, -1
; %bb.9007:                             ;   in Loop: Header=BB6_7994 Depth=3
	s_or_b32 exec_lo, exec_lo, s72
	s_and_b32 s23, s23, exec_lo
	s_or_saveexec_b32 s16, s16
	v_mov_b32_e32 v36, 0x7f800001
	s_xor_b32 exec_lo, exec_lo, s16
	s_cbranch_execnz .LBB6_10327
.LBB6_9008:                             ;   in Loop: Header=BB6_7994 Depth=3
	s_or_b32 exec_lo, exec_lo, s16
	s_and_saveexec_b32 s16, s23
	s_cbranch_execz .LBB6_9010
.LBB6_9009:                             ;   in Loop: Header=BB6_7994 Depth=3
	v_and_b32_sdwa v36, v118, v21 dst_sel:DWORD dst_unused:UNUSED_PAD src0_sel:DWORD src1_sel:BYTE_1
	v_and_b32_e32 v37, 3, v36
	v_bfe_u32 v42, v36, 2, 5
	v_ffbh_u32_e32 v101, v37
	v_cmp_eq_u32_e32 vcc_lo, 0, v42
	v_min_u32_e32 v101, 32, v101
	v_subrev_nc_u32_e32 v115, 29, v101
	v_sub_nc_u32_e32 v101, 30, v101
	v_lshlrev_b32_e32 v36, v115, v36
	v_lshlrev_b32_sdwa v115, v119, v21 dst_sel:DWORD dst_unused:UNUSED_PAD src0_sel:DWORD src1_sel:BYTE_1
	v_cndmask_b32_e32 v101, v42, v101, vcc_lo
	v_and_b32_e32 v36, 3, v36
	v_lshl_add_u32 v101, v101, 23, 0x37800000
	v_cndmask_b32_e32 v36, v37, v36, vcc_lo
	v_and_b32_e32 v37, 0x80000000, v115
	v_lshlrev_b32_e32 v36, 21, v36
	v_or3_b32 v36, v37, v101, v36
.LBB6_9010:                             ;   in Loop: Header=BB6_7994 Depth=3
	s_or_b32 exec_lo, exec_lo, s16
	v_add_f32_e32 v7, v7, v36
	v_mov_b32_e32 v106, 0x8000
	s_mov_b32 s23, exec_lo
	v_and_b32_e32 v36, 0x7f800000, v7
	v_cmpx_ne_u32_e32 0x7f800000, v36
	s_cbranch_execz .LBB6_9018
; %bb.9011:                             ;   in Loop: Header=BB6_7994 Depth=3
	v_mov_b32_e32 v106, 0
	s_mov_b32 s72, exec_lo
	v_cmpx_ne_u32_e32 0, v7
	s_cbranch_execz .LBB6_9017
; %bb.9012:                             ;   in Loop: Header=BB6_7994 Depth=3
	v_bfe_u32 v37, v7, 23, 8
	v_and_b32_e32 v36, 0x7fffff, v7
	v_cmp_gt_u32_e64 s16, 0x71, v37
	v_sub_nc_u32_e32 v101, 0x70, v37
	v_cmp_eq_u32_e32 vcc_lo, 0, v37
	v_or_b32_e32 v115, 0x800000, v36
	v_cndmask_b32_e64 v101, 0, v101, s16
	v_cndmask_b32_e32 v36, v115, v36, vcc_lo
	v_cndmask_b32_e64 v101, v101, 0x6f, vcc_lo
	v_lshl_add_u32 v115, 0x200000, v101, -1
	v_lshlrev_b32_e64 v42, v101, 0x100000
	v_and_b32_e32 v115, v115, v36
	v_cmp_eq_u32_e64 s16, v115, v42
	v_lshrrev_b32_e32 v115, v101, v36
	v_add_nc_u32_e32 v36, 0xffffff91, v37
	v_lshrrev_b32_e32 v37, 23, v115
	v_cndmask_b32_e64 v36, v36, 0xffffff92, vcc_lo
	v_xor_b32_e32 v37, 1, v37
	v_add_nc_u32_e32 v36, v101, v36
	v_bfe_u32 v101, v115, 21, 1
	v_add_nc_u32_e32 v101, -1, v101
	v_cndmask_b32_e64 v101, 0, v101, s16
	s_mov_b32 s16, exec_lo
	v_add_nc_u32_e32 v101, v101, v115
	v_and_b32_e32 v101, 0x1fffff, v101
	v_add_nc_u32_e32 v101, v101, v115
                                        ; implicit-def: $vgpr115
	v_cmpx_ne_u32_e64 v36, v37
	s_xor_b32 s16, exec_lo, s16
; %bb.9013:                             ;   in Loop: Header=BB6_7994 Depth=3
	v_cmp_lt_u32_e32 vcc_lo, 0xffffff, v101
	v_sub_nc_u32_e32 v36, v36, v37
	v_cndmask_b32_e64 v37, 0, 1, vcc_lo
	v_add_co_ci_u32_e64 v115, null, 0, v36, vcc_lo
	v_lshrrev_b32_e32 v101, v37, v101
; %bb.9014:                             ;   in Loop: Header=BB6_7994 Depth=3
	s_andn2_saveexec_b32 s16, s16
; %bb.9015:                             ;   in Loop: Header=BB6_7994 Depth=3
	v_bfe_u32 v115, v101, 23, 1
; %bb.9016:                             ;   in Loop: Header=BB6_7994 Depth=3
	s_or_b32 exec_lo, exec_lo, s16
	v_lshrrev_b32_e32 v36, 21, v101
	v_min_i32_e32 v37, 31, v115
	v_cmp_gt_i32_e32 vcc_lo, 32, v115
	v_and_b32_sdwa v7, v7, v117 dst_sel:DWORD dst_unused:UNUSED_PAD src0_sel:BYTE_3 src1_sel:DWORD
	v_lshlrev_b32_e32 v37, 2, v37
	v_cndmask_b32_e32 v36, 3, v36, vcc_lo
	v_and_b32_e32 v37, 0xfc, v37
	v_or_b32_e32 v101, v115, v36
	v_and_b32_e32 v36, 3, v36
	v_cmp_ne_u32_e32 vcc_lo, 0, v101
	v_or3_b32 v7, v7, v37, v36
	v_lshlrev_b32_e32 v7, 8, v7
	v_cndmask_b32_e32 v106, 0, v7, vcc_lo
.LBB6_9017:                             ;   in Loop: Header=BB6_7994 Depth=3
	s_or_b32 exec_lo, exec_lo, s72
.LBB6_9018:                             ;   in Loop: Header=BB6_7994 Depth=3
	s_or_b32 exec_lo, exec_lo, s23
	v_or_b32_e32 v36, v111, v76
	s_mov_b32 s23, 0
	v_cmp_gt_i16_sdwa s16, v36, v116 src0_sel:BYTE_0 src1_sel:DWORD
	s_and_saveexec_b32 s72, s16
	s_xor_b32 s16, exec_lo, s72
	s_cbranch_execz .LBB6_10328
; %bb.9019:                             ;   in Loop: Header=BB6_7994 Depth=3
	v_cmp_eq_u16_sdwa s73, v36, v117 src0_sel:BYTE_0 src1_sel:DWORD
	s_mov_b32 s23, -1
	s_and_saveexec_b32 s72, s73
; %bb.9020:                             ;   in Loop: Header=BB6_7994 Depth=3
	s_xor_b32 s23, exec_lo, -1
; %bb.9021:                             ;   in Loop: Header=BB6_7994 Depth=3
	s_or_b32 exec_lo, exec_lo, s72
	s_and_b32 s23, s23, exec_lo
	s_or_saveexec_b32 s16, s16
	v_mov_b32_e32 v7, 0x7f800001
	s_xor_b32 exec_lo, exec_lo, s16
	s_cbranch_execnz .LBB6_10329
.LBB6_9022:                             ;   in Loop: Header=BB6_7994 Depth=3
	s_or_b32 exec_lo, exec_lo, s16
	v_lshl_or_b32 v6, v36, 16, v6
	s_and_saveexec_b32 s16, s23
	s_cbranch_execz .LBB6_9024
.LBB6_9023:                             ;   in Loop: Header=BB6_7994 Depth=3
	v_bfe_u32 v7, v6, 16, 2
	v_bfe_u32 v36, v6, 18, 5
	v_ffbh_u32_e32 v37, v7
	v_cmp_eq_u32_e32 vcc_lo, 0, v36
	v_min_u32_e32 v37, 32, v37
	v_subrev_nc_u32_e32 v101, 29, v37
	v_sub_nc_u32_e32 v37, 30, v37
	v_lshlrev_b32_sdwa v101, v101, v6 dst_sel:DWORD dst_unused:UNUSED_PAD src0_sel:DWORD src1_sel:WORD_1
	v_cndmask_b32_e32 v36, v36, v37, vcc_lo
	v_lshlrev_b32_e32 v37, 8, v6
	v_and_b32_e32 v101, 3, v101
	v_lshl_add_u32 v36, v36, 23, 0x37800000
	v_and_b32_e32 v37, 0x80000000, v37
	v_cndmask_b32_e32 v7, v7, v101, vcc_lo
	v_lshlrev_b32_e32 v7, 21, v7
	v_or3_b32 v7, v37, v36, v7
.LBB6_9024:                             ;   in Loop: Header=BB6_7994 Depth=3
	s_or_b32 exec_lo, exec_lo, s16
	v_and_b32_sdwa v37, v21, v40 dst_sel:DWORD dst_unused:UNUSED_PAD src0_sel:WORD_1 src1_sel:DWORD
	s_mov_b32 s23, 0
	s_mov_b32 s16, exec_lo
	v_cmpx_lt_i16_e32 0x7f, v37
	s_xor_b32 s16, exec_lo, s16
	s_cbranch_execz .LBB6_10330
; %bb.9025:                             ;   in Loop: Header=BB6_7994 Depth=3
	s_mov_b32 s23, -1
	s_mov_b32 s72, exec_lo
	v_cmpx_eq_u16_e32 0x80, v37
; %bb.9026:                             ;   in Loop: Header=BB6_7994 Depth=3
	s_xor_b32 s23, exec_lo, -1
; %bb.9027:                             ;   in Loop: Header=BB6_7994 Depth=3
	s_or_b32 exec_lo, exec_lo, s72
	s_and_b32 s23, s23, exec_lo
                                        ; implicit-def: $vgpr37
	s_or_saveexec_b32 s16, s16
	v_mov_b32_e32 v36, 0x7f800001
	s_xor_b32 exec_lo, exec_lo, s16
	s_cbranch_execnz .LBB6_10331
.LBB6_9028:                             ;   in Loop: Header=BB6_7994 Depth=3
	s_or_b32 exec_lo, exec_lo, s16
	s_and_saveexec_b32 s16, s23
	s_cbranch_execz .LBB6_9030
.LBB6_9029:                             ;   in Loop: Header=BB6_7994 Depth=3
	v_bfe_u32 v36, v21, 16, 2
	v_bfe_u32 v37, v21, 18, 5
	v_ffbh_u32_e32 v101, v36
	v_cmp_eq_u32_e32 vcc_lo, 0, v37
	v_min_u32_e32 v101, 32, v101
	v_subrev_nc_u32_e32 v115, 29, v101
	v_sub_nc_u32_e32 v101, 30, v101
	v_lshlrev_b32_sdwa v115, v115, v21 dst_sel:DWORD dst_unused:UNUSED_PAD src0_sel:DWORD src1_sel:WORD_1
	v_cndmask_b32_e32 v37, v37, v101, vcc_lo
	v_lshlrev_b32_e32 v101, 8, v21
	v_and_b32_e32 v115, 3, v115
	v_lshl_add_u32 v37, v37, 23, 0x37800000
	v_and_b32_e32 v101, 0x80000000, v101
	v_cndmask_b32_e32 v36, v36, v115, vcc_lo
	v_lshlrev_b32_e32 v36, 21, v36
	v_or3_b32 v36, v101, v37, v36
.LBB6_9030:                             ;   in Loop: Header=BB6_7994 Depth=3
	s_or_b32 exec_lo, exec_lo, s16
	v_add_f32_e32 v7, v7, v36
	v_mov_b32_e32 v111, 0x80
	s_mov_b32 s23, exec_lo
	v_and_b32_e32 v36, 0x7f800000, v7
	v_cmpx_ne_u32_e32 0x7f800000, v36
	s_cbranch_execz .LBB6_9038
; %bb.9031:                             ;   in Loop: Header=BB6_7994 Depth=3
	v_mov_b32_e32 v111, 0
	s_mov_b32 s72, exec_lo
	v_cmpx_ne_u32_e32 0, v7
	s_cbranch_execz .LBB6_9037
; %bb.9032:                             ;   in Loop: Header=BB6_7994 Depth=3
	v_bfe_u32 v37, v7, 23, 8
	v_and_b32_e32 v36, 0x7fffff, v7
	v_cmp_gt_u32_e64 s16, 0x71, v37
	v_sub_nc_u32_e32 v101, 0x70, v37
	v_cmp_eq_u32_e32 vcc_lo, 0, v37
	v_or_b32_e32 v115, 0x800000, v36
	v_cndmask_b32_e64 v101, 0, v101, s16
	v_cndmask_b32_e32 v36, v115, v36, vcc_lo
	v_cndmask_b32_e64 v101, v101, 0x6f, vcc_lo
	v_lshl_add_u32 v115, 0x200000, v101, -1
	v_lshlrev_b32_e64 v42, v101, 0x100000
	v_and_b32_e32 v115, v115, v36
	v_cmp_eq_u32_e64 s16, v115, v42
	v_lshrrev_b32_e32 v115, v101, v36
	v_add_nc_u32_e32 v36, 0xffffff91, v37
	v_lshrrev_b32_e32 v37, 23, v115
	v_cndmask_b32_e64 v36, v36, 0xffffff92, vcc_lo
	v_xor_b32_e32 v37, 1, v37
	v_add_nc_u32_e32 v36, v101, v36
	v_bfe_u32 v101, v115, 21, 1
	v_add_nc_u32_e32 v101, -1, v101
	v_cndmask_b32_e64 v101, 0, v101, s16
	s_mov_b32 s16, exec_lo
	v_add_nc_u32_e32 v101, v101, v115
	v_and_b32_e32 v101, 0x1fffff, v101
	v_add_nc_u32_e32 v101, v101, v115
                                        ; implicit-def: $vgpr115
	v_cmpx_ne_u32_e64 v36, v37
	s_xor_b32 s16, exec_lo, s16
; %bb.9033:                             ;   in Loop: Header=BB6_7994 Depth=3
	v_cmp_lt_u32_e32 vcc_lo, 0xffffff, v101
	v_sub_nc_u32_e32 v36, v36, v37
	v_cndmask_b32_e64 v37, 0, 1, vcc_lo
	v_add_co_ci_u32_e64 v115, null, 0, v36, vcc_lo
	v_lshrrev_b32_e32 v101, v37, v101
; %bb.9034:                             ;   in Loop: Header=BB6_7994 Depth=3
	s_andn2_saveexec_b32 s16, s16
; %bb.9035:                             ;   in Loop: Header=BB6_7994 Depth=3
	v_bfe_u32 v115, v101, 23, 1
; %bb.9036:                             ;   in Loop: Header=BB6_7994 Depth=3
	s_or_b32 exec_lo, exec_lo, s16
	v_lshrrev_b32_e32 v36, 21, v101
	v_min_i32_e32 v37, 31, v115
	v_cmp_gt_i32_e32 vcc_lo, 32, v115
	v_and_b32_sdwa v7, v7, v117 dst_sel:DWORD dst_unused:UNUSED_PAD src0_sel:BYTE_3 src1_sel:DWORD
	v_lshlrev_b32_e32 v37, 2, v37
	v_cndmask_b32_e32 v36, 3, v36, vcc_lo
	v_and_b32_e32 v37, 0xfc, v37
	v_or_b32_e32 v101, v115, v36
	v_and_b32_e32 v36, 3, v36
	v_cmp_ne_u32_e32 vcc_lo, 0, v101
	v_or3_b32 v7, v37, v7, v36
	v_cndmask_b32_e32 v111, 0, v7, vcc_lo
.LBB6_9037:                             ;   in Loop: Header=BB6_7994 Depth=3
	s_or_b32 exec_lo, exec_lo, s72
.LBB6_9038:                             ;   in Loop: Header=BB6_7994 Depth=3
	s_or_b32 exec_lo, exec_lo, s23
	v_cmp_gt_i16_sdwa s16, v6, v116 src0_sel:BYTE_3 src1_sel:DWORD
	s_mov_b32 s23, 0
	s_and_saveexec_b32 s72, s16
	s_xor_b32 s16, exec_lo, s72
	s_cbranch_execz .LBB6_10332
; %bb.9039:                             ;   in Loop: Header=BB6_7994 Depth=3
	v_cmp_eq_u16_sdwa s73, v6, v117 src0_sel:BYTE_3 src1_sel:DWORD
	s_mov_b32 s23, -1
	s_and_saveexec_b32 s72, s73
; %bb.9040:                             ;   in Loop: Header=BB6_7994 Depth=3
	s_xor_b32 s23, exec_lo, -1
; %bb.9041:                             ;   in Loop: Header=BB6_7994 Depth=3
	s_or_b32 exec_lo, exec_lo, s72
	s_and_b32 s23, s23, exec_lo
	s_or_saveexec_b32 s16, s16
	v_mov_b32_e32 v7, 0x7f800001
	s_xor_b32 exec_lo, exec_lo, s16
	s_cbranch_execnz .LBB6_10333
.LBB6_9042:                             ;   in Loop: Header=BB6_7994 Depth=3
	s_or_b32 exec_lo, exec_lo, s16
	s_and_saveexec_b32 s16, s23
	s_cbranch_execz .LBB6_9044
.LBB6_9043:                             ;   in Loop: Header=BB6_7994 Depth=3
	v_bfe_u32 v7, v6, 24, 2
	v_bfe_u32 v101, v6, 26, 5
	v_ffbh_u32_e32 v36, v7
	v_cmp_eq_u32_e32 vcc_lo, 0, v101
	v_min_u32_e32 v36, 32, v36
	v_subrev_nc_u32_e32 v37, 29, v36
	v_sub_nc_u32_e32 v36, 30, v36
	v_lshlrev_b32_sdwa v37, v37, v6 dst_sel:DWORD dst_unused:UNUSED_PAD src0_sel:DWORD src1_sel:BYTE_3
	v_cndmask_b32_e32 v36, v101, v36, vcc_lo
	v_and_b32_e32 v6, 0x80000000, v6
	v_and_b32_e32 v37, 3, v37
	v_lshl_add_u32 v36, v36, 23, 0x37800000
	v_cndmask_b32_e32 v7, v7, v37, vcc_lo
	v_lshlrev_b32_e32 v7, 21, v7
	v_or3_b32 v7, v6, v36, v7
.LBB6_9044:                             ;   in Loop: Header=BB6_7994 Depth=3
	s_or_b32 exec_lo, exec_lo, s16
	v_cmp_gt_i16_sdwa s16, v21, v116 src0_sel:BYTE_3 src1_sel:DWORD
	s_mov_b32 s23, 0
	s_and_saveexec_b32 s72, s16
	s_xor_b32 s16, exec_lo, s72
	s_cbranch_execz .LBB6_10334
; %bb.9045:                             ;   in Loop: Header=BB6_7994 Depth=3
	v_cmp_eq_u16_sdwa s73, v21, v117 src0_sel:BYTE_3 src1_sel:DWORD
	s_mov_b32 s23, -1
	s_and_saveexec_b32 s72, s73
; %bb.9046:                             ;   in Loop: Header=BB6_7994 Depth=3
	s_xor_b32 s23, exec_lo, -1
; %bb.9047:                             ;   in Loop: Header=BB6_7994 Depth=3
	s_or_b32 exec_lo, exec_lo, s72
	s_and_b32 s23, s23, exec_lo
	s_or_saveexec_b32 s16, s16
	v_mov_b32_e32 v6, 0x7f800001
	s_xor_b32 exec_lo, exec_lo, s16
	s_cbranch_execnz .LBB6_10335
.LBB6_9048:                             ;   in Loop: Header=BB6_7994 Depth=3
	s_or_b32 exec_lo, exec_lo, s16
	s_and_saveexec_b32 s16, s23
	s_cbranch_execz .LBB6_9050
.LBB6_9049:                             ;   in Loop: Header=BB6_7994 Depth=3
	v_bfe_u32 v6, v21, 24, 2
	v_bfe_u32 v101, v21, 26, 5
	v_ffbh_u32_e32 v36, v6
	v_cmp_eq_u32_e32 vcc_lo, 0, v101
	v_min_u32_e32 v36, 32, v36
	v_subrev_nc_u32_e32 v37, 29, v36
	v_sub_nc_u32_e32 v36, 30, v36
	v_lshlrev_b32_sdwa v37, v37, v21 dst_sel:DWORD dst_unused:UNUSED_PAD src0_sel:DWORD src1_sel:BYTE_3
	v_cndmask_b32_e32 v36, v101, v36, vcc_lo
	v_and_b32_e32 v21, 0x80000000, v21
	v_and_b32_e32 v37, 3, v37
	v_lshl_add_u32 v36, v36, 23, 0x37800000
	v_cndmask_b32_e32 v6, v6, v37, vcc_lo
	v_lshlrev_b32_e32 v6, 21, v6
	v_or3_b32 v6, v21, v36, v6
.LBB6_9050:                             ;   in Loop: Header=BB6_7994 Depth=3
	s_or_b32 exec_lo, exec_lo, s16
	v_add_f32_e32 v6, v7, v6
	v_mov_b32_e32 v21, 0x8000
	s_mov_b32 s23, exec_lo
	v_and_b32_e32 v7, 0x7f800000, v6
	v_cmpx_ne_u32_e32 0x7f800000, v7
	s_cbranch_execz .LBB6_9058
; %bb.9051:                             ;   in Loop: Header=BB6_7994 Depth=3
	v_mov_b32_e32 v21, 0
	s_mov_b32 s72, exec_lo
	v_cmpx_ne_u32_e32 0, v6
	s_cbranch_execz .LBB6_9057
; %bb.9052:                             ;   in Loop: Header=BB6_7994 Depth=3
	v_bfe_u32 v21, v6, 23, 8
	v_and_b32_e32 v7, 0x7fffff, v6
	v_cmp_gt_u32_e64 s16, 0x71, v21
	v_sub_nc_u32_e32 v36, 0x70, v21
	v_cmp_eq_u32_e32 vcc_lo, 0, v21
	v_or_b32_e32 v37, 0x800000, v7
	v_cndmask_b32_e64 v36, 0, v36, s16
	v_cndmask_b32_e32 v7, v37, v7, vcc_lo
	v_cndmask_b32_e64 v36, v36, 0x6f, vcc_lo
	v_lshl_add_u32 v37, 0x200000, v36, -1
	v_lshlrev_b32_e64 v101, v36, 0x100000
	v_and_b32_e32 v37, v37, v7
	v_cmp_eq_u32_e64 s16, v37, v101
	v_lshrrev_b32_e32 v37, v36, v7
	v_add_nc_u32_e32 v7, 0xffffff91, v21
	v_lshrrev_b32_e32 v21, 23, v37
	v_cndmask_b32_e64 v7, v7, 0xffffff92, vcc_lo
	v_xor_b32_e32 v21, 1, v21
	v_add_nc_u32_e32 v7, v36, v7
	v_bfe_u32 v36, v37, 21, 1
	v_add_nc_u32_e32 v36, -1, v36
	v_cndmask_b32_e64 v36, 0, v36, s16
	s_mov_b32 s16, exec_lo
	v_add_nc_u32_e32 v36, v36, v37
	v_and_b32_e32 v36, 0x1fffff, v36
	v_add_nc_u32_e32 v36, v36, v37
                                        ; implicit-def: $vgpr37
	v_cmpx_ne_u32_e64 v7, v21
	s_xor_b32 s16, exec_lo, s16
; %bb.9053:                             ;   in Loop: Header=BB6_7994 Depth=3
	v_cmp_lt_u32_e32 vcc_lo, 0xffffff, v36
	v_sub_nc_u32_e32 v7, v7, v21
	v_cndmask_b32_e64 v21, 0, 1, vcc_lo
	v_add_co_ci_u32_e64 v37, null, 0, v7, vcc_lo
	v_lshrrev_b32_e32 v36, v21, v36
; %bb.9054:                             ;   in Loop: Header=BB6_7994 Depth=3
	s_andn2_saveexec_b32 s16, s16
; %bb.9055:                             ;   in Loop: Header=BB6_7994 Depth=3
	v_bfe_u32 v37, v36, 23, 1
; %bb.9056:                             ;   in Loop: Header=BB6_7994 Depth=3
	s_or_b32 exec_lo, exec_lo, s16
	v_lshrrev_b32_e32 v7, 21, v36
	v_min_i32_e32 v21, 31, v37
	v_cmp_gt_i32_e32 vcc_lo, 32, v37
	v_and_b32_sdwa v6, v6, v117 dst_sel:DWORD dst_unused:UNUSED_PAD src0_sel:BYTE_3 src1_sel:DWORD
	v_lshlrev_b32_e32 v21, 2, v21
	v_cndmask_b32_e32 v7, 3, v7, vcc_lo
	v_and_b32_e32 v21, 0xfc, v21
	v_or_b32_e32 v36, v37, v7
	v_and_b32_e32 v7, 3, v7
	v_cmp_ne_u32_e32 vcc_lo, 0, v36
	v_or3_b32 v6, v6, v21, v7
	v_lshlrev_b32_e32 v6, 8, v6
	v_cndmask_b32_e32 v21, 0, v6, vcc_lo
.LBB6_9057:                             ;   in Loop: Header=BB6_7994 Depth=3
	s_or_b32 exec_lo, exec_lo, s72
.LBB6_9058:                             ;   in Loop: Header=BB6_7994 Depth=3
	s_or_b32 exec_lo, exec_lo, s23
	v_or_b32_e32 v6, v63, v62
	s_mov_b32 s23, 0
	v_cmp_gt_i16_sdwa s16, v6, v116 src0_sel:BYTE_0 src1_sel:DWORD
	s_and_saveexec_b32 s72, s16
	s_xor_b32 s16, exec_lo, s72
	s_cbranch_execz .LBB6_10336
; %bb.9059:                             ;   in Loop: Header=BB6_7994 Depth=3
	v_cmp_eq_u16_sdwa s73, v6, v117 src0_sel:BYTE_0 src1_sel:DWORD
	s_mov_b32 s23, -1
	s_and_saveexec_b32 s72, s73
; %bb.9060:                             ;   in Loop: Header=BB6_7994 Depth=3
	s_xor_b32 s23, exec_lo, -1
; %bb.9061:                             ;   in Loop: Header=BB6_7994 Depth=3
	s_or_b32 exec_lo, exec_lo, s72
	s_and_b32 s23, s23, exec_lo
	s_or_saveexec_b32 s16, s16
	v_mov_b32_e32 v7, 0x7f800001
	s_xor_b32 exec_lo, exec_lo, s16
	s_cbranch_execnz .LBB6_10337
.LBB6_9062:                             ;   in Loop: Header=BB6_7994 Depth=3
	s_or_b32 exec_lo, exec_lo, s16
	s_and_saveexec_b32 s16, s23
	s_cbranch_execz .LBB6_9064
.LBB6_9063:                             ;   in Loop: Header=BB6_7994 Depth=3
	v_and_b32_e32 v7, 3, v6
	v_bfe_u32 v36, v6, 2, 5
	v_ffbh_u32_e32 v37, v7
	v_cmp_eq_u32_e32 vcc_lo, 0, v36
	v_min_u32_e32 v37, 32, v37
	v_subrev_nc_u32_e32 v101, 29, v37
	v_sub_nc_u32_e32 v37, 30, v37
	v_lshlrev_b32_e32 v101, v101, v6
	v_cndmask_b32_e32 v36, v36, v37, vcc_lo
	v_lshlrev_b32_e32 v37, 24, v6
	v_and_b32_e32 v101, 3, v101
	v_lshl_add_u32 v36, v36, 23, 0x37800000
	v_and_b32_e32 v37, 0x80000000, v37
	v_cndmask_b32_e32 v7, v7, v101, vcc_lo
	v_lshlrev_b32_e32 v7, 21, v7
	v_or3_b32 v7, v37, v36, v7
.LBB6_9064:                             ;   in Loop: Header=BB6_7994 Depth=3
	s_or_b32 exec_lo, exec_lo, s16
	v_cmp_gt_i16_sdwa s16, v22, v116 src0_sel:BYTE_0 src1_sel:DWORD
	s_mov_b32 s23, 0
	s_and_saveexec_b32 s72, s16
	s_xor_b32 s16, exec_lo, s72
	s_cbranch_execz .LBB6_10338
; %bb.9065:                             ;   in Loop: Header=BB6_7994 Depth=3
	v_cmp_eq_u16_sdwa s73, v22, v117 src0_sel:BYTE_0 src1_sel:DWORD
	s_mov_b32 s23, -1
	s_and_saveexec_b32 s72, s73
; %bb.9066:                             ;   in Loop: Header=BB6_7994 Depth=3
	s_xor_b32 s23, exec_lo, -1
; %bb.9067:                             ;   in Loop: Header=BB6_7994 Depth=3
	s_or_b32 exec_lo, exec_lo, s72
	s_and_b32 s23, s23, exec_lo
	s_or_saveexec_b32 s16, s16
	v_mov_b32_e32 v36, 0x7f800001
	s_xor_b32 exec_lo, exec_lo, s16
	s_cbranch_execnz .LBB6_10339
.LBB6_9068:                             ;   in Loop: Header=BB6_7994 Depth=3
	s_or_b32 exec_lo, exec_lo, s16
	s_and_saveexec_b32 s16, s23
	s_cbranch_execz .LBB6_9070
.LBB6_9069:                             ;   in Loop: Header=BB6_7994 Depth=3
	v_and_b32_e32 v36, 3, v22
	v_bfe_u32 v37, v22, 2, 5
	v_ffbh_u32_e32 v101, v36
	v_cmp_eq_u32_e32 vcc_lo, 0, v37
	v_min_u32_e32 v101, 32, v101
	v_subrev_nc_u32_e32 v115, 29, v101
	v_sub_nc_u32_e32 v101, 30, v101
	v_lshlrev_b32_e32 v115, v115, v22
	v_cndmask_b32_e32 v37, v37, v101, vcc_lo
	v_lshlrev_b32_e32 v101, 24, v22
	v_and_b32_e32 v115, 3, v115
	v_lshl_add_u32 v37, v37, 23, 0x37800000
	v_and_b32_e32 v101, 0x80000000, v101
	v_cndmask_b32_e32 v36, v36, v115, vcc_lo
	v_lshlrev_b32_e32 v36, 21, v36
	v_or3_b32 v36, v101, v37, v36
.LBB6_9070:                             ;   in Loop: Header=BB6_7994 Depth=3
	s_or_b32 exec_lo, exec_lo, s16
	v_add_f32_e32 v7, v7, v36
	v_mov_b32_e32 v125, 0x80
	s_mov_b32 s23, exec_lo
	v_and_b32_e32 v36, 0x7f800000, v7
	v_cmpx_ne_u32_e32 0x7f800000, v36
	s_cbranch_execz .LBB6_9078
; %bb.9071:                             ;   in Loop: Header=BB6_7994 Depth=3
	v_mov_b32_e32 v125, 0
	s_mov_b32 s72, exec_lo
	v_cmpx_ne_u32_e32 0, v7
	s_cbranch_execz .LBB6_9077
; %bb.9072:                             ;   in Loop: Header=BB6_7994 Depth=3
	v_bfe_u32 v37, v7, 23, 8
	v_and_b32_e32 v36, 0x7fffff, v7
	v_cmp_gt_u32_e64 s16, 0x71, v37
	v_sub_nc_u32_e32 v101, 0x70, v37
	v_cmp_eq_u32_e32 vcc_lo, 0, v37
	v_or_b32_e32 v115, 0x800000, v36
	v_cndmask_b32_e64 v101, 0, v101, s16
	v_cndmask_b32_e32 v36, v115, v36, vcc_lo
	v_cndmask_b32_e64 v101, v101, 0x6f, vcc_lo
	v_lshl_add_u32 v115, 0x200000, v101, -1
	v_lshlrev_b32_e64 v42, v101, 0x100000
	v_and_b32_e32 v115, v115, v36
	v_cmp_eq_u32_e64 s16, v115, v42
	v_lshrrev_b32_e32 v115, v101, v36
	v_add_nc_u32_e32 v36, 0xffffff91, v37
	v_lshrrev_b32_e32 v37, 23, v115
	v_cndmask_b32_e64 v36, v36, 0xffffff92, vcc_lo
	v_xor_b32_e32 v37, 1, v37
	v_add_nc_u32_e32 v36, v101, v36
	v_bfe_u32 v101, v115, 21, 1
	v_add_nc_u32_e32 v101, -1, v101
	v_cndmask_b32_e64 v101, 0, v101, s16
	s_mov_b32 s16, exec_lo
	v_add_nc_u32_e32 v101, v101, v115
	v_and_b32_e32 v101, 0x1fffff, v101
	v_add_nc_u32_e32 v101, v101, v115
                                        ; implicit-def: $vgpr115
	v_cmpx_ne_u32_e64 v36, v37
	s_xor_b32 s16, exec_lo, s16
; %bb.9073:                             ;   in Loop: Header=BB6_7994 Depth=3
	v_cmp_lt_u32_e32 vcc_lo, 0xffffff, v101
	v_sub_nc_u32_e32 v36, v36, v37
	v_cndmask_b32_e64 v37, 0, 1, vcc_lo
	v_add_co_ci_u32_e64 v115, null, 0, v36, vcc_lo
	v_lshrrev_b32_e32 v101, v37, v101
; %bb.9074:                             ;   in Loop: Header=BB6_7994 Depth=3
	s_andn2_saveexec_b32 s16, s16
; %bb.9075:                             ;   in Loop: Header=BB6_7994 Depth=3
	v_bfe_u32 v115, v101, 23, 1
; %bb.9076:                             ;   in Loop: Header=BB6_7994 Depth=3
	s_or_b32 exec_lo, exec_lo, s16
	v_lshrrev_b32_e32 v36, 21, v101
	v_min_i32_e32 v37, 31, v115
	v_cmp_gt_i32_e32 vcc_lo, 32, v115
	v_and_b32_sdwa v7, v7, v117 dst_sel:DWORD dst_unused:UNUSED_PAD src0_sel:BYTE_3 src1_sel:DWORD
	v_lshlrev_b32_e32 v37, 2, v37
	v_cndmask_b32_e32 v36, 3, v36, vcc_lo
	v_and_b32_e32 v37, 0xfc, v37
	v_or_b32_e32 v101, v115, v36
	v_and_b32_e32 v36, 3, v36
	v_cmp_ne_u32_e32 vcc_lo, 0, v101
	v_or3_b32 v7, v37, v7, v36
	v_cndmask_b32_e32 v125, 0, v7, vcc_lo
.LBB6_9077:                             ;   in Loop: Header=BB6_7994 Depth=3
	s_or_b32 exec_lo, exec_lo, s72
.LBB6_9078:                             ;   in Loop: Header=BB6_7994 Depth=3
	s_or_b32 exec_lo, exec_lo, s23
	v_cmp_gt_i16_sdwa s16, v6, v116 src0_sel:BYTE_1 src1_sel:DWORD
	s_mov_b32 s23, 0
	s_and_saveexec_b32 s72, s16
	s_xor_b32 s16, exec_lo, s72
	s_cbranch_execz .LBB6_10340
; %bb.9079:                             ;   in Loop: Header=BB6_7994 Depth=3
	v_cmp_eq_u16_sdwa s73, v6, v117 src0_sel:BYTE_1 src1_sel:DWORD
	s_mov_b32 s23, -1
	s_and_saveexec_b32 s72, s73
; %bb.9080:                             ;   in Loop: Header=BB6_7994 Depth=3
	s_xor_b32 s23, exec_lo, -1
; %bb.9081:                             ;   in Loop: Header=BB6_7994 Depth=3
	s_or_b32 exec_lo, exec_lo, s72
	s_and_b32 s23, s23, exec_lo
	s_or_saveexec_b32 s16, s16
	v_mov_b32_e32 v7, 0x7f800001
	s_xor_b32 exec_lo, exec_lo, s16
	s_cbranch_execnz .LBB6_10341
.LBB6_9082:                             ;   in Loop: Header=BB6_7994 Depth=3
	s_or_b32 exec_lo, exec_lo, s16
	s_and_saveexec_b32 s16, s23
	s_cbranch_execz .LBB6_9084
.LBB6_9083:                             ;   in Loop: Header=BB6_7994 Depth=3
	v_and_b32_sdwa v7, v118, v6 dst_sel:DWORD dst_unused:UNUSED_PAD src0_sel:DWORD src1_sel:BYTE_1
	v_and_b32_e32 v36, 3, v7
	v_bfe_u32 v115, v7, 2, 5
	v_ffbh_u32_e32 v37, v36
	v_cmp_eq_u32_e32 vcc_lo, 0, v115
	v_min_u32_e32 v37, 32, v37
	v_subrev_nc_u32_e32 v101, 29, v37
	v_sub_nc_u32_e32 v37, 30, v37
	v_lshlrev_b32_e32 v7, v101, v7
	v_lshlrev_b32_sdwa v101, v119, v6 dst_sel:DWORD dst_unused:UNUSED_PAD src0_sel:DWORD src1_sel:BYTE_1
	v_cndmask_b32_e32 v37, v115, v37, vcc_lo
	v_and_b32_e32 v7, 3, v7
	v_lshl_add_u32 v37, v37, 23, 0x37800000
	v_cndmask_b32_e32 v7, v36, v7, vcc_lo
	v_and_b32_e32 v36, 0x80000000, v101
	v_lshlrev_b32_e32 v7, 21, v7
	v_or3_b32 v7, v36, v37, v7
.LBB6_9084:                             ;   in Loop: Header=BB6_7994 Depth=3
	s_or_b32 exec_lo, exec_lo, s16
	v_cmp_gt_i16_sdwa s16, v22, v116 src0_sel:BYTE_1 src1_sel:DWORD
	s_mov_b32 s23, 0
	s_and_saveexec_b32 s72, s16
	s_xor_b32 s16, exec_lo, s72
	s_cbranch_execz .LBB6_10342
; %bb.9085:                             ;   in Loop: Header=BB6_7994 Depth=3
	v_cmp_eq_u16_sdwa s73, v22, v117 src0_sel:BYTE_1 src1_sel:DWORD
	s_mov_b32 s23, -1
	s_and_saveexec_b32 s72, s73
; %bb.9086:                             ;   in Loop: Header=BB6_7994 Depth=3
	s_xor_b32 s23, exec_lo, -1
; %bb.9087:                             ;   in Loop: Header=BB6_7994 Depth=3
	s_or_b32 exec_lo, exec_lo, s72
	s_and_b32 s23, s23, exec_lo
	s_or_saveexec_b32 s16, s16
	v_mov_b32_e32 v36, 0x7f800001
	s_xor_b32 exec_lo, exec_lo, s16
	s_cbranch_execnz .LBB6_10343
.LBB6_9088:                             ;   in Loop: Header=BB6_7994 Depth=3
	s_or_b32 exec_lo, exec_lo, s16
	s_and_saveexec_b32 s16, s23
	s_cbranch_execz .LBB6_9090
.LBB6_9089:                             ;   in Loop: Header=BB6_7994 Depth=3
	v_and_b32_sdwa v36, v118, v22 dst_sel:DWORD dst_unused:UNUSED_PAD src0_sel:DWORD src1_sel:BYTE_1
	v_and_b32_e32 v37, 3, v36
	v_bfe_u32 v42, v36, 2, 5
	v_ffbh_u32_e32 v101, v37
	v_cmp_eq_u32_e32 vcc_lo, 0, v42
	v_min_u32_e32 v101, 32, v101
	v_subrev_nc_u32_e32 v115, 29, v101
	v_sub_nc_u32_e32 v101, 30, v101
	v_lshlrev_b32_e32 v36, v115, v36
	v_lshlrev_b32_sdwa v115, v119, v22 dst_sel:DWORD dst_unused:UNUSED_PAD src0_sel:DWORD src1_sel:BYTE_1
	v_cndmask_b32_e32 v101, v42, v101, vcc_lo
	v_and_b32_e32 v36, 3, v36
	v_lshl_add_u32 v101, v101, 23, 0x37800000
	v_cndmask_b32_e32 v36, v37, v36, vcc_lo
	v_and_b32_e32 v37, 0x80000000, v115
	v_lshlrev_b32_e32 v36, 21, v36
	v_or3_b32 v36, v37, v101, v36
.LBB6_9090:                             ;   in Loop: Header=BB6_7994 Depth=3
	s_or_b32 exec_lo, exec_lo, s16
	v_add_f32_e32 v7, v7, v36
	v_mov_b32_e32 v76, 0x8000
	s_mov_b32 s23, exec_lo
	v_and_b32_e32 v36, 0x7f800000, v7
	v_cmpx_ne_u32_e32 0x7f800000, v36
	s_cbranch_execz .LBB6_9098
; %bb.9091:                             ;   in Loop: Header=BB6_7994 Depth=3
	v_mov_b32_e32 v76, 0
	s_mov_b32 s72, exec_lo
	v_cmpx_ne_u32_e32 0, v7
	s_cbranch_execz .LBB6_9097
; %bb.9092:                             ;   in Loop: Header=BB6_7994 Depth=3
	v_bfe_u32 v37, v7, 23, 8
	v_and_b32_e32 v36, 0x7fffff, v7
	v_cmp_gt_u32_e64 s16, 0x71, v37
	v_sub_nc_u32_e32 v101, 0x70, v37
	v_cmp_eq_u32_e32 vcc_lo, 0, v37
	v_or_b32_e32 v115, 0x800000, v36
	v_cndmask_b32_e64 v101, 0, v101, s16
	v_cndmask_b32_e32 v36, v115, v36, vcc_lo
	v_cndmask_b32_e64 v101, v101, 0x6f, vcc_lo
	v_lshl_add_u32 v115, 0x200000, v101, -1
	v_lshlrev_b32_e64 v42, v101, 0x100000
	v_and_b32_e32 v115, v115, v36
	v_cmp_eq_u32_e64 s16, v115, v42
	v_lshrrev_b32_e32 v115, v101, v36
	v_add_nc_u32_e32 v36, 0xffffff91, v37
	v_lshrrev_b32_e32 v37, 23, v115
	v_cndmask_b32_e64 v36, v36, 0xffffff92, vcc_lo
	v_xor_b32_e32 v37, 1, v37
	v_add_nc_u32_e32 v36, v101, v36
	v_bfe_u32 v101, v115, 21, 1
	v_add_nc_u32_e32 v101, -1, v101
	v_cndmask_b32_e64 v101, 0, v101, s16
	s_mov_b32 s16, exec_lo
	v_add_nc_u32_e32 v101, v101, v115
	v_and_b32_e32 v101, 0x1fffff, v101
	v_add_nc_u32_e32 v101, v101, v115
                                        ; implicit-def: $vgpr115
	v_cmpx_ne_u32_e64 v36, v37
	s_xor_b32 s16, exec_lo, s16
; %bb.9093:                             ;   in Loop: Header=BB6_7994 Depth=3
	v_cmp_lt_u32_e32 vcc_lo, 0xffffff, v101
	v_sub_nc_u32_e32 v36, v36, v37
	v_cndmask_b32_e64 v37, 0, 1, vcc_lo
	v_add_co_ci_u32_e64 v115, null, 0, v36, vcc_lo
	v_lshrrev_b32_e32 v101, v37, v101
; %bb.9094:                             ;   in Loop: Header=BB6_7994 Depth=3
	s_andn2_saveexec_b32 s16, s16
; %bb.9095:                             ;   in Loop: Header=BB6_7994 Depth=3
	v_bfe_u32 v115, v101, 23, 1
; %bb.9096:                             ;   in Loop: Header=BB6_7994 Depth=3
	s_or_b32 exec_lo, exec_lo, s16
	v_lshrrev_b32_e32 v36, 21, v101
	v_min_i32_e32 v37, 31, v115
	v_cmp_gt_i32_e32 vcc_lo, 32, v115
	v_and_b32_sdwa v7, v7, v117 dst_sel:DWORD dst_unused:UNUSED_PAD src0_sel:BYTE_3 src1_sel:DWORD
	v_lshlrev_b32_e32 v37, 2, v37
	v_cndmask_b32_e32 v36, 3, v36, vcc_lo
	v_and_b32_e32 v37, 0xfc, v37
	v_or_b32_e32 v101, v115, v36
	v_and_b32_e32 v36, 3, v36
	v_cmp_ne_u32_e32 vcc_lo, 0, v101
	v_or3_b32 v7, v7, v37, v36
	v_lshlrev_b32_e32 v7, 8, v7
	v_cndmask_b32_e32 v76, 0, v7, vcc_lo
.LBB6_9097:                             ;   in Loop: Header=BB6_7994 Depth=3
	s_or_b32 exec_lo, exec_lo, s72
.LBB6_9098:                             ;   in Loop: Header=BB6_7994 Depth=3
	s_or_b32 exec_lo, exec_lo, s23
	v_or_b32_e32 v36, v58, v66
	s_mov_b32 s23, 0
	v_cmp_gt_i16_sdwa s16, v36, v116 src0_sel:BYTE_0 src1_sel:DWORD
	s_and_saveexec_b32 s72, s16
	s_xor_b32 s16, exec_lo, s72
	s_cbranch_execz .LBB6_10344
; %bb.9099:                             ;   in Loop: Header=BB6_7994 Depth=3
	v_cmp_eq_u16_sdwa s73, v36, v117 src0_sel:BYTE_0 src1_sel:DWORD
	s_mov_b32 s23, -1
	s_and_saveexec_b32 s72, s73
; %bb.9100:                             ;   in Loop: Header=BB6_7994 Depth=3
	s_xor_b32 s23, exec_lo, -1
; %bb.9101:                             ;   in Loop: Header=BB6_7994 Depth=3
	s_or_b32 exec_lo, exec_lo, s72
	s_and_b32 s23, s23, exec_lo
	s_or_saveexec_b32 s16, s16
	v_mov_b32_e32 v7, 0x7f800001
	s_xor_b32 exec_lo, exec_lo, s16
	s_cbranch_execnz .LBB6_10345
.LBB6_9102:                             ;   in Loop: Header=BB6_7994 Depth=3
	s_or_b32 exec_lo, exec_lo, s16
	v_lshl_or_b32 v6, v36, 16, v6
	s_and_saveexec_b32 s16, s23
	s_cbranch_execz .LBB6_9104
.LBB6_9103:                             ;   in Loop: Header=BB6_7994 Depth=3
	v_bfe_u32 v7, v6, 16, 2
	v_bfe_u32 v36, v6, 18, 5
	v_ffbh_u32_e32 v37, v7
	v_cmp_eq_u32_e32 vcc_lo, 0, v36
	v_min_u32_e32 v37, 32, v37
	v_subrev_nc_u32_e32 v66, 29, v37
	v_sub_nc_u32_e32 v37, 30, v37
	v_lshlrev_b32_sdwa v66, v66, v6 dst_sel:DWORD dst_unused:UNUSED_PAD src0_sel:DWORD src1_sel:WORD_1
	v_cndmask_b32_e32 v36, v36, v37, vcc_lo
	v_lshlrev_b32_e32 v37, 8, v6
	v_and_b32_e32 v66, 3, v66
	v_lshl_add_u32 v36, v36, 23, 0x37800000
	v_and_b32_e32 v37, 0x80000000, v37
	v_cndmask_b32_e32 v7, v7, v66, vcc_lo
	v_lshlrev_b32_e32 v7, 21, v7
	v_or3_b32 v7, v37, v36, v7
.LBB6_9104:                             ;   in Loop: Header=BB6_7994 Depth=3
	s_or_b32 exec_lo, exec_lo, s16
	v_and_b32_sdwa v37, v22, v40 dst_sel:DWORD dst_unused:UNUSED_PAD src0_sel:WORD_1 src1_sel:DWORD
	s_mov_b32 s23, 0
	s_mov_b32 s16, exec_lo
	v_cmpx_lt_i16_e32 0x7f, v37
	s_xor_b32 s16, exec_lo, s16
	s_cbranch_execz .LBB6_10346
; %bb.9105:                             ;   in Loop: Header=BB6_7994 Depth=3
	s_mov_b32 s23, -1
	s_mov_b32 s72, exec_lo
	v_cmpx_eq_u16_e32 0x80, v37
; %bb.9106:                             ;   in Loop: Header=BB6_7994 Depth=3
	s_xor_b32 s23, exec_lo, -1
; %bb.9107:                             ;   in Loop: Header=BB6_7994 Depth=3
	s_or_b32 exec_lo, exec_lo, s72
	s_and_b32 s23, s23, exec_lo
                                        ; implicit-def: $vgpr37
	s_or_saveexec_b32 s16, s16
	v_mov_b32_e32 v36, 0x7f800001
	s_xor_b32 exec_lo, exec_lo, s16
	s_cbranch_execnz .LBB6_10347
.LBB6_9108:                             ;   in Loop: Header=BB6_7994 Depth=3
	s_or_b32 exec_lo, exec_lo, s16
	s_and_saveexec_b32 s16, s23
	s_cbranch_execz .LBB6_9110
.LBB6_9109:                             ;   in Loop: Header=BB6_7994 Depth=3
	v_bfe_u32 v36, v22, 16, 2
	v_bfe_u32 v37, v22, 18, 5
	v_ffbh_u32_e32 v66, v36
	v_cmp_eq_u32_e32 vcc_lo, 0, v37
	v_min_u32_e32 v66, 32, v66
	v_subrev_nc_u32_e32 v101, 29, v66
	v_sub_nc_u32_e32 v66, 30, v66
	v_lshlrev_b32_sdwa v101, v101, v22 dst_sel:DWORD dst_unused:UNUSED_PAD src0_sel:DWORD src1_sel:WORD_1
	v_cndmask_b32_e32 v37, v37, v66, vcc_lo
	v_lshlrev_b32_e32 v66, 8, v22
	v_and_b32_e32 v101, 3, v101
	v_lshl_add_u32 v37, v37, 23, 0x37800000
	v_and_b32_e32 v66, 0x80000000, v66
	v_cndmask_b32_e32 v36, v36, v101, vcc_lo
	v_lshlrev_b32_e32 v36, 21, v36
	v_or3_b32 v36, v66, v37, v36
.LBB6_9110:                             ;   in Loop: Header=BB6_7994 Depth=3
	s_or_b32 exec_lo, exec_lo, s16
	v_add_f32_e32 v7, v7, v36
	v_mov_b32_e32 v66, 0x80
	s_mov_b32 s23, exec_lo
	v_and_b32_e32 v36, 0x7f800000, v7
	v_cmpx_ne_u32_e32 0x7f800000, v36
	s_cbranch_execz .LBB6_9118
; %bb.9111:                             ;   in Loop: Header=BB6_7994 Depth=3
	v_mov_b32_e32 v66, 0
	s_mov_b32 s72, exec_lo
	v_cmpx_ne_u32_e32 0, v7
	s_cbranch_execz .LBB6_9117
; %bb.9112:                             ;   in Loop: Header=BB6_7994 Depth=3
	v_bfe_u32 v37, v7, 23, 8
	v_and_b32_e32 v36, 0x7fffff, v7
	v_cmp_gt_u32_e64 s16, 0x71, v37
	v_sub_nc_u32_e32 v66, 0x70, v37
	v_cmp_eq_u32_e32 vcc_lo, 0, v37
	v_or_b32_e32 v101, 0x800000, v36
	v_cndmask_b32_e64 v66, 0, v66, s16
	v_cndmask_b32_e32 v36, v101, v36, vcc_lo
	v_cndmask_b32_e64 v66, v66, 0x6f, vcc_lo
	v_lshl_add_u32 v101, 0x200000, v66, -1
	v_lshlrev_b32_e64 v115, v66, 0x100000
	v_and_b32_e32 v101, v101, v36
	v_cmp_eq_u32_e64 s16, v101, v115
	v_lshrrev_b32_e32 v101, v66, v36
	v_add_nc_u32_e32 v36, 0xffffff91, v37
	v_lshrrev_b32_e32 v37, 23, v101
	v_cndmask_b32_e64 v36, v36, 0xffffff92, vcc_lo
	v_xor_b32_e32 v37, 1, v37
	v_add_nc_u32_e32 v36, v66, v36
	v_bfe_u32 v66, v101, 21, 1
	v_add_nc_u32_e32 v66, -1, v66
	v_cndmask_b32_e64 v66, 0, v66, s16
	s_mov_b32 s16, exec_lo
	v_add_nc_u32_e32 v66, v66, v101
	v_and_b32_e32 v66, 0x1fffff, v66
	v_add_nc_u32_e32 v66, v66, v101
                                        ; implicit-def: $vgpr101
	v_cmpx_ne_u32_e64 v36, v37
	s_xor_b32 s16, exec_lo, s16
; %bb.9113:                             ;   in Loop: Header=BB6_7994 Depth=3
	v_cmp_lt_u32_e32 vcc_lo, 0xffffff, v66
	v_sub_nc_u32_e32 v36, v36, v37
	v_cndmask_b32_e64 v37, 0, 1, vcc_lo
	v_add_co_ci_u32_e64 v101, null, 0, v36, vcc_lo
	v_lshrrev_b32_e32 v66, v37, v66
; %bb.9114:                             ;   in Loop: Header=BB6_7994 Depth=3
	s_andn2_saveexec_b32 s16, s16
; %bb.9115:                             ;   in Loop: Header=BB6_7994 Depth=3
	v_bfe_u32 v101, v66, 23, 1
; %bb.9116:                             ;   in Loop: Header=BB6_7994 Depth=3
	s_or_b32 exec_lo, exec_lo, s16
	v_lshrrev_b32_e32 v36, 21, v66
	v_min_i32_e32 v37, 31, v101
	v_cmp_gt_i32_e32 vcc_lo, 32, v101
	v_and_b32_sdwa v7, v7, v117 dst_sel:DWORD dst_unused:UNUSED_PAD src0_sel:BYTE_3 src1_sel:DWORD
	v_lshlrev_b32_e32 v37, 2, v37
	v_cndmask_b32_e32 v36, 3, v36, vcc_lo
	v_and_b32_e32 v37, 0xfc, v37
	v_or_b32_e32 v66, v101, v36
	v_and_b32_e32 v36, 3, v36
	v_cmp_ne_u32_e32 vcc_lo, 0, v66
	v_or3_b32 v7, v37, v7, v36
	v_cndmask_b32_e32 v66, 0, v7, vcc_lo
.LBB6_9117:                             ;   in Loop: Header=BB6_7994 Depth=3
	s_or_b32 exec_lo, exec_lo, s72
.LBB6_9118:                             ;   in Loop: Header=BB6_7994 Depth=3
	s_or_b32 exec_lo, exec_lo, s23
	v_cmp_gt_i16_sdwa s16, v6, v116 src0_sel:BYTE_3 src1_sel:DWORD
	s_mov_b32 s23, 0
	s_and_saveexec_b32 s72, s16
	s_xor_b32 s16, exec_lo, s72
	s_cbranch_execz .LBB6_10348
; %bb.9119:                             ;   in Loop: Header=BB6_7994 Depth=3
	v_cmp_eq_u16_sdwa s73, v6, v117 src0_sel:BYTE_3 src1_sel:DWORD
	s_mov_b32 s23, -1
	s_and_saveexec_b32 s72, s73
; %bb.9120:                             ;   in Loop: Header=BB6_7994 Depth=3
	s_xor_b32 s23, exec_lo, -1
; %bb.9121:                             ;   in Loop: Header=BB6_7994 Depth=3
	s_or_b32 exec_lo, exec_lo, s72
	s_and_b32 s23, s23, exec_lo
	s_or_saveexec_b32 s16, s16
	v_mov_b32_e32 v7, 0x7f800001
	s_xor_b32 exec_lo, exec_lo, s16
	s_cbranch_execnz .LBB6_10349
.LBB6_9122:                             ;   in Loop: Header=BB6_7994 Depth=3
	s_or_b32 exec_lo, exec_lo, s16
	s_and_saveexec_b32 s16, s23
	s_cbranch_execz .LBB6_9124
.LBB6_9123:                             ;   in Loop: Header=BB6_7994 Depth=3
	v_bfe_u32 v7, v6, 24, 2
	v_bfe_u32 v101, v6, 26, 5
	v_ffbh_u32_e32 v36, v7
	v_cmp_eq_u32_e32 vcc_lo, 0, v101
	v_min_u32_e32 v36, 32, v36
	v_subrev_nc_u32_e32 v37, 29, v36
	v_sub_nc_u32_e32 v36, 30, v36
	v_lshlrev_b32_sdwa v37, v37, v6 dst_sel:DWORD dst_unused:UNUSED_PAD src0_sel:DWORD src1_sel:BYTE_3
	v_cndmask_b32_e32 v36, v101, v36, vcc_lo
	v_and_b32_e32 v6, 0x80000000, v6
	v_and_b32_e32 v37, 3, v37
	v_lshl_add_u32 v36, v36, 23, 0x37800000
	v_cndmask_b32_e32 v7, v7, v37, vcc_lo
	v_lshlrev_b32_e32 v7, 21, v7
	v_or3_b32 v7, v6, v36, v7
.LBB6_9124:                             ;   in Loop: Header=BB6_7994 Depth=3
	s_or_b32 exec_lo, exec_lo, s16
	v_cmp_gt_i16_sdwa s16, v22, v116 src0_sel:BYTE_3 src1_sel:DWORD
	s_mov_b32 s23, 0
	s_and_saveexec_b32 s72, s16
	s_xor_b32 s16, exec_lo, s72
	s_cbranch_execz .LBB6_10350
; %bb.9125:                             ;   in Loop: Header=BB6_7994 Depth=3
	v_cmp_eq_u16_sdwa s73, v22, v117 src0_sel:BYTE_3 src1_sel:DWORD
	s_mov_b32 s23, -1
	s_and_saveexec_b32 s72, s73
; %bb.9126:                             ;   in Loop: Header=BB6_7994 Depth=3
	s_xor_b32 s23, exec_lo, -1
; %bb.9127:                             ;   in Loop: Header=BB6_7994 Depth=3
	s_or_b32 exec_lo, exec_lo, s72
	s_and_b32 s23, s23, exec_lo
	s_or_saveexec_b32 s16, s16
	v_mov_b32_e32 v6, 0x7f800001
	s_xor_b32 exec_lo, exec_lo, s16
	s_cbranch_execnz .LBB6_10351
.LBB6_9128:                             ;   in Loop: Header=BB6_7994 Depth=3
	s_or_b32 exec_lo, exec_lo, s16
	s_and_saveexec_b32 s16, s23
	s_cbranch_execz .LBB6_9130
.LBB6_9129:                             ;   in Loop: Header=BB6_7994 Depth=3
	v_bfe_u32 v6, v22, 24, 2
	v_bfe_u32 v101, v22, 26, 5
	v_ffbh_u32_e32 v36, v6
	v_cmp_eq_u32_e32 vcc_lo, 0, v101
	v_min_u32_e32 v36, 32, v36
	v_subrev_nc_u32_e32 v37, 29, v36
	v_sub_nc_u32_e32 v36, 30, v36
	v_lshlrev_b32_sdwa v37, v37, v22 dst_sel:DWORD dst_unused:UNUSED_PAD src0_sel:DWORD src1_sel:BYTE_3
	v_cndmask_b32_e32 v36, v101, v36, vcc_lo
	v_and_b32_e32 v22, 0x80000000, v22
	v_and_b32_e32 v37, 3, v37
	v_lshl_add_u32 v36, v36, 23, 0x37800000
	v_cndmask_b32_e32 v6, v6, v37, vcc_lo
	v_lshlrev_b32_e32 v6, 21, v6
	v_or3_b32 v6, v22, v36, v6
.LBB6_9130:                             ;   in Loop: Header=BB6_7994 Depth=3
	s_or_b32 exec_lo, exec_lo, s16
	v_add_f32_e32 v6, v7, v6
	v_mov_b32_e32 v22, 0x8000
	s_mov_b32 s23, exec_lo
	v_and_b32_e32 v7, 0x7f800000, v6
	v_cmpx_ne_u32_e32 0x7f800000, v7
	s_cbranch_execz .LBB6_9138
; %bb.9131:                             ;   in Loop: Header=BB6_7994 Depth=3
	v_mov_b32_e32 v22, 0
	s_mov_b32 s72, exec_lo
	v_cmpx_ne_u32_e32 0, v6
	s_cbranch_execz .LBB6_9137
; %bb.9132:                             ;   in Loop: Header=BB6_7994 Depth=3
	v_bfe_u32 v22, v6, 23, 8
	v_and_b32_e32 v7, 0x7fffff, v6
	v_cmp_gt_u32_e64 s16, 0x71, v22
	v_sub_nc_u32_e32 v36, 0x70, v22
	v_cmp_eq_u32_e32 vcc_lo, 0, v22
	v_or_b32_e32 v37, 0x800000, v7
	v_cndmask_b32_e64 v36, 0, v36, s16
	v_cndmask_b32_e32 v7, v37, v7, vcc_lo
	v_cndmask_b32_e64 v36, v36, 0x6f, vcc_lo
	v_lshl_add_u32 v37, 0x200000, v36, -1
	v_lshlrev_b32_e64 v101, v36, 0x100000
	v_and_b32_e32 v37, v37, v7
	v_cmp_eq_u32_e64 s16, v37, v101
	v_lshrrev_b32_e32 v37, v36, v7
	v_add_nc_u32_e32 v7, 0xffffff91, v22
	v_lshrrev_b32_e32 v22, 23, v37
	v_cndmask_b32_e64 v7, v7, 0xffffff92, vcc_lo
	v_xor_b32_e32 v22, 1, v22
	v_add_nc_u32_e32 v7, v36, v7
	v_bfe_u32 v36, v37, 21, 1
	v_add_nc_u32_e32 v36, -1, v36
	v_cndmask_b32_e64 v36, 0, v36, s16
	s_mov_b32 s16, exec_lo
	v_add_nc_u32_e32 v36, v36, v37
	v_and_b32_e32 v36, 0x1fffff, v36
	v_add_nc_u32_e32 v36, v36, v37
                                        ; implicit-def: $vgpr37
	v_cmpx_ne_u32_e64 v7, v22
	s_xor_b32 s16, exec_lo, s16
; %bb.9133:                             ;   in Loop: Header=BB6_7994 Depth=3
	v_cmp_lt_u32_e32 vcc_lo, 0xffffff, v36
	v_sub_nc_u32_e32 v7, v7, v22
	v_cndmask_b32_e64 v22, 0, 1, vcc_lo
	v_add_co_ci_u32_e64 v37, null, 0, v7, vcc_lo
	v_lshrrev_b32_e32 v36, v22, v36
; %bb.9134:                             ;   in Loop: Header=BB6_7994 Depth=3
	s_andn2_saveexec_b32 s16, s16
; %bb.9135:                             ;   in Loop: Header=BB6_7994 Depth=3
	v_bfe_u32 v37, v36, 23, 1
; %bb.9136:                             ;   in Loop: Header=BB6_7994 Depth=3
	s_or_b32 exec_lo, exec_lo, s16
	v_lshrrev_b32_e32 v7, 21, v36
	v_min_i32_e32 v22, 31, v37
	v_cmp_gt_i32_e32 vcc_lo, 32, v37
	v_and_b32_sdwa v6, v6, v117 dst_sel:DWORD dst_unused:UNUSED_PAD src0_sel:BYTE_3 src1_sel:DWORD
	v_lshlrev_b32_e32 v22, 2, v22
	v_cndmask_b32_e32 v7, 3, v7, vcc_lo
	v_and_b32_e32 v22, 0xfc, v22
	v_or_b32_e32 v36, v37, v7
	v_and_b32_e32 v7, 3, v7
	v_cmp_ne_u32_e32 vcc_lo, 0, v36
	v_or3_b32 v6, v6, v22, v7
	v_lshlrev_b32_e32 v6, 8, v6
	v_cndmask_b32_e32 v22, 0, v6, vcc_lo
.LBB6_9137:                             ;   in Loop: Header=BB6_7994 Depth=3
	s_or_b32 exec_lo, exec_lo, s72
.LBB6_9138:                             ;   in Loop: Header=BB6_7994 Depth=3
	s_or_b32 exec_lo, exec_lo, s23
	v_or_b32_e32 v6, v102, v54
	s_mov_b32 s23, 0
	v_cmp_gt_i16_sdwa s16, v6, v116 src0_sel:BYTE_0 src1_sel:DWORD
	s_and_saveexec_b32 s72, s16
	s_xor_b32 s16, exec_lo, s72
	s_cbranch_execz .LBB6_10352
; %bb.9139:                             ;   in Loop: Header=BB6_7994 Depth=3
	v_cmp_eq_u16_sdwa s73, v6, v117 src0_sel:BYTE_0 src1_sel:DWORD
	s_mov_b32 s23, -1
	s_and_saveexec_b32 s72, s73
; %bb.9140:                             ;   in Loop: Header=BB6_7994 Depth=3
	s_xor_b32 s23, exec_lo, -1
; %bb.9141:                             ;   in Loop: Header=BB6_7994 Depth=3
	s_or_b32 exec_lo, exec_lo, s72
	s_and_b32 s23, s23, exec_lo
	s_or_saveexec_b32 s16, s16
	v_mov_b32_e32 v7, 0x7f800001
	s_xor_b32 exec_lo, exec_lo, s16
	s_cbranch_execnz .LBB6_10353
.LBB6_9142:                             ;   in Loop: Header=BB6_7994 Depth=3
	s_or_b32 exec_lo, exec_lo, s16
	s_and_saveexec_b32 s16, s23
	s_cbranch_execz .LBB6_9144
.LBB6_9143:                             ;   in Loop: Header=BB6_7994 Depth=3
	v_and_b32_e32 v7, 3, v6
	v_bfe_u32 v36, v6, 2, 5
	v_ffbh_u32_e32 v37, v7
	v_cmp_eq_u32_e32 vcc_lo, 0, v36
	v_min_u32_e32 v37, 32, v37
	v_subrev_nc_u32_e32 v54, 29, v37
	v_sub_nc_u32_e32 v37, 30, v37
	v_lshlrev_b32_e32 v54, v54, v6
	v_cndmask_b32_e32 v36, v36, v37, vcc_lo
	v_lshlrev_b32_e32 v37, 24, v6
	v_and_b32_e32 v54, 3, v54
	v_lshl_add_u32 v36, v36, 23, 0x37800000
	v_and_b32_e32 v37, 0x80000000, v37
	v_cndmask_b32_e32 v7, v7, v54, vcc_lo
	v_lshlrev_b32_e32 v7, 21, v7
	v_or3_b32 v7, v37, v36, v7
.LBB6_9144:                             ;   in Loop: Header=BB6_7994 Depth=3
	s_or_b32 exec_lo, exec_lo, s16
	v_cmp_gt_i16_sdwa s16, v23, v116 src0_sel:BYTE_0 src1_sel:DWORD
	s_mov_b32 s23, 0
	s_and_saveexec_b32 s72, s16
	s_xor_b32 s16, exec_lo, s72
	s_cbranch_execz .LBB6_10354
; %bb.9145:                             ;   in Loop: Header=BB6_7994 Depth=3
	v_cmp_eq_u16_sdwa s73, v23, v117 src0_sel:BYTE_0 src1_sel:DWORD
	s_mov_b32 s23, -1
	s_and_saveexec_b32 s72, s73
; %bb.9146:                             ;   in Loop: Header=BB6_7994 Depth=3
	s_xor_b32 s23, exec_lo, -1
; %bb.9147:                             ;   in Loop: Header=BB6_7994 Depth=3
	s_or_b32 exec_lo, exec_lo, s72
	s_and_b32 s23, s23, exec_lo
	s_or_saveexec_b32 s16, s16
	v_mov_b32_e32 v36, 0x7f800001
	s_xor_b32 exec_lo, exec_lo, s16
	s_cbranch_execnz .LBB6_10355
.LBB6_9148:                             ;   in Loop: Header=BB6_7994 Depth=3
	s_or_b32 exec_lo, exec_lo, s16
	s_and_saveexec_b32 s16, s23
	s_cbranch_execz .LBB6_9150
.LBB6_9149:                             ;   in Loop: Header=BB6_7994 Depth=3
	v_and_b32_e32 v36, 3, v23
	v_bfe_u32 v37, v23, 2, 5
	v_ffbh_u32_e32 v54, v36
	v_cmp_eq_u32_e32 vcc_lo, 0, v37
	v_min_u32_e32 v54, 32, v54
	v_subrev_nc_u32_e32 v101, 29, v54
	v_sub_nc_u32_e32 v54, 30, v54
	v_lshlrev_b32_e32 v101, v101, v23
	v_cndmask_b32_e32 v37, v37, v54, vcc_lo
	v_lshlrev_b32_e32 v54, 24, v23
	v_and_b32_e32 v101, 3, v101
	v_lshl_add_u32 v37, v37, 23, 0x37800000
	v_and_b32_e32 v54, 0x80000000, v54
	v_cndmask_b32_e32 v36, v36, v101, vcc_lo
	v_lshlrev_b32_e32 v36, 21, v36
	v_or3_b32 v36, v54, v37, v36
.LBB6_9150:                             ;   in Loop: Header=BB6_7994 Depth=3
	s_or_b32 exec_lo, exec_lo, s16
	v_add_f32_e32 v7, v7, v36
	v_mov_b32_e32 v102, 0x80
	s_mov_b32 s23, exec_lo
	v_and_b32_e32 v36, 0x7f800000, v7
	v_cmpx_ne_u32_e32 0x7f800000, v36
	s_cbranch_execz .LBB6_9158
; %bb.9151:                             ;   in Loop: Header=BB6_7994 Depth=3
	v_mov_b32_e32 v102, 0
	s_mov_b32 s72, exec_lo
	v_cmpx_ne_u32_e32 0, v7
	s_cbranch_execz .LBB6_9157
; %bb.9152:                             ;   in Loop: Header=BB6_7994 Depth=3
	v_bfe_u32 v37, v7, 23, 8
	v_and_b32_e32 v36, 0x7fffff, v7
	v_cmp_gt_u32_e64 s16, 0x71, v37
	v_sub_nc_u32_e32 v54, 0x70, v37
	v_cmp_eq_u32_e32 vcc_lo, 0, v37
	v_or_b32_e32 v101, 0x800000, v36
	v_cndmask_b32_e64 v54, 0, v54, s16
	v_cndmask_b32_e32 v36, v101, v36, vcc_lo
	v_cndmask_b32_e64 v54, v54, 0x6f, vcc_lo
	v_lshl_add_u32 v101, 0x200000, v54, -1
	v_lshlrev_b32_e64 v102, v54, 0x100000
	v_and_b32_e32 v101, v101, v36
	v_cmp_eq_u32_e64 s16, v101, v102
	v_lshrrev_b32_e32 v101, v54, v36
	v_add_nc_u32_e32 v36, 0xffffff91, v37
	v_lshrrev_b32_e32 v37, 23, v101
	v_cndmask_b32_e64 v36, v36, 0xffffff92, vcc_lo
	v_xor_b32_e32 v37, 1, v37
	v_add_nc_u32_e32 v36, v54, v36
	v_bfe_u32 v54, v101, 21, 1
	v_add_nc_u32_e32 v54, -1, v54
	v_cndmask_b32_e64 v54, 0, v54, s16
	s_mov_b32 s16, exec_lo
	v_add_nc_u32_e32 v54, v54, v101
	v_and_b32_e32 v54, 0x1fffff, v54
	v_add_nc_u32_e32 v54, v54, v101
                                        ; implicit-def: $vgpr101
	v_cmpx_ne_u32_e64 v36, v37
	s_xor_b32 s16, exec_lo, s16
; %bb.9153:                             ;   in Loop: Header=BB6_7994 Depth=3
	v_cmp_lt_u32_e32 vcc_lo, 0xffffff, v54
	v_sub_nc_u32_e32 v36, v36, v37
	v_cndmask_b32_e64 v37, 0, 1, vcc_lo
	v_add_co_ci_u32_e64 v101, null, 0, v36, vcc_lo
	v_lshrrev_b32_e32 v54, v37, v54
; %bb.9154:                             ;   in Loop: Header=BB6_7994 Depth=3
	s_andn2_saveexec_b32 s16, s16
; %bb.9155:                             ;   in Loop: Header=BB6_7994 Depth=3
	v_bfe_u32 v101, v54, 23, 1
; %bb.9156:                             ;   in Loop: Header=BB6_7994 Depth=3
	s_or_b32 exec_lo, exec_lo, s16
	v_lshrrev_b32_e32 v36, 21, v54
	v_min_i32_e32 v37, 31, v101
	v_cmp_gt_i32_e32 vcc_lo, 32, v101
	v_and_b32_sdwa v7, v7, v117 dst_sel:DWORD dst_unused:UNUSED_PAD src0_sel:BYTE_3 src1_sel:DWORD
	v_lshlrev_b32_e32 v37, 2, v37
	v_cndmask_b32_e32 v36, 3, v36, vcc_lo
	v_and_b32_e32 v37, 0xfc, v37
	v_or_b32_e32 v54, v101, v36
	v_and_b32_e32 v36, 3, v36
	v_cmp_ne_u32_e32 vcc_lo, 0, v54
	v_or3_b32 v7, v37, v7, v36
	v_cndmask_b32_e32 v102, 0, v7, vcc_lo
.LBB6_9157:                             ;   in Loop: Header=BB6_7994 Depth=3
	s_or_b32 exec_lo, exec_lo, s72
.LBB6_9158:                             ;   in Loop: Header=BB6_7994 Depth=3
	s_or_b32 exec_lo, exec_lo, s23
	v_cmp_gt_i16_sdwa s16, v6, v116 src0_sel:BYTE_1 src1_sel:DWORD
	s_mov_b32 s23, 0
	s_and_saveexec_b32 s72, s16
	s_xor_b32 s16, exec_lo, s72
	s_cbranch_execz .LBB6_10356
; %bb.9159:                             ;   in Loop: Header=BB6_7994 Depth=3
	v_cmp_eq_u16_sdwa s73, v6, v117 src0_sel:BYTE_1 src1_sel:DWORD
	s_mov_b32 s23, -1
	s_and_saveexec_b32 s72, s73
; %bb.9160:                             ;   in Loop: Header=BB6_7994 Depth=3
	s_xor_b32 s23, exec_lo, -1
; %bb.9161:                             ;   in Loop: Header=BB6_7994 Depth=3
	s_or_b32 exec_lo, exec_lo, s72
	s_and_b32 s23, s23, exec_lo
	s_or_saveexec_b32 s16, s16
	v_mov_b32_e32 v7, 0x7f800001
	s_xor_b32 exec_lo, exec_lo, s16
	s_cbranch_execnz .LBB6_10357
.LBB6_9162:                             ;   in Loop: Header=BB6_7994 Depth=3
	s_or_b32 exec_lo, exec_lo, s16
	s_and_saveexec_b32 s16, s23
	s_cbranch_execz .LBB6_9164
.LBB6_9163:                             ;   in Loop: Header=BB6_7994 Depth=3
	v_and_b32_sdwa v7, v118, v6 dst_sel:DWORD dst_unused:UNUSED_PAD src0_sel:DWORD src1_sel:BYTE_1
	v_and_b32_e32 v36, 3, v7
	v_bfe_u32 v101, v7, 2, 5
	v_ffbh_u32_e32 v37, v36
	v_cmp_eq_u32_e32 vcc_lo, 0, v101
	v_min_u32_e32 v37, 32, v37
	v_subrev_nc_u32_e32 v54, 29, v37
	v_sub_nc_u32_e32 v37, 30, v37
	v_lshlrev_b32_e32 v7, v54, v7
	v_lshlrev_b32_sdwa v54, v119, v6 dst_sel:DWORD dst_unused:UNUSED_PAD src0_sel:DWORD src1_sel:BYTE_1
	v_cndmask_b32_e32 v37, v101, v37, vcc_lo
	v_and_b32_e32 v7, 3, v7
	v_lshl_add_u32 v37, v37, 23, 0x37800000
	v_cndmask_b32_e32 v7, v36, v7, vcc_lo
	v_and_b32_e32 v36, 0x80000000, v54
	v_lshlrev_b32_e32 v7, 21, v7
	v_or3_b32 v7, v36, v37, v7
.LBB6_9164:                             ;   in Loop: Header=BB6_7994 Depth=3
	s_or_b32 exec_lo, exec_lo, s16
	v_cmp_gt_i16_sdwa s16, v23, v116 src0_sel:BYTE_1 src1_sel:DWORD
	s_mov_b32 s23, 0
	s_and_saveexec_b32 s72, s16
	s_xor_b32 s16, exec_lo, s72
	s_cbranch_execz .LBB6_10358
; %bb.9165:                             ;   in Loop: Header=BB6_7994 Depth=3
	v_cmp_eq_u16_sdwa s73, v23, v117 src0_sel:BYTE_1 src1_sel:DWORD
	s_mov_b32 s23, -1
	s_and_saveexec_b32 s72, s73
; %bb.9166:                             ;   in Loop: Header=BB6_7994 Depth=3
	s_xor_b32 s23, exec_lo, -1
; %bb.9167:                             ;   in Loop: Header=BB6_7994 Depth=3
	s_or_b32 exec_lo, exec_lo, s72
	s_and_b32 s23, s23, exec_lo
	s_or_saveexec_b32 s16, s16
	v_mov_b32_e32 v36, 0x7f800001
	s_xor_b32 exec_lo, exec_lo, s16
	s_cbranch_execnz .LBB6_10359
.LBB6_9168:                             ;   in Loop: Header=BB6_7994 Depth=3
	s_or_b32 exec_lo, exec_lo, s16
	s_and_saveexec_b32 s16, s23
	s_cbranch_execz .LBB6_9170
.LBB6_9169:                             ;   in Loop: Header=BB6_7994 Depth=3
	v_and_b32_sdwa v36, v118, v23 dst_sel:DWORD dst_unused:UNUSED_PAD src0_sel:DWORD src1_sel:BYTE_1
	v_and_b32_e32 v37, 3, v36
	v_bfe_u32 v115, v36, 2, 5
	v_ffbh_u32_e32 v54, v37
	v_cmp_eq_u32_e32 vcc_lo, 0, v115
	v_min_u32_e32 v54, 32, v54
	v_subrev_nc_u32_e32 v101, 29, v54
	v_sub_nc_u32_e32 v54, 30, v54
	v_lshlrev_b32_e32 v36, v101, v36
	v_lshlrev_b32_sdwa v101, v119, v23 dst_sel:DWORD dst_unused:UNUSED_PAD src0_sel:DWORD src1_sel:BYTE_1
	v_cndmask_b32_e32 v54, v115, v54, vcc_lo
	v_and_b32_e32 v36, 3, v36
	v_lshl_add_u32 v54, v54, 23, 0x37800000
	v_cndmask_b32_e32 v36, v37, v36, vcc_lo
	v_and_b32_e32 v37, 0x80000000, v101
	v_lshlrev_b32_e32 v36, 21, v36
	v_or3_b32 v36, v37, v54, v36
.LBB6_9170:                             ;   in Loop: Header=BB6_7994 Depth=3
	s_or_b32 exec_lo, exec_lo, s16
	v_add_f32_e32 v7, v7, v36
	v_mov_b32_e32 v54, 0x8000
	s_mov_b32 s23, exec_lo
	v_and_b32_e32 v36, 0x7f800000, v7
	v_cmpx_ne_u32_e32 0x7f800000, v36
	s_cbranch_execz .LBB6_9178
; %bb.9171:                             ;   in Loop: Header=BB6_7994 Depth=3
	v_mov_b32_e32 v54, 0
	s_mov_b32 s72, exec_lo
	v_cmpx_ne_u32_e32 0, v7
	s_cbranch_execz .LBB6_9177
; %bb.9172:                             ;   in Loop: Header=BB6_7994 Depth=3
	v_bfe_u32 v37, v7, 23, 8
	v_and_b32_e32 v36, 0x7fffff, v7
	v_cmp_gt_u32_e64 s16, 0x71, v37
	v_sub_nc_u32_e32 v54, 0x70, v37
	v_cmp_eq_u32_e32 vcc_lo, 0, v37
	v_or_b32_e32 v101, 0x800000, v36
	v_cndmask_b32_e64 v54, 0, v54, s16
	v_cndmask_b32_e32 v36, v101, v36, vcc_lo
	v_cndmask_b32_e64 v54, v54, 0x6f, vcc_lo
	v_lshl_add_u32 v101, 0x200000, v54, -1
	v_lshlrev_b32_e64 v115, v54, 0x100000
	v_and_b32_e32 v101, v101, v36
	v_cmp_eq_u32_e64 s16, v101, v115
	v_lshrrev_b32_e32 v101, v54, v36
	v_add_nc_u32_e32 v36, 0xffffff91, v37
	v_lshrrev_b32_e32 v37, 23, v101
	v_cndmask_b32_e64 v36, v36, 0xffffff92, vcc_lo
	v_xor_b32_e32 v37, 1, v37
	v_add_nc_u32_e32 v36, v54, v36
	v_bfe_u32 v54, v101, 21, 1
	v_add_nc_u32_e32 v54, -1, v54
	v_cndmask_b32_e64 v54, 0, v54, s16
	s_mov_b32 s16, exec_lo
	v_add_nc_u32_e32 v54, v54, v101
	v_and_b32_e32 v54, 0x1fffff, v54
	v_add_nc_u32_e32 v54, v54, v101
                                        ; implicit-def: $vgpr101
	v_cmpx_ne_u32_e64 v36, v37
	s_xor_b32 s16, exec_lo, s16
; %bb.9173:                             ;   in Loop: Header=BB6_7994 Depth=3
	v_cmp_lt_u32_e32 vcc_lo, 0xffffff, v54
	v_sub_nc_u32_e32 v36, v36, v37
	v_cndmask_b32_e64 v37, 0, 1, vcc_lo
	v_add_co_ci_u32_e64 v101, null, 0, v36, vcc_lo
	v_lshrrev_b32_e32 v54, v37, v54
; %bb.9174:                             ;   in Loop: Header=BB6_7994 Depth=3
	s_andn2_saveexec_b32 s16, s16
; %bb.9175:                             ;   in Loop: Header=BB6_7994 Depth=3
	v_bfe_u32 v101, v54, 23, 1
; %bb.9176:                             ;   in Loop: Header=BB6_7994 Depth=3
	s_or_b32 exec_lo, exec_lo, s16
	v_lshrrev_b32_e32 v36, 21, v54
	v_min_i32_e32 v37, 31, v101
	v_cmp_gt_i32_e32 vcc_lo, 32, v101
	v_and_b32_sdwa v7, v7, v117 dst_sel:DWORD dst_unused:UNUSED_PAD src0_sel:BYTE_3 src1_sel:DWORD
	v_lshlrev_b32_e32 v37, 2, v37
	v_cndmask_b32_e32 v36, 3, v36, vcc_lo
	v_and_b32_e32 v37, 0xfc, v37
	v_or_b32_e32 v54, v101, v36
	v_and_b32_e32 v36, 3, v36
	v_cmp_ne_u32_e32 vcc_lo, 0, v54
	v_or3_b32 v7, v7, v37, v36
	v_lshlrev_b32_e32 v7, 8, v7
	v_cndmask_b32_e32 v54, 0, v7, vcc_lo
.LBB6_9177:                             ;   in Loop: Header=BB6_7994 Depth=3
	s_or_b32 exec_lo, exec_lo, s72
.LBB6_9178:                             ;   in Loop: Header=BB6_7994 Depth=3
	s_or_b32 exec_lo, exec_lo, s23
	v_or_b32_e32 v0, v56, v0
	s_mov_b32 s23, 0
	v_cmp_gt_i16_sdwa s16, v0, v116 src0_sel:BYTE_0 src1_sel:DWORD
	s_and_saveexec_b32 s72, s16
	s_xor_b32 s16, exec_lo, s72
	s_cbranch_execz .LBB6_10360
; %bb.9179:                             ;   in Loop: Header=BB6_7994 Depth=3
	v_cmp_eq_u16_sdwa s73, v0, v117 src0_sel:BYTE_0 src1_sel:DWORD
	s_mov_b32 s23, -1
	s_and_saveexec_b32 s72, s73
; %bb.9180:                             ;   in Loop: Header=BB6_7994 Depth=3
	s_xor_b32 s23, exec_lo, -1
; %bb.9181:                             ;   in Loop: Header=BB6_7994 Depth=3
	s_or_b32 exec_lo, exec_lo, s72
	s_and_b32 s23, s23, exec_lo
	s_or_saveexec_b32 s16, s16
	v_mov_b32_e32 v7, 0x7f800001
	s_xor_b32 exec_lo, exec_lo, s16
	s_cbranch_execnz .LBB6_10361
.LBB6_9182:                             ;   in Loop: Header=BB6_7994 Depth=3
	s_or_b32 exec_lo, exec_lo, s16
	v_lshl_or_b32 v0, v0, 16, v6
	s_and_saveexec_b32 s16, s23
	s_cbranch_execz .LBB6_9184
.LBB6_9183:                             ;   in Loop: Header=BB6_7994 Depth=3
	v_bfe_u32 v6, v0, 16, 2
	v_bfe_u32 v7, v0, 18, 5
	v_ffbh_u32_e32 v36, v6
	v_cmp_eq_u32_e32 vcc_lo, 0, v7
	v_min_u32_e32 v36, 32, v36
	v_subrev_nc_u32_e32 v37, 29, v36
	v_sub_nc_u32_e32 v36, 30, v36
	v_lshlrev_b32_sdwa v37, v37, v0 dst_sel:DWORD dst_unused:UNUSED_PAD src0_sel:DWORD src1_sel:WORD_1
	v_cndmask_b32_e32 v7, v7, v36, vcc_lo
	v_lshlrev_b32_e32 v36, 8, v0
	v_and_b32_e32 v37, 3, v37
	v_lshl_add_u32 v7, v7, 23, 0x37800000
	v_and_b32_e32 v36, 0x80000000, v36
	v_cndmask_b32_e32 v6, v6, v37, vcc_lo
	v_lshlrev_b32_e32 v6, 21, v6
	v_or3_b32 v7, v36, v7, v6
.LBB6_9184:                             ;   in Loop: Header=BB6_7994 Depth=3
	s_or_b32 exec_lo, exec_lo, s16
	v_and_b32_sdwa v36, v23, v40 dst_sel:DWORD dst_unused:UNUSED_PAD src0_sel:WORD_1 src1_sel:DWORD
	s_mov_b32 s23, 0
	s_mov_b32 s16, exec_lo
	v_cmpx_lt_i16_e32 0x7f, v36
	s_xor_b32 s16, exec_lo, s16
	s_cbranch_execz .LBB6_10362
; %bb.9185:                             ;   in Loop: Header=BB6_7994 Depth=3
	s_mov_b32 s23, -1
	s_mov_b32 s72, exec_lo
	v_cmpx_eq_u16_e32 0x80, v36
; %bb.9186:                             ;   in Loop: Header=BB6_7994 Depth=3
	s_xor_b32 s23, exec_lo, -1
; %bb.9187:                             ;   in Loop: Header=BB6_7994 Depth=3
	s_or_b32 exec_lo, exec_lo, s72
	s_and_b32 s23, s23, exec_lo
                                        ; implicit-def: $vgpr36
	s_or_saveexec_b32 s16, s16
	v_mov_b32_e32 v6, 0x7f800001
	s_xor_b32 exec_lo, exec_lo, s16
	s_cbranch_execnz .LBB6_10363
.LBB6_9188:                             ;   in Loop: Header=BB6_7994 Depth=3
	s_or_b32 exec_lo, exec_lo, s16
	s_and_saveexec_b32 s16, s23
	s_cbranch_execz .LBB6_9190
.LBB6_9189:                             ;   in Loop: Header=BB6_7994 Depth=3
	v_bfe_u32 v6, v23, 16, 2
	v_bfe_u32 v36, v23, 18, 5
	v_ffbh_u32_e32 v37, v6
	v_cmp_eq_u32_e32 vcc_lo, 0, v36
	v_min_u32_e32 v37, 32, v37
	v_subrev_nc_u32_e32 v101, 29, v37
	v_sub_nc_u32_e32 v37, 30, v37
	v_lshlrev_b32_sdwa v101, v101, v23 dst_sel:DWORD dst_unused:UNUSED_PAD src0_sel:DWORD src1_sel:WORD_1
	v_cndmask_b32_e32 v36, v36, v37, vcc_lo
	v_lshlrev_b32_e32 v37, 8, v23
	v_and_b32_e32 v101, 3, v101
	v_lshl_add_u32 v36, v36, 23, 0x37800000
	v_and_b32_e32 v37, 0x80000000, v37
	v_cndmask_b32_e32 v6, v6, v101, vcc_lo
	v_lshlrev_b32_e32 v6, 21, v6
	v_or3_b32 v6, v37, v36, v6
.LBB6_9190:                             ;   in Loop: Header=BB6_7994 Depth=3
	s_or_b32 exec_lo, exec_lo, s16
	v_add_f32_e32 v6, v7, v6
	v_mov_b32_e32 v58, 0x80
	s_mov_b32 s23, exec_lo
	v_and_b32_e32 v7, 0x7f800000, v6
	v_cmpx_ne_u32_e32 0x7f800000, v7
	s_cbranch_execz .LBB6_9198
; %bb.9191:                             ;   in Loop: Header=BB6_7994 Depth=3
	v_mov_b32_e32 v58, 0
	s_mov_b32 s72, exec_lo
	v_cmpx_ne_u32_e32 0, v6
	s_cbranch_execz .LBB6_9197
; %bb.9192:                             ;   in Loop: Header=BB6_7994 Depth=3
	v_bfe_u32 v36, v6, 23, 8
	v_and_b32_e32 v7, 0x7fffff, v6
	v_cmp_gt_u32_e64 s16, 0x71, v36
	v_sub_nc_u32_e32 v37, 0x70, v36
	v_cmp_eq_u32_e32 vcc_lo, 0, v36
	v_or_b32_e32 v101, 0x800000, v7
	v_cndmask_b32_e64 v37, 0, v37, s16
	v_cndmask_b32_e32 v7, v101, v7, vcc_lo
	v_cndmask_b32_e64 v37, v37, 0x6f, vcc_lo
	v_lshl_add_u32 v101, 0x200000, v37, -1
	v_lshlrev_b32_e64 v115, v37, 0x100000
	v_and_b32_e32 v101, v101, v7
	v_cmp_eq_u32_e64 s16, v101, v115
	v_lshrrev_b32_e32 v101, v37, v7
	v_add_nc_u32_e32 v7, 0xffffff91, v36
	v_lshrrev_b32_e32 v36, 23, v101
	v_cndmask_b32_e64 v7, v7, 0xffffff92, vcc_lo
	v_xor_b32_e32 v36, 1, v36
	v_add_nc_u32_e32 v7, v37, v7
	v_bfe_u32 v37, v101, 21, 1
	v_add_nc_u32_e32 v37, -1, v37
	v_cndmask_b32_e64 v37, 0, v37, s16
	s_mov_b32 s16, exec_lo
	v_add_nc_u32_e32 v37, v37, v101
	v_and_b32_e32 v37, 0x1fffff, v37
	v_add_nc_u32_e32 v37, v37, v101
                                        ; implicit-def: $vgpr101
	v_cmpx_ne_u32_e64 v7, v36
	s_xor_b32 s16, exec_lo, s16
; %bb.9193:                             ;   in Loop: Header=BB6_7994 Depth=3
	v_cmp_lt_u32_e32 vcc_lo, 0xffffff, v37
	v_sub_nc_u32_e32 v7, v7, v36
	v_cndmask_b32_e64 v36, 0, 1, vcc_lo
	v_add_co_ci_u32_e64 v101, null, 0, v7, vcc_lo
	v_lshrrev_b32_e32 v37, v36, v37
; %bb.9194:                             ;   in Loop: Header=BB6_7994 Depth=3
	s_andn2_saveexec_b32 s16, s16
; %bb.9195:                             ;   in Loop: Header=BB6_7994 Depth=3
	v_bfe_u32 v101, v37, 23, 1
; %bb.9196:                             ;   in Loop: Header=BB6_7994 Depth=3
	s_or_b32 exec_lo, exec_lo, s16
	v_lshrrev_b32_e32 v7, 21, v37
	v_min_i32_e32 v36, 31, v101
	v_cmp_gt_i32_e32 vcc_lo, 32, v101
	v_and_b32_sdwa v6, v6, v117 dst_sel:DWORD dst_unused:UNUSED_PAD src0_sel:BYTE_3 src1_sel:DWORD
	v_lshlrev_b32_e32 v36, 2, v36
	v_cndmask_b32_e32 v7, 3, v7, vcc_lo
	v_and_b32_e32 v36, 0xfc, v36
	v_or_b32_e32 v37, v101, v7
	v_and_b32_e32 v7, 3, v7
	v_cmp_ne_u32_e32 vcc_lo, 0, v37
	v_or3_b32 v6, v36, v6, v7
	v_cndmask_b32_e32 v58, 0, v6, vcc_lo
.LBB6_9197:                             ;   in Loop: Header=BB6_7994 Depth=3
	s_or_b32 exec_lo, exec_lo, s72
.LBB6_9198:                             ;   in Loop: Header=BB6_7994 Depth=3
	s_or_b32 exec_lo, exec_lo, s23
	v_cmp_gt_i16_sdwa s16, v0, v116 src0_sel:BYTE_3 src1_sel:DWORD
	s_mov_b32 s23, 0
	s_and_saveexec_b32 s72, s16
	s_xor_b32 s16, exec_lo, s72
	s_cbranch_execz .LBB6_10364
; %bb.9199:                             ;   in Loop: Header=BB6_7994 Depth=3
	v_cmp_eq_u16_sdwa s73, v0, v117 src0_sel:BYTE_3 src1_sel:DWORD
	s_mov_b32 s23, -1
	s_and_saveexec_b32 s72, s73
; %bb.9200:                             ;   in Loop: Header=BB6_7994 Depth=3
	s_xor_b32 s23, exec_lo, -1
; %bb.9201:                             ;   in Loop: Header=BB6_7994 Depth=3
	s_or_b32 exec_lo, exec_lo, s72
	s_and_b32 s23, s23, exec_lo
	s_or_saveexec_b32 s16, s16
	v_mov_b32_e32 v6, 0x7f800001
	s_xor_b32 exec_lo, exec_lo, s16
	s_cbranch_execnz .LBB6_10365
.LBB6_9202:                             ;   in Loop: Header=BB6_7994 Depth=3
	s_or_b32 exec_lo, exec_lo, s16
	s_and_saveexec_b32 s16, s23
	s_cbranch_execz .LBB6_9204
.LBB6_9203:                             ;   in Loop: Header=BB6_7994 Depth=3
	v_bfe_u32 v6, v0, 24, 2
	v_bfe_u32 v37, v0, 26, 5
	v_ffbh_u32_e32 v7, v6
	v_cmp_eq_u32_e32 vcc_lo, 0, v37
	v_min_u32_e32 v7, 32, v7
	v_subrev_nc_u32_e32 v36, 29, v7
	v_sub_nc_u32_e32 v7, 30, v7
	v_lshlrev_b32_sdwa v36, v36, v0 dst_sel:DWORD dst_unused:UNUSED_PAD src0_sel:DWORD src1_sel:BYTE_3
	v_cndmask_b32_e32 v7, v37, v7, vcc_lo
	v_and_b32_e32 v0, 0x80000000, v0
	v_and_b32_e32 v36, 3, v36
	v_lshl_add_u32 v7, v7, 23, 0x37800000
	v_cndmask_b32_e32 v6, v6, v36, vcc_lo
	v_lshlrev_b32_e32 v6, 21, v6
	v_or3_b32 v6, v0, v7, v6
.LBB6_9204:                             ;   in Loop: Header=BB6_7994 Depth=3
	s_or_b32 exec_lo, exec_lo, s16
	v_cmp_gt_i16_sdwa s16, v23, v116 src0_sel:BYTE_3 src1_sel:DWORD
	s_mov_b32 s23, 0
	s_and_saveexec_b32 s72, s16
	s_xor_b32 s16, exec_lo, s72
	s_cbranch_execz .LBB6_10366
; %bb.9205:                             ;   in Loop: Header=BB6_7994 Depth=3
	v_cmp_eq_u16_sdwa s73, v23, v117 src0_sel:BYTE_3 src1_sel:DWORD
	s_mov_b32 s23, -1
	s_and_saveexec_b32 s72, s73
; %bb.9206:                             ;   in Loop: Header=BB6_7994 Depth=3
	s_xor_b32 s23, exec_lo, -1
; %bb.9207:                             ;   in Loop: Header=BB6_7994 Depth=3
	s_or_b32 exec_lo, exec_lo, s72
	s_and_b32 s23, s23, exec_lo
	s_or_saveexec_b32 s16, s16
	v_mov_b32_e32 v0, 0x7f800001
	s_xor_b32 exec_lo, exec_lo, s16
	s_cbranch_execnz .LBB6_10367
.LBB6_9208:                             ;   in Loop: Header=BB6_7994 Depth=3
	s_or_b32 exec_lo, exec_lo, s16
	s_and_saveexec_b32 s16, s23
	s_cbranch_execz .LBB6_9210
.LBB6_9209:                             ;   in Loop: Header=BB6_7994 Depth=3
	v_bfe_u32 v0, v23, 24, 2
	v_bfe_u32 v37, v23, 26, 5
	v_ffbh_u32_e32 v7, v0
	v_cmp_eq_u32_e32 vcc_lo, 0, v37
	v_min_u32_e32 v7, 32, v7
	v_subrev_nc_u32_e32 v36, 29, v7
	v_sub_nc_u32_e32 v7, 30, v7
	v_lshlrev_b32_sdwa v36, v36, v23 dst_sel:DWORD dst_unused:UNUSED_PAD src0_sel:DWORD src1_sel:BYTE_3
	v_cndmask_b32_e32 v7, v37, v7, vcc_lo
	v_and_b32_e32 v23, 0x80000000, v23
	v_and_b32_e32 v36, 3, v36
	v_lshl_add_u32 v7, v7, 23, 0x37800000
	v_cndmask_b32_e32 v0, v0, v36, vcc_lo
	v_lshlrev_b32_e32 v0, 21, v0
	v_or3_b32 v0, v23, v7, v0
.LBB6_9210:                             ;   in Loop: Header=BB6_7994 Depth=3
	s_or_b32 exec_lo, exec_lo, s16
	v_add_f32_e32 v0, v6, v0
	v_mov_b32_e32 v23, 0x8000
	s_mov_b32 s23, exec_lo
	v_and_b32_e32 v6, 0x7f800000, v0
	v_cmpx_ne_u32_e32 0x7f800000, v6
	s_cbranch_execz .LBB6_9218
; %bb.9211:                             ;   in Loop: Header=BB6_7994 Depth=3
	v_mov_b32_e32 v23, 0
	s_mov_b32 s72, exec_lo
	v_cmpx_ne_u32_e32 0, v0
	s_cbranch_execz .LBB6_9217
; %bb.9212:                             ;   in Loop: Header=BB6_7994 Depth=3
	v_bfe_u32 v7, v0, 23, 8
	v_and_b32_e32 v6, 0x7fffff, v0
	v_cmp_gt_u32_e64 s16, 0x71, v7
	v_sub_nc_u32_e32 v23, 0x70, v7
	v_cmp_eq_u32_e32 vcc_lo, 0, v7
	v_or_b32_e32 v36, 0x800000, v6
	v_cndmask_b32_e64 v23, 0, v23, s16
	v_cndmask_b32_e32 v6, v36, v6, vcc_lo
	v_cndmask_b32_e64 v23, v23, 0x6f, vcc_lo
	v_lshl_add_u32 v36, 0x200000, v23, -1
	v_lshlrev_b32_e64 v37, v23, 0x100000
	v_and_b32_e32 v36, v36, v6
	v_cmp_eq_u32_e64 s16, v36, v37
	v_lshrrev_b32_e32 v36, v23, v6
	v_add_nc_u32_e32 v6, 0xffffff91, v7
	v_lshrrev_b32_e32 v7, 23, v36
	v_cndmask_b32_e64 v6, v6, 0xffffff92, vcc_lo
	v_xor_b32_e32 v7, 1, v7
	v_add_nc_u32_e32 v6, v23, v6
	v_bfe_u32 v23, v36, 21, 1
	v_add_nc_u32_e32 v23, -1, v23
	v_cndmask_b32_e64 v23, 0, v23, s16
	s_mov_b32 s16, exec_lo
	v_add_nc_u32_e32 v23, v23, v36
	v_and_b32_e32 v23, 0x1fffff, v23
	v_add_nc_u32_e32 v23, v23, v36
                                        ; implicit-def: $vgpr36
	v_cmpx_ne_u32_e64 v6, v7
	s_xor_b32 s16, exec_lo, s16
; %bb.9213:                             ;   in Loop: Header=BB6_7994 Depth=3
	v_cmp_lt_u32_e32 vcc_lo, 0xffffff, v23
	v_sub_nc_u32_e32 v6, v6, v7
	v_cndmask_b32_e64 v7, 0, 1, vcc_lo
	v_add_co_ci_u32_e64 v36, null, 0, v6, vcc_lo
	v_lshrrev_b32_e32 v23, v7, v23
; %bb.9214:                             ;   in Loop: Header=BB6_7994 Depth=3
	s_andn2_saveexec_b32 s16, s16
; %bb.9215:                             ;   in Loop: Header=BB6_7994 Depth=3
	v_bfe_u32 v36, v23, 23, 1
; %bb.9216:                             ;   in Loop: Header=BB6_7994 Depth=3
	s_or_b32 exec_lo, exec_lo, s16
	v_lshrrev_b32_e32 v6, 21, v23
	v_min_i32_e32 v7, 31, v36
	v_cmp_gt_i32_e32 vcc_lo, 32, v36
	v_and_b32_sdwa v0, v0, v117 dst_sel:DWORD dst_unused:UNUSED_PAD src0_sel:BYTE_3 src1_sel:DWORD
	v_lshlrev_b32_e32 v7, 2, v7
	v_cndmask_b32_e32 v6, 3, v6, vcc_lo
	v_and_b32_e32 v7, 0xfc, v7
	v_or_b32_e32 v23, v36, v6
	v_and_b32_e32 v6, 3, v6
	v_cmp_ne_u32_e32 vcc_lo, 0, v23
	v_or3_b32 v0, v0, v7, v6
	v_lshlrev_b32_e32 v0, 8, v0
	v_cndmask_b32_e32 v23, 0, v0, vcc_lo
.LBB6_9217:                             ;   in Loop: Header=BB6_7994 Depth=3
	s_or_b32 exec_lo, exec_lo, s72
.LBB6_9218:                             ;   in Loop: Header=BB6_7994 Depth=3
	s_or_b32 exec_lo, exec_lo, s23
	v_or_b32_e32 v6, v59, v73
	s_mov_b32 s23, 0
	v_cmp_gt_i16_sdwa s16, v6, v116 src0_sel:BYTE_0 src1_sel:DWORD
	s_and_saveexec_b32 s72, s16
	s_xor_b32 s16, exec_lo, s72
	s_cbranch_execz .LBB6_10368
; %bb.9219:                             ;   in Loop: Header=BB6_7994 Depth=3
	v_cmp_eq_u16_sdwa s73, v6, v117 src0_sel:BYTE_0 src1_sel:DWORD
	s_mov_b32 s23, -1
	s_and_saveexec_b32 s72, s73
; %bb.9220:                             ;   in Loop: Header=BB6_7994 Depth=3
	s_xor_b32 s23, exec_lo, -1
; %bb.9221:                             ;   in Loop: Header=BB6_7994 Depth=3
	s_or_b32 exec_lo, exec_lo, s72
	s_and_b32 s23, s23, exec_lo
	s_or_saveexec_b32 s16, s16
	v_mov_b32_e32 v0, 0x7f800001
	s_xor_b32 exec_lo, exec_lo, s16
	s_cbranch_execnz .LBB6_10369
.LBB6_9222:                             ;   in Loop: Header=BB6_7994 Depth=3
	s_or_b32 exec_lo, exec_lo, s16
	s_and_saveexec_b32 s16, s23
	s_cbranch_execz .LBB6_9224
.LBB6_9223:                             ;   in Loop: Header=BB6_7994 Depth=3
	v_and_b32_e32 v0, 3, v6
	v_bfe_u32 v7, v6, 2, 5
	v_ffbh_u32_e32 v36, v0
	v_cmp_eq_u32_e32 vcc_lo, 0, v7
	v_min_u32_e32 v36, 32, v36
	v_subrev_nc_u32_e32 v37, 29, v36
	v_sub_nc_u32_e32 v36, 30, v36
	v_lshlrev_b32_e32 v37, v37, v6
	v_cndmask_b32_e32 v7, v7, v36, vcc_lo
	v_lshlrev_b32_e32 v36, 24, v6
	v_and_b32_e32 v37, 3, v37
	v_lshl_add_u32 v7, v7, 23, 0x37800000
	v_and_b32_e32 v36, 0x80000000, v36
	v_cndmask_b32_e32 v0, v0, v37, vcc_lo
	v_lshlrev_b32_e32 v0, 21, v0
	v_or3_b32 v0, v36, v7, v0
.LBB6_9224:                             ;   in Loop: Header=BB6_7994 Depth=3
	s_or_b32 exec_lo, exec_lo, s16
	s_waitcnt vmcnt(2)
	v_cmp_gt_i16_sdwa s16, v16, v116 src0_sel:BYTE_0 src1_sel:DWORD
	s_mov_b32 s23, 0
	s_and_saveexec_b32 s72, s16
	s_xor_b32 s16, exec_lo, s72
	s_cbranch_execz .LBB6_10370
; %bb.9225:                             ;   in Loop: Header=BB6_7994 Depth=3
	v_cmp_eq_u16_sdwa s73, v16, v117 src0_sel:BYTE_0 src1_sel:DWORD
	s_mov_b32 s23, -1
	s_and_saveexec_b32 s72, s73
; %bb.9226:                             ;   in Loop: Header=BB6_7994 Depth=3
	s_xor_b32 s23, exec_lo, -1
; %bb.9227:                             ;   in Loop: Header=BB6_7994 Depth=3
	s_or_b32 exec_lo, exec_lo, s72
	s_and_b32 s23, s23, exec_lo
	s_or_saveexec_b32 s16, s16
	v_mov_b32_e32 v7, 0x7f800001
	s_xor_b32 exec_lo, exec_lo, s16
	s_cbranch_execnz .LBB6_10371
.LBB6_9228:                             ;   in Loop: Header=BB6_7994 Depth=3
	s_or_b32 exec_lo, exec_lo, s16
	s_and_saveexec_b32 s16, s23
	s_cbranch_execz .LBB6_9230
.LBB6_9229:                             ;   in Loop: Header=BB6_7994 Depth=3
	v_and_b32_e32 v7, 3, v16
	v_bfe_u32 v36, v16, 2, 5
	v_ffbh_u32_e32 v37, v7
	v_cmp_eq_u32_e32 vcc_lo, 0, v36
	v_min_u32_e32 v37, 32, v37
	v_subrev_nc_u32_e32 v101, 29, v37
	v_sub_nc_u32_e32 v37, 30, v37
	v_lshlrev_b32_e32 v101, v101, v16
	v_cndmask_b32_e32 v36, v36, v37, vcc_lo
	v_lshlrev_b32_e32 v37, 24, v16
	v_and_b32_e32 v101, 3, v101
	v_lshl_add_u32 v36, v36, 23, 0x37800000
	v_and_b32_e32 v37, 0x80000000, v37
	v_cndmask_b32_e32 v7, v7, v101, vcc_lo
	v_lshlrev_b32_e32 v7, 21, v7
	v_or3_b32 v7, v37, v36, v7
.LBB6_9230:                             ;   in Loop: Header=BB6_7994 Depth=3
	s_or_b32 exec_lo, exec_lo, s16
	v_add_f32_e32 v7, v0, v7
	v_and_b32_e32 v0, 0x7f800000, v7
	v_cmp_ne_u32_e32 vcc_lo, 0x7f800000, v0
	v_mov_b32_e32 v0, 0x80
	s_and_saveexec_b32 s23, vcc_lo
	s_cbranch_execz .LBB6_9238
; %bb.9231:                             ;   in Loop: Header=BB6_7994 Depth=3
	v_mov_b32_e32 v0, 0
	s_mov_b32 s72, exec_lo
	v_cmpx_ne_u32_e32 0, v7
	s_cbranch_execz .LBB6_9237
; %bb.9232:                             ;   in Loop: Header=BB6_7994 Depth=3
	v_bfe_u32 v36, v7, 23, 8
	v_and_b32_e32 v0, 0x7fffff, v7
	v_cmp_gt_u32_e64 s16, 0x71, v36
	v_sub_nc_u32_e32 v37, 0x70, v36
	v_cmp_eq_u32_e32 vcc_lo, 0, v36
	v_or_b32_e32 v101, 0x800000, v0
	v_cndmask_b32_e64 v37, 0, v37, s16
	v_cndmask_b32_e32 v0, v101, v0, vcc_lo
	v_cndmask_b32_e64 v37, v37, 0x6f, vcc_lo
	v_lshl_add_u32 v101, 0x200000, v37, -1
	v_lshlrev_b32_e64 v115, v37, 0x100000
	v_and_b32_e32 v101, v101, v0
	v_cmp_eq_u32_e64 s16, v101, v115
	v_lshrrev_b32_e32 v101, v37, v0
	v_add_nc_u32_e32 v0, 0xffffff91, v36
	v_lshrrev_b32_e32 v36, 23, v101
	v_cndmask_b32_e64 v0, v0, 0xffffff92, vcc_lo
	v_xor_b32_e32 v36, 1, v36
	v_add_nc_u32_e32 v0, v37, v0
	v_bfe_u32 v37, v101, 21, 1
	v_add_nc_u32_e32 v37, -1, v37
	v_cndmask_b32_e64 v37, 0, v37, s16
	s_mov_b32 s16, exec_lo
	v_add_nc_u32_e32 v37, v37, v101
	v_and_b32_e32 v37, 0x1fffff, v37
	v_add_nc_u32_e32 v37, v37, v101
                                        ; implicit-def: $vgpr101
	v_cmpx_ne_u32_e64 v0, v36
	s_xor_b32 s16, exec_lo, s16
; %bb.9233:                             ;   in Loop: Header=BB6_7994 Depth=3
	v_cmp_lt_u32_e32 vcc_lo, 0xffffff, v37
	v_sub_nc_u32_e32 v0, v0, v36
	v_cndmask_b32_e64 v36, 0, 1, vcc_lo
	v_add_co_ci_u32_e64 v101, null, 0, v0, vcc_lo
	v_lshrrev_b32_e32 v37, v36, v37
; %bb.9234:                             ;   in Loop: Header=BB6_7994 Depth=3
	s_andn2_saveexec_b32 s16, s16
; %bb.9235:                             ;   in Loop: Header=BB6_7994 Depth=3
	v_bfe_u32 v101, v37, 23, 1
; %bb.9236:                             ;   in Loop: Header=BB6_7994 Depth=3
	s_or_b32 exec_lo, exec_lo, s16
	v_and_b32_sdwa v0, v7, v117 dst_sel:DWORD dst_unused:UNUSED_PAD src0_sel:BYTE_3 src1_sel:DWORD
	v_lshrrev_b32_e32 v7, 21, v37
	v_min_i32_e32 v36, 31, v101
	v_cmp_gt_i32_e32 vcc_lo, 32, v101
	v_lshlrev_b32_e32 v36, 2, v36
	v_cndmask_b32_e32 v7, 3, v7, vcc_lo
	v_and_b32_e32 v36, 0xfc, v36
	v_or_b32_e32 v37, v101, v7
	v_and_b32_e32 v7, 3, v7
	v_cmp_ne_u32_e32 vcc_lo, 0, v37
	v_or3_b32 v0, v36, v0, v7
	v_cndmask_b32_e32 v0, 0, v0, vcc_lo
.LBB6_9237:                             ;   in Loop: Header=BB6_7994 Depth=3
	s_or_b32 exec_lo, exec_lo, s72
.LBB6_9238:                             ;   in Loop: Header=BB6_7994 Depth=3
	s_or_b32 exec_lo, exec_lo, s23
	v_cmp_gt_i16_sdwa s23, v6, v116 src0_sel:BYTE_1 src1_sel:DWORD
	s_mov_b32 s16, 0
	s_and_saveexec_b32 s72, s23
	s_xor_b32 s23, exec_lo, s72
	s_cbranch_execz .LBB6_10372
; %bb.9239:                             ;   in Loop: Header=BB6_7994 Depth=3
	v_cmp_eq_u16_sdwa s73, v6, v117 src0_sel:BYTE_1 src1_sel:DWORD
	s_mov_b32 s16, -1
	s_and_saveexec_b32 s72, s73
; %bb.9240:                             ;   in Loop: Header=BB6_7994 Depth=3
	s_xor_b32 s16, exec_lo, -1
; %bb.9241:                             ;   in Loop: Header=BB6_7994 Depth=3
	s_or_b32 exec_lo, exec_lo, s72
	s_and_b32 s16, s16, exec_lo
	s_or_saveexec_b32 s23, s23
	v_mov_b32_e32 v7, 0x7f800001
	s_xor_b32 exec_lo, exec_lo, s23
	s_cbranch_execnz .LBB6_10373
.LBB6_9242:                             ;   in Loop: Header=BB6_7994 Depth=3
	s_or_b32 exec_lo, exec_lo, s23
	s_and_saveexec_b32 s23, s16
	s_cbranch_execz .LBB6_9244
.LBB6_9243:                             ;   in Loop: Header=BB6_7994 Depth=3
	v_and_b32_sdwa v7, v118, v6 dst_sel:DWORD dst_unused:UNUSED_PAD src0_sel:DWORD src1_sel:BYTE_1
	v_and_b32_e32 v36, 3, v7
	v_bfe_u32 v115, v7, 2, 5
	v_ffbh_u32_e32 v37, v36
	v_cmp_eq_u32_e32 vcc_lo, 0, v115
	v_min_u32_e32 v37, 32, v37
	v_subrev_nc_u32_e32 v101, 29, v37
	v_sub_nc_u32_e32 v37, 30, v37
	v_lshlrev_b32_e32 v7, v101, v7
	v_lshlrev_b32_sdwa v101, v119, v6 dst_sel:DWORD dst_unused:UNUSED_PAD src0_sel:DWORD src1_sel:BYTE_1
	v_cndmask_b32_e32 v37, v115, v37, vcc_lo
	v_and_b32_e32 v7, 3, v7
	v_lshl_add_u32 v37, v37, 23, 0x37800000
	v_cndmask_b32_e32 v7, v36, v7, vcc_lo
	v_and_b32_e32 v36, 0x80000000, v101
	v_lshlrev_b32_e32 v7, 21, v7
	v_or3_b32 v7, v36, v37, v7
.LBB6_9244:                             ;   in Loop: Header=BB6_7994 Depth=3
	s_or_b32 exec_lo, exec_lo, s23
	v_cmp_gt_i16_sdwa s23, v16, v116 src0_sel:BYTE_1 src1_sel:DWORD
	s_mov_b32 s16, 0
	s_and_saveexec_b32 s72, s23
	s_xor_b32 s23, exec_lo, s72
	s_cbranch_execz .LBB6_10374
; %bb.9245:                             ;   in Loop: Header=BB6_7994 Depth=3
	v_cmp_eq_u16_sdwa s73, v16, v117 src0_sel:BYTE_1 src1_sel:DWORD
	s_mov_b32 s16, -1
	s_and_saveexec_b32 s72, s73
; %bb.9246:                             ;   in Loop: Header=BB6_7994 Depth=3
	s_xor_b32 s16, exec_lo, -1
; %bb.9247:                             ;   in Loop: Header=BB6_7994 Depth=3
	s_or_b32 exec_lo, exec_lo, s72
	s_and_b32 s16, s16, exec_lo
	s_or_saveexec_b32 s23, s23
	v_mov_b32_e32 v36, 0x7f800001
	s_xor_b32 exec_lo, exec_lo, s23
	s_cbranch_execnz .LBB6_10375
.LBB6_9248:                             ;   in Loop: Header=BB6_7994 Depth=3
	s_or_b32 exec_lo, exec_lo, s23
	s_and_saveexec_b32 s23, s16
	s_cbranch_execz .LBB6_9250
.LBB6_9249:                             ;   in Loop: Header=BB6_7994 Depth=3
	v_and_b32_sdwa v36, v118, v16 dst_sel:DWORD dst_unused:UNUSED_PAD src0_sel:DWORD src1_sel:BYTE_1
	v_and_b32_e32 v37, 3, v36
	v_bfe_u32 v42, v36, 2, 5
	v_ffbh_u32_e32 v101, v37
	v_cmp_eq_u32_e32 vcc_lo, 0, v42
	v_min_u32_e32 v101, 32, v101
	v_subrev_nc_u32_e32 v115, 29, v101
	v_sub_nc_u32_e32 v101, 30, v101
	v_lshlrev_b32_e32 v36, v115, v36
	v_lshlrev_b32_sdwa v115, v119, v16 dst_sel:DWORD dst_unused:UNUSED_PAD src0_sel:DWORD src1_sel:BYTE_1
	v_cndmask_b32_e32 v101, v42, v101, vcc_lo
	v_and_b32_e32 v36, 3, v36
	v_lshl_add_u32 v101, v101, 23, 0x37800000
	v_cndmask_b32_e32 v36, v37, v36, vcc_lo
	v_and_b32_e32 v37, 0x80000000, v115
	v_lshlrev_b32_e32 v36, 21, v36
	v_or3_b32 v36, v37, v101, v36
.LBB6_9250:                             ;   in Loop: Header=BB6_7994 Depth=3
	s_or_b32 exec_lo, exec_lo, s23
	v_add_f32_e32 v7, v7, v36
	v_mov_b32_e32 v56, 0x8000
	s_mov_b32 s23, exec_lo
	v_and_b32_e32 v36, 0x7f800000, v7
	v_cmpx_ne_u32_e32 0x7f800000, v36
	s_cbranch_execz .LBB6_9258
; %bb.9251:                             ;   in Loop: Header=BB6_7994 Depth=3
	v_mov_b32_e32 v56, 0
	s_mov_b32 s72, exec_lo
	v_cmpx_ne_u32_e32 0, v7
	s_cbranch_execz .LBB6_9257
; %bb.9252:                             ;   in Loop: Header=BB6_7994 Depth=3
	v_bfe_u32 v37, v7, 23, 8
	v_and_b32_e32 v36, 0x7fffff, v7
	v_cmp_gt_u32_e64 s16, 0x71, v37
	v_sub_nc_u32_e32 v101, 0x70, v37
	v_cmp_eq_u32_e32 vcc_lo, 0, v37
	v_or_b32_e32 v115, 0x800000, v36
	v_cndmask_b32_e64 v101, 0, v101, s16
	v_cndmask_b32_e32 v36, v115, v36, vcc_lo
	v_cndmask_b32_e64 v101, v101, 0x6f, vcc_lo
	v_lshl_add_u32 v115, 0x200000, v101, -1
	v_lshlrev_b32_e64 v42, v101, 0x100000
	v_and_b32_e32 v115, v115, v36
	v_cmp_eq_u32_e64 s16, v115, v42
	v_lshrrev_b32_e32 v115, v101, v36
	v_add_nc_u32_e32 v36, 0xffffff91, v37
	v_lshrrev_b32_e32 v37, 23, v115
	v_cndmask_b32_e64 v36, v36, 0xffffff92, vcc_lo
	v_xor_b32_e32 v37, 1, v37
	v_add_nc_u32_e32 v36, v101, v36
	v_bfe_u32 v101, v115, 21, 1
	v_add_nc_u32_e32 v101, -1, v101
	v_cndmask_b32_e64 v101, 0, v101, s16
	s_mov_b32 s16, exec_lo
	v_add_nc_u32_e32 v101, v101, v115
	v_and_b32_e32 v101, 0x1fffff, v101
	v_add_nc_u32_e32 v101, v101, v115
                                        ; implicit-def: $vgpr115
	v_cmpx_ne_u32_e64 v36, v37
	s_xor_b32 s16, exec_lo, s16
; %bb.9253:                             ;   in Loop: Header=BB6_7994 Depth=3
	v_cmp_lt_u32_e32 vcc_lo, 0xffffff, v101
	v_sub_nc_u32_e32 v36, v36, v37
	v_cndmask_b32_e64 v37, 0, 1, vcc_lo
	v_add_co_ci_u32_e64 v115, null, 0, v36, vcc_lo
	v_lshrrev_b32_e32 v101, v37, v101
; %bb.9254:                             ;   in Loop: Header=BB6_7994 Depth=3
	s_andn2_saveexec_b32 s16, s16
; %bb.9255:                             ;   in Loop: Header=BB6_7994 Depth=3
	v_bfe_u32 v115, v101, 23, 1
; %bb.9256:                             ;   in Loop: Header=BB6_7994 Depth=3
	s_or_b32 exec_lo, exec_lo, s16
	v_lshrrev_b32_e32 v36, 21, v101
	v_min_i32_e32 v37, 31, v115
	v_cmp_gt_i32_e32 vcc_lo, 32, v115
	v_and_b32_sdwa v7, v7, v117 dst_sel:DWORD dst_unused:UNUSED_PAD src0_sel:BYTE_3 src1_sel:DWORD
	v_lshlrev_b32_e32 v37, 2, v37
	v_cndmask_b32_e32 v36, 3, v36, vcc_lo
	v_and_b32_e32 v37, 0xfc, v37
	v_or_b32_e32 v101, v115, v36
	v_and_b32_e32 v36, 3, v36
	v_cmp_ne_u32_e32 vcc_lo, 0, v101
	v_or3_b32 v7, v7, v37, v36
	v_lshlrev_b32_e32 v7, 8, v7
	v_cndmask_b32_e32 v56, 0, v7, vcc_lo
.LBB6_9257:                             ;   in Loop: Header=BB6_7994 Depth=3
	s_or_b32 exec_lo, exec_lo, s72
.LBB6_9258:                             ;   in Loop: Header=BB6_7994 Depth=3
	s_or_b32 exec_lo, exec_lo, s23
	v_or_b32_e32 v36, v72, v61
	s_mov_b32 s23, 0
	v_cmp_gt_i16_sdwa s16, v36, v116 src0_sel:BYTE_0 src1_sel:DWORD
	s_and_saveexec_b32 s72, s16
	s_xor_b32 s16, exec_lo, s72
	s_cbranch_execz .LBB6_10376
; %bb.9259:                             ;   in Loop: Header=BB6_7994 Depth=3
	v_cmp_eq_u16_sdwa s73, v36, v117 src0_sel:BYTE_0 src1_sel:DWORD
	s_mov_b32 s23, -1
	s_and_saveexec_b32 s72, s73
; %bb.9260:                             ;   in Loop: Header=BB6_7994 Depth=3
	s_xor_b32 s23, exec_lo, -1
; %bb.9261:                             ;   in Loop: Header=BB6_7994 Depth=3
	s_or_b32 exec_lo, exec_lo, s72
	s_and_b32 s23, s23, exec_lo
	s_or_saveexec_b32 s16, s16
	v_mov_b32_e32 v7, 0x7f800001
	s_xor_b32 exec_lo, exec_lo, s16
	s_cbranch_execnz .LBB6_10377
.LBB6_9262:                             ;   in Loop: Header=BB6_7994 Depth=3
	s_or_b32 exec_lo, exec_lo, s16
	v_lshl_or_b32 v6, v36, 16, v6
	s_and_saveexec_b32 s16, s23
	s_cbranch_execz .LBB6_9264
.LBB6_9263:                             ;   in Loop: Header=BB6_7994 Depth=3
	v_bfe_u32 v7, v6, 16, 2
	v_bfe_u32 v36, v6, 18, 5
	v_ffbh_u32_e32 v37, v7
	v_cmp_eq_u32_e32 vcc_lo, 0, v36
	v_min_u32_e32 v37, 32, v37
	v_subrev_nc_u32_e32 v101, 29, v37
	v_sub_nc_u32_e32 v37, 30, v37
	v_lshlrev_b32_sdwa v101, v101, v6 dst_sel:DWORD dst_unused:UNUSED_PAD src0_sel:DWORD src1_sel:WORD_1
	v_cndmask_b32_e32 v36, v36, v37, vcc_lo
	v_lshlrev_b32_e32 v37, 8, v6
	v_and_b32_e32 v101, 3, v101
	v_lshl_add_u32 v36, v36, 23, 0x37800000
	v_and_b32_e32 v37, 0x80000000, v37
	v_cndmask_b32_e32 v7, v7, v101, vcc_lo
	v_lshlrev_b32_e32 v7, 21, v7
	v_or3_b32 v7, v37, v36, v7
.LBB6_9264:                             ;   in Loop: Header=BB6_7994 Depth=3
	s_or_b32 exec_lo, exec_lo, s16
	v_and_b32_sdwa v37, v16, v40 dst_sel:DWORD dst_unused:UNUSED_PAD src0_sel:WORD_1 src1_sel:DWORD
	s_mov_b32 s23, 0
	s_mov_b32 s16, exec_lo
	v_cmpx_lt_i16_e32 0x7f, v37
	s_xor_b32 s16, exec_lo, s16
	s_cbranch_execz .LBB6_10378
; %bb.9265:                             ;   in Loop: Header=BB6_7994 Depth=3
	s_mov_b32 s23, -1
	s_mov_b32 s72, exec_lo
	v_cmpx_eq_u16_e32 0x80, v37
; %bb.9266:                             ;   in Loop: Header=BB6_7994 Depth=3
	s_xor_b32 s23, exec_lo, -1
; %bb.9267:                             ;   in Loop: Header=BB6_7994 Depth=3
	s_or_b32 exec_lo, exec_lo, s72
	s_and_b32 s23, s23, exec_lo
                                        ; implicit-def: $vgpr37
	s_or_saveexec_b32 s16, s16
	v_mov_b32_e32 v36, 0x7f800001
	s_xor_b32 exec_lo, exec_lo, s16
	s_cbranch_execnz .LBB6_10379
.LBB6_9268:                             ;   in Loop: Header=BB6_7994 Depth=3
	s_or_b32 exec_lo, exec_lo, s16
	s_and_saveexec_b32 s16, s23
	s_cbranch_execz .LBB6_9270
.LBB6_9269:                             ;   in Loop: Header=BB6_7994 Depth=3
	v_bfe_u32 v36, v16, 16, 2
	v_bfe_u32 v37, v16, 18, 5
	v_ffbh_u32_e32 v101, v36
	v_cmp_eq_u32_e32 vcc_lo, 0, v37
	v_min_u32_e32 v101, 32, v101
	v_subrev_nc_u32_e32 v115, 29, v101
	v_sub_nc_u32_e32 v101, 30, v101
	v_lshlrev_b32_sdwa v115, v115, v16 dst_sel:DWORD dst_unused:UNUSED_PAD src0_sel:DWORD src1_sel:WORD_1
	v_cndmask_b32_e32 v37, v37, v101, vcc_lo
	v_lshlrev_b32_e32 v101, 8, v16
	v_and_b32_e32 v115, 3, v115
	v_lshl_add_u32 v37, v37, 23, 0x37800000
	v_and_b32_e32 v101, 0x80000000, v101
	v_cndmask_b32_e32 v36, v36, v115, vcc_lo
	v_lshlrev_b32_e32 v36, 21, v36
	v_or3_b32 v36, v101, v37, v36
.LBB6_9270:                             ;   in Loop: Header=BB6_7994 Depth=3
	s_or_b32 exec_lo, exec_lo, s16
	v_add_f32_e32 v7, v7, v36
	v_mov_b32_e32 v59, 0x80
	s_mov_b32 s23, exec_lo
	v_and_b32_e32 v36, 0x7f800000, v7
	v_cmpx_ne_u32_e32 0x7f800000, v36
	s_cbranch_execz .LBB6_9278
; %bb.9271:                             ;   in Loop: Header=BB6_7994 Depth=3
	v_mov_b32_e32 v59, 0
	s_mov_b32 s72, exec_lo
	v_cmpx_ne_u32_e32 0, v7
	s_cbranch_execz .LBB6_9277
; %bb.9272:                             ;   in Loop: Header=BB6_7994 Depth=3
	v_bfe_u32 v37, v7, 23, 8
	v_and_b32_e32 v36, 0x7fffff, v7
	v_cmp_gt_u32_e64 s16, 0x71, v37
	v_sub_nc_u32_e32 v101, 0x70, v37
	v_cmp_eq_u32_e32 vcc_lo, 0, v37
	v_or_b32_e32 v115, 0x800000, v36
	v_cndmask_b32_e64 v101, 0, v101, s16
	v_cndmask_b32_e32 v36, v115, v36, vcc_lo
	v_cndmask_b32_e64 v101, v101, 0x6f, vcc_lo
	v_lshl_add_u32 v115, 0x200000, v101, -1
	v_lshlrev_b32_e64 v42, v101, 0x100000
	v_and_b32_e32 v115, v115, v36
	v_cmp_eq_u32_e64 s16, v115, v42
	v_lshrrev_b32_e32 v115, v101, v36
	v_add_nc_u32_e32 v36, 0xffffff91, v37
	v_lshrrev_b32_e32 v37, 23, v115
	v_cndmask_b32_e64 v36, v36, 0xffffff92, vcc_lo
	v_xor_b32_e32 v37, 1, v37
	v_add_nc_u32_e32 v36, v101, v36
	v_bfe_u32 v101, v115, 21, 1
	v_add_nc_u32_e32 v101, -1, v101
	v_cndmask_b32_e64 v101, 0, v101, s16
	s_mov_b32 s16, exec_lo
	v_add_nc_u32_e32 v101, v101, v115
	v_and_b32_e32 v101, 0x1fffff, v101
	v_add_nc_u32_e32 v101, v101, v115
                                        ; implicit-def: $vgpr115
	v_cmpx_ne_u32_e64 v36, v37
	s_xor_b32 s16, exec_lo, s16
; %bb.9273:                             ;   in Loop: Header=BB6_7994 Depth=3
	v_cmp_lt_u32_e32 vcc_lo, 0xffffff, v101
	v_sub_nc_u32_e32 v36, v36, v37
	v_cndmask_b32_e64 v37, 0, 1, vcc_lo
	v_add_co_ci_u32_e64 v115, null, 0, v36, vcc_lo
	v_lshrrev_b32_e32 v101, v37, v101
; %bb.9274:                             ;   in Loop: Header=BB6_7994 Depth=3
	s_andn2_saveexec_b32 s16, s16
; %bb.9275:                             ;   in Loop: Header=BB6_7994 Depth=3
	v_bfe_u32 v115, v101, 23, 1
; %bb.9276:                             ;   in Loop: Header=BB6_7994 Depth=3
	s_or_b32 exec_lo, exec_lo, s16
	v_lshrrev_b32_e32 v36, 21, v101
	v_min_i32_e32 v37, 31, v115
	v_cmp_gt_i32_e32 vcc_lo, 32, v115
	v_and_b32_sdwa v7, v7, v117 dst_sel:DWORD dst_unused:UNUSED_PAD src0_sel:BYTE_3 src1_sel:DWORD
	v_lshlrev_b32_e32 v37, 2, v37
	v_cndmask_b32_e32 v36, 3, v36, vcc_lo
	v_and_b32_e32 v37, 0xfc, v37
	v_or_b32_e32 v101, v115, v36
	v_and_b32_e32 v36, 3, v36
	v_cmp_ne_u32_e32 vcc_lo, 0, v101
	v_or3_b32 v7, v37, v7, v36
	v_cndmask_b32_e32 v59, 0, v7, vcc_lo
.LBB6_9277:                             ;   in Loop: Header=BB6_7994 Depth=3
	s_or_b32 exec_lo, exec_lo, s72
.LBB6_9278:                             ;   in Loop: Header=BB6_7994 Depth=3
	s_or_b32 exec_lo, exec_lo, s23
	v_cmp_gt_i16_sdwa s23, v6, v116 src0_sel:BYTE_3 src1_sel:DWORD
	s_mov_b32 s16, 0
	s_and_saveexec_b32 s72, s23
	s_xor_b32 s23, exec_lo, s72
	s_cbranch_execz .LBB6_10380
; %bb.9279:                             ;   in Loop: Header=BB6_7994 Depth=3
	v_cmp_eq_u16_sdwa s73, v6, v117 src0_sel:BYTE_3 src1_sel:DWORD
	s_mov_b32 s16, -1
	s_and_saveexec_b32 s72, s73
; %bb.9280:                             ;   in Loop: Header=BB6_7994 Depth=3
	s_xor_b32 s16, exec_lo, -1
; %bb.9281:                             ;   in Loop: Header=BB6_7994 Depth=3
	s_or_b32 exec_lo, exec_lo, s72
	s_and_b32 s16, s16, exec_lo
	s_or_saveexec_b32 s23, s23
	v_mov_b32_e32 v7, 0x7f800001
	s_xor_b32 exec_lo, exec_lo, s23
	s_cbranch_execnz .LBB6_10381
.LBB6_9282:                             ;   in Loop: Header=BB6_7994 Depth=3
	s_or_b32 exec_lo, exec_lo, s23
	s_and_saveexec_b32 s23, s16
	s_cbranch_execz .LBB6_9284
.LBB6_9283:                             ;   in Loop: Header=BB6_7994 Depth=3
	v_bfe_u32 v7, v6, 24, 2
	v_bfe_u32 v101, v6, 26, 5
	v_ffbh_u32_e32 v36, v7
	v_cmp_eq_u32_e32 vcc_lo, 0, v101
	v_min_u32_e32 v36, 32, v36
	v_subrev_nc_u32_e32 v37, 29, v36
	v_sub_nc_u32_e32 v36, 30, v36
	v_lshlrev_b32_sdwa v37, v37, v6 dst_sel:DWORD dst_unused:UNUSED_PAD src0_sel:DWORD src1_sel:BYTE_3
	v_cndmask_b32_e32 v36, v101, v36, vcc_lo
	v_and_b32_e32 v6, 0x80000000, v6
	v_and_b32_e32 v37, 3, v37
	v_lshl_add_u32 v36, v36, 23, 0x37800000
	v_cndmask_b32_e32 v7, v7, v37, vcc_lo
	v_lshlrev_b32_e32 v7, 21, v7
	v_or3_b32 v7, v6, v36, v7
.LBB6_9284:                             ;   in Loop: Header=BB6_7994 Depth=3
	s_or_b32 exec_lo, exec_lo, s23
	v_cmp_gt_i16_sdwa s23, v16, v116 src0_sel:BYTE_3 src1_sel:DWORD
	s_mov_b32 s16, 0
	s_and_saveexec_b32 s72, s23
	s_xor_b32 s23, exec_lo, s72
	s_cbranch_execz .LBB6_10382
; %bb.9285:                             ;   in Loop: Header=BB6_7994 Depth=3
	v_cmp_eq_u16_sdwa s73, v16, v117 src0_sel:BYTE_3 src1_sel:DWORD
	s_mov_b32 s16, -1
	s_and_saveexec_b32 s72, s73
; %bb.9286:                             ;   in Loop: Header=BB6_7994 Depth=3
	s_xor_b32 s16, exec_lo, -1
; %bb.9287:                             ;   in Loop: Header=BB6_7994 Depth=3
	s_or_b32 exec_lo, exec_lo, s72
	s_and_b32 s16, s16, exec_lo
	s_or_saveexec_b32 s23, s23
	v_mov_b32_e32 v6, 0x7f800001
	s_xor_b32 exec_lo, exec_lo, s23
	s_cbranch_execnz .LBB6_10383
.LBB6_9288:                             ;   in Loop: Header=BB6_7994 Depth=3
	s_or_b32 exec_lo, exec_lo, s23
	s_and_saveexec_b32 s23, s16
	s_cbranch_execz .LBB6_9290
.LBB6_9289:                             ;   in Loop: Header=BB6_7994 Depth=3
	v_bfe_u32 v6, v16, 24, 2
	v_bfe_u32 v101, v16, 26, 5
	v_ffbh_u32_e32 v36, v6
	v_cmp_eq_u32_e32 vcc_lo, 0, v101
	v_min_u32_e32 v36, 32, v36
	v_subrev_nc_u32_e32 v37, 29, v36
	v_sub_nc_u32_e32 v36, 30, v36
	v_lshlrev_b32_sdwa v37, v37, v16 dst_sel:DWORD dst_unused:UNUSED_PAD src0_sel:DWORD src1_sel:BYTE_3
	v_cndmask_b32_e32 v36, v101, v36, vcc_lo
	v_and_b32_e32 v16, 0x80000000, v16
	v_and_b32_e32 v37, 3, v37
	v_lshl_add_u32 v36, v36, 23, 0x37800000
	v_cndmask_b32_e32 v6, v6, v37, vcc_lo
	v_lshlrev_b32_e32 v6, 21, v6
	v_or3_b32 v6, v16, v36, v6
.LBB6_9290:                             ;   in Loop: Header=BB6_7994 Depth=3
	s_or_b32 exec_lo, exec_lo, s23
	v_add_f32_e32 v6, v7, v6
	v_mov_b32_e32 v16, 0x8000
	s_mov_b32 s23, exec_lo
	v_and_b32_e32 v7, 0x7f800000, v6
	v_cmpx_ne_u32_e32 0x7f800000, v7
	s_cbranch_execz .LBB6_9298
; %bb.9291:                             ;   in Loop: Header=BB6_7994 Depth=3
	v_mov_b32_e32 v16, 0
	s_mov_b32 s72, exec_lo
	v_cmpx_ne_u32_e32 0, v6
	s_cbranch_execz .LBB6_9297
; %bb.9292:                             ;   in Loop: Header=BB6_7994 Depth=3
	v_bfe_u32 v16, v6, 23, 8
	v_and_b32_e32 v7, 0x7fffff, v6
	v_cmp_gt_u32_e64 s16, 0x71, v16
	v_sub_nc_u32_e32 v36, 0x70, v16
	v_cmp_eq_u32_e32 vcc_lo, 0, v16
	v_or_b32_e32 v37, 0x800000, v7
	v_cndmask_b32_e64 v36, 0, v36, s16
	v_cndmask_b32_e32 v7, v37, v7, vcc_lo
	v_cndmask_b32_e64 v36, v36, 0x6f, vcc_lo
	v_lshl_add_u32 v37, 0x200000, v36, -1
	v_lshlrev_b32_e64 v101, v36, 0x100000
	v_and_b32_e32 v37, v37, v7
	v_cmp_eq_u32_e64 s16, v37, v101
	v_lshrrev_b32_e32 v37, v36, v7
	v_add_nc_u32_e32 v7, 0xffffff91, v16
	v_lshrrev_b32_e32 v16, 23, v37
	v_cndmask_b32_e64 v7, v7, 0xffffff92, vcc_lo
	v_xor_b32_e32 v16, 1, v16
	v_add_nc_u32_e32 v7, v36, v7
	v_bfe_u32 v36, v37, 21, 1
	v_add_nc_u32_e32 v36, -1, v36
	v_cndmask_b32_e64 v36, 0, v36, s16
	s_mov_b32 s16, exec_lo
	v_add_nc_u32_e32 v36, v36, v37
	v_and_b32_e32 v36, 0x1fffff, v36
	v_add_nc_u32_e32 v36, v36, v37
                                        ; implicit-def: $vgpr37
	v_cmpx_ne_u32_e64 v7, v16
	s_xor_b32 s16, exec_lo, s16
; %bb.9293:                             ;   in Loop: Header=BB6_7994 Depth=3
	v_cmp_lt_u32_e32 vcc_lo, 0xffffff, v36
	v_sub_nc_u32_e32 v7, v7, v16
	v_cndmask_b32_e64 v16, 0, 1, vcc_lo
	v_add_co_ci_u32_e64 v37, null, 0, v7, vcc_lo
	v_lshrrev_b32_e32 v36, v16, v36
; %bb.9294:                             ;   in Loop: Header=BB6_7994 Depth=3
	s_andn2_saveexec_b32 s16, s16
; %bb.9295:                             ;   in Loop: Header=BB6_7994 Depth=3
	v_bfe_u32 v37, v36, 23, 1
; %bb.9296:                             ;   in Loop: Header=BB6_7994 Depth=3
	s_or_b32 exec_lo, exec_lo, s16
	v_lshrrev_b32_e32 v7, 21, v36
	v_min_i32_e32 v16, 31, v37
	v_cmp_gt_i32_e32 vcc_lo, 32, v37
	v_and_b32_sdwa v6, v6, v117 dst_sel:DWORD dst_unused:UNUSED_PAD src0_sel:BYTE_3 src1_sel:DWORD
	v_lshlrev_b32_e32 v16, 2, v16
	v_cndmask_b32_e32 v7, 3, v7, vcc_lo
	v_and_b32_e32 v16, 0xfc, v16
	v_or_b32_e32 v36, v37, v7
	v_and_b32_e32 v7, 3, v7
	v_cmp_ne_u32_e32 vcc_lo, 0, v36
	v_or3_b32 v6, v6, v16, v7
	v_lshlrev_b32_e32 v6, 8, v6
	v_cndmask_b32_e32 v16, 0, v6, vcc_lo
.LBB6_9297:                             ;   in Loop: Header=BB6_7994 Depth=3
	s_or_b32 exec_lo, exec_lo, s72
.LBB6_9298:                             ;   in Loop: Header=BB6_7994 Depth=3
	s_or_b32 exec_lo, exec_lo, s23
	v_or_b32_e32 v6, v75, v55
	s_mov_b32 s23, 0
	v_cmp_gt_i16_sdwa s16, v6, v116 src0_sel:BYTE_0 src1_sel:DWORD
	s_and_saveexec_b32 s72, s16
	s_xor_b32 s16, exec_lo, s72
	s_cbranch_execz .LBB6_10384
; %bb.9299:                             ;   in Loop: Header=BB6_7994 Depth=3
	v_cmp_eq_u16_sdwa s73, v6, v117 src0_sel:BYTE_0 src1_sel:DWORD
	s_mov_b32 s23, -1
	s_and_saveexec_b32 s72, s73
; %bb.9300:                             ;   in Loop: Header=BB6_7994 Depth=3
	s_xor_b32 s23, exec_lo, -1
; %bb.9301:                             ;   in Loop: Header=BB6_7994 Depth=3
	s_or_b32 exec_lo, exec_lo, s72
	s_and_b32 s23, s23, exec_lo
	s_or_saveexec_b32 s16, s16
	v_mov_b32_e32 v7, 0x7f800001
	s_xor_b32 exec_lo, exec_lo, s16
	s_cbranch_execnz .LBB6_10385
.LBB6_9302:                             ;   in Loop: Header=BB6_7994 Depth=3
	s_or_b32 exec_lo, exec_lo, s16
	s_and_saveexec_b32 s16, s23
	s_cbranch_execz .LBB6_9304
.LBB6_9303:                             ;   in Loop: Header=BB6_7994 Depth=3
	v_and_b32_e32 v7, 3, v6
	v_bfe_u32 v36, v6, 2, 5
	v_ffbh_u32_e32 v37, v7
	v_cmp_eq_u32_e32 vcc_lo, 0, v36
	v_min_u32_e32 v37, 32, v37
	v_subrev_nc_u32_e32 v55, 29, v37
	v_sub_nc_u32_e32 v37, 30, v37
	v_lshlrev_b32_e32 v55, v55, v6
	v_cndmask_b32_e32 v36, v36, v37, vcc_lo
	v_lshlrev_b32_e32 v37, 24, v6
	v_and_b32_e32 v55, 3, v55
	v_lshl_add_u32 v36, v36, 23, 0x37800000
	v_and_b32_e32 v37, 0x80000000, v37
	v_cndmask_b32_e32 v7, v7, v55, vcc_lo
	v_lshlrev_b32_e32 v7, 21, v7
	v_or3_b32 v7, v37, v36, v7
.LBB6_9304:                             ;   in Loop: Header=BB6_7994 Depth=3
	s_or_b32 exec_lo, exec_lo, s16
	v_cmp_gt_i16_sdwa s16, v17, v116 src0_sel:BYTE_0 src1_sel:DWORD
	s_mov_b32 s23, 0
	s_and_saveexec_b32 s72, s16
	s_xor_b32 s16, exec_lo, s72
	s_cbranch_execz .LBB6_10386
; %bb.9305:                             ;   in Loop: Header=BB6_7994 Depth=3
	v_cmp_eq_u16_sdwa s73, v17, v117 src0_sel:BYTE_0 src1_sel:DWORD
	s_mov_b32 s23, -1
	s_and_saveexec_b32 s72, s73
; %bb.9306:                             ;   in Loop: Header=BB6_7994 Depth=3
	s_xor_b32 s23, exec_lo, -1
; %bb.9307:                             ;   in Loop: Header=BB6_7994 Depth=3
	s_or_b32 exec_lo, exec_lo, s72
	s_and_b32 s23, s23, exec_lo
	s_or_saveexec_b32 s16, s16
	v_mov_b32_e32 v36, 0x7f800001
	s_xor_b32 exec_lo, exec_lo, s16
	s_cbranch_execnz .LBB6_10387
.LBB6_9308:                             ;   in Loop: Header=BB6_7994 Depth=3
	s_or_b32 exec_lo, exec_lo, s16
	s_and_saveexec_b32 s16, s23
	s_cbranch_execz .LBB6_9310
.LBB6_9309:                             ;   in Loop: Header=BB6_7994 Depth=3
	v_and_b32_e32 v36, 3, v17
	v_bfe_u32 v37, v17, 2, 5
	v_ffbh_u32_e32 v55, v36
	v_cmp_eq_u32_e32 vcc_lo, 0, v37
	v_min_u32_e32 v55, 32, v55
	v_subrev_nc_u32_e32 v101, 29, v55
	v_sub_nc_u32_e32 v55, 30, v55
	v_lshlrev_b32_e32 v101, v101, v17
	v_cndmask_b32_e32 v37, v37, v55, vcc_lo
	v_lshlrev_b32_e32 v55, 24, v17
	v_and_b32_e32 v101, 3, v101
	v_lshl_add_u32 v37, v37, 23, 0x37800000
	v_and_b32_e32 v55, 0x80000000, v55
	v_cndmask_b32_e32 v36, v36, v101, vcc_lo
	v_lshlrev_b32_e32 v36, 21, v36
	v_or3_b32 v36, v55, v37, v36
.LBB6_9310:                             ;   in Loop: Header=BB6_7994 Depth=3
	s_or_b32 exec_lo, exec_lo, s16
	v_add_f32_e32 v7, v7, v36
	v_mov_b32_e32 v55, 0x80
	s_mov_b32 s23, exec_lo
	v_and_b32_e32 v36, 0x7f800000, v7
	v_cmpx_ne_u32_e32 0x7f800000, v36
	s_cbranch_execz .LBB6_9318
; %bb.9311:                             ;   in Loop: Header=BB6_7994 Depth=3
	v_mov_b32_e32 v55, 0
	s_mov_b32 s72, exec_lo
	v_cmpx_ne_u32_e32 0, v7
	s_cbranch_execz .LBB6_9317
; %bb.9312:                             ;   in Loop: Header=BB6_7994 Depth=3
	v_bfe_u32 v37, v7, 23, 8
	v_and_b32_e32 v36, 0x7fffff, v7
	v_cmp_gt_u32_e64 s16, 0x71, v37
	v_sub_nc_u32_e32 v55, 0x70, v37
	v_cmp_eq_u32_e32 vcc_lo, 0, v37
	v_or_b32_e32 v101, 0x800000, v36
	v_cndmask_b32_e64 v55, 0, v55, s16
	v_cndmask_b32_e32 v36, v101, v36, vcc_lo
	v_cndmask_b32_e64 v55, v55, 0x6f, vcc_lo
	v_lshl_add_u32 v101, 0x200000, v55, -1
	v_lshlrev_b32_e64 v115, v55, 0x100000
	v_and_b32_e32 v101, v101, v36
	v_cmp_eq_u32_e64 s16, v101, v115
	v_lshrrev_b32_e32 v101, v55, v36
	v_add_nc_u32_e32 v36, 0xffffff91, v37
	v_lshrrev_b32_e32 v37, 23, v101
	v_cndmask_b32_e64 v36, v36, 0xffffff92, vcc_lo
	v_xor_b32_e32 v37, 1, v37
	v_add_nc_u32_e32 v36, v55, v36
	v_bfe_u32 v55, v101, 21, 1
	v_add_nc_u32_e32 v55, -1, v55
	v_cndmask_b32_e64 v55, 0, v55, s16
	s_mov_b32 s16, exec_lo
	v_add_nc_u32_e32 v55, v55, v101
	v_and_b32_e32 v55, 0x1fffff, v55
	v_add_nc_u32_e32 v55, v55, v101
                                        ; implicit-def: $vgpr101
	v_cmpx_ne_u32_e64 v36, v37
	s_xor_b32 s16, exec_lo, s16
; %bb.9313:                             ;   in Loop: Header=BB6_7994 Depth=3
	v_cmp_lt_u32_e32 vcc_lo, 0xffffff, v55
	v_sub_nc_u32_e32 v36, v36, v37
	v_cndmask_b32_e64 v37, 0, 1, vcc_lo
	v_add_co_ci_u32_e64 v101, null, 0, v36, vcc_lo
	v_lshrrev_b32_e32 v55, v37, v55
; %bb.9314:                             ;   in Loop: Header=BB6_7994 Depth=3
	s_andn2_saveexec_b32 s16, s16
; %bb.9315:                             ;   in Loop: Header=BB6_7994 Depth=3
	v_bfe_u32 v101, v55, 23, 1
; %bb.9316:                             ;   in Loop: Header=BB6_7994 Depth=3
	s_or_b32 exec_lo, exec_lo, s16
	v_lshrrev_b32_e32 v36, 21, v55
	v_min_i32_e32 v37, 31, v101
	v_cmp_gt_i32_e32 vcc_lo, 32, v101
	v_and_b32_sdwa v7, v7, v117 dst_sel:DWORD dst_unused:UNUSED_PAD src0_sel:BYTE_3 src1_sel:DWORD
	v_lshlrev_b32_e32 v37, 2, v37
	v_cndmask_b32_e32 v36, 3, v36, vcc_lo
	v_and_b32_e32 v37, 0xfc, v37
	v_or_b32_e32 v55, v101, v36
	v_and_b32_e32 v36, 3, v36
	v_cmp_ne_u32_e32 vcc_lo, 0, v55
	v_or3_b32 v7, v37, v7, v36
	v_cndmask_b32_e32 v55, 0, v7, vcc_lo
.LBB6_9317:                             ;   in Loop: Header=BB6_7994 Depth=3
	s_or_b32 exec_lo, exec_lo, s72
.LBB6_9318:                             ;   in Loop: Header=BB6_7994 Depth=3
	s_or_b32 exec_lo, exec_lo, s23
	v_cmp_gt_i16_sdwa s23, v6, v116 src0_sel:BYTE_1 src1_sel:DWORD
	s_mov_b32 s16, 0
	s_and_saveexec_b32 s72, s23
	s_xor_b32 s23, exec_lo, s72
	s_cbranch_execz .LBB6_10388
; %bb.9319:                             ;   in Loop: Header=BB6_7994 Depth=3
	v_cmp_eq_u16_sdwa s73, v6, v117 src0_sel:BYTE_1 src1_sel:DWORD
	s_mov_b32 s16, -1
	s_and_saveexec_b32 s72, s73
; %bb.9320:                             ;   in Loop: Header=BB6_7994 Depth=3
	s_xor_b32 s16, exec_lo, -1
; %bb.9321:                             ;   in Loop: Header=BB6_7994 Depth=3
	s_or_b32 exec_lo, exec_lo, s72
	s_and_b32 s16, s16, exec_lo
	s_or_saveexec_b32 s23, s23
	v_mov_b32_e32 v7, 0x7f800001
	s_xor_b32 exec_lo, exec_lo, s23
	s_cbranch_execnz .LBB6_10389
.LBB6_9322:                             ;   in Loop: Header=BB6_7994 Depth=3
	s_or_b32 exec_lo, exec_lo, s23
	s_and_saveexec_b32 s23, s16
	s_cbranch_execz .LBB6_9324
.LBB6_9323:                             ;   in Loop: Header=BB6_7994 Depth=3
	v_and_b32_sdwa v7, v118, v6 dst_sel:DWORD dst_unused:UNUSED_PAD src0_sel:DWORD src1_sel:BYTE_1
	v_and_b32_e32 v36, 3, v7
	v_bfe_u32 v115, v7, 2, 5
	v_ffbh_u32_e32 v37, v36
	v_cmp_eq_u32_e32 vcc_lo, 0, v115
	v_min_u32_e32 v37, 32, v37
	v_subrev_nc_u32_e32 v101, 29, v37
	v_sub_nc_u32_e32 v37, 30, v37
	v_lshlrev_b32_e32 v7, v101, v7
	v_lshlrev_b32_sdwa v101, v119, v6 dst_sel:DWORD dst_unused:UNUSED_PAD src0_sel:DWORD src1_sel:BYTE_1
	v_cndmask_b32_e32 v37, v115, v37, vcc_lo
	v_and_b32_e32 v7, 3, v7
	v_lshl_add_u32 v37, v37, 23, 0x37800000
	v_cndmask_b32_e32 v7, v36, v7, vcc_lo
	v_and_b32_e32 v36, 0x80000000, v101
	v_lshlrev_b32_e32 v7, 21, v7
	v_or3_b32 v7, v36, v37, v7
.LBB6_9324:                             ;   in Loop: Header=BB6_7994 Depth=3
	s_or_b32 exec_lo, exec_lo, s23
	v_cmp_gt_i16_sdwa s23, v17, v116 src0_sel:BYTE_1 src1_sel:DWORD
	s_mov_b32 s16, 0
	s_and_saveexec_b32 s72, s23
	s_xor_b32 s23, exec_lo, s72
	s_cbranch_execz .LBB6_10390
; %bb.9325:                             ;   in Loop: Header=BB6_7994 Depth=3
	v_cmp_eq_u16_sdwa s73, v17, v117 src0_sel:BYTE_1 src1_sel:DWORD
	s_mov_b32 s16, -1
	s_and_saveexec_b32 s72, s73
; %bb.9326:                             ;   in Loop: Header=BB6_7994 Depth=3
	s_xor_b32 s16, exec_lo, -1
; %bb.9327:                             ;   in Loop: Header=BB6_7994 Depth=3
	s_or_b32 exec_lo, exec_lo, s72
	s_and_b32 s16, s16, exec_lo
	s_or_saveexec_b32 s23, s23
	v_mov_b32_e32 v36, 0x7f800001
	s_xor_b32 exec_lo, exec_lo, s23
	s_cbranch_execnz .LBB6_10391
.LBB6_9328:                             ;   in Loop: Header=BB6_7994 Depth=3
	s_or_b32 exec_lo, exec_lo, s23
	s_and_saveexec_b32 s23, s16
	s_cbranch_execz .LBB6_9330
.LBB6_9329:                             ;   in Loop: Header=BB6_7994 Depth=3
	v_and_b32_sdwa v36, v118, v17 dst_sel:DWORD dst_unused:UNUSED_PAD src0_sel:DWORD src1_sel:BYTE_1
	v_and_b32_e32 v37, 3, v36
	v_bfe_u32 v42, v36, 2, 5
	v_ffbh_u32_e32 v101, v37
	v_cmp_eq_u32_e32 vcc_lo, 0, v42
	v_min_u32_e32 v101, 32, v101
	v_subrev_nc_u32_e32 v115, 29, v101
	v_sub_nc_u32_e32 v101, 30, v101
	v_lshlrev_b32_e32 v36, v115, v36
	v_lshlrev_b32_sdwa v115, v119, v17 dst_sel:DWORD dst_unused:UNUSED_PAD src0_sel:DWORD src1_sel:BYTE_1
	v_cndmask_b32_e32 v101, v42, v101, vcc_lo
	v_and_b32_e32 v36, 3, v36
	v_lshl_add_u32 v101, v101, 23, 0x37800000
	v_cndmask_b32_e32 v36, v37, v36, vcc_lo
	v_and_b32_e32 v37, 0x80000000, v115
	v_lshlrev_b32_e32 v36, 21, v36
	v_or3_b32 v36, v37, v101, v36
.LBB6_9330:                             ;   in Loop: Header=BB6_7994 Depth=3
	s_or_b32 exec_lo, exec_lo, s23
	v_add_f32_e32 v7, v7, v36
	v_mov_b32_e32 v115, 0x8000
	s_mov_b32 s23, exec_lo
	v_and_b32_e32 v36, 0x7f800000, v7
	v_cmpx_ne_u32_e32 0x7f800000, v36
	s_cbranch_execz .LBB6_9338
; %bb.9331:                             ;   in Loop: Header=BB6_7994 Depth=3
	v_mov_b32_e32 v115, 0
	s_mov_b32 s72, exec_lo
	v_cmpx_ne_u32_e32 0, v7
	s_cbranch_execz .LBB6_9337
; %bb.9332:                             ;   in Loop: Header=BB6_7994 Depth=3
	v_bfe_u32 v37, v7, 23, 8
	v_and_b32_e32 v36, 0x7fffff, v7
	v_cmp_gt_u32_e64 s16, 0x71, v37
	v_sub_nc_u32_e32 v101, 0x70, v37
	v_cmp_eq_u32_e32 vcc_lo, 0, v37
	v_or_b32_e32 v115, 0x800000, v36
	v_cndmask_b32_e64 v101, 0, v101, s16
	v_cndmask_b32_e32 v36, v115, v36, vcc_lo
	v_cndmask_b32_e64 v101, v101, 0x6f, vcc_lo
	v_lshl_add_u32 v115, 0x200000, v101, -1
	v_lshlrev_b32_e64 v42, v101, 0x100000
	v_and_b32_e32 v115, v115, v36
	v_cmp_eq_u32_e64 s16, v115, v42
	v_lshrrev_b32_e32 v115, v101, v36
	v_add_nc_u32_e32 v36, 0xffffff91, v37
	v_lshrrev_b32_e32 v37, 23, v115
	v_cndmask_b32_e64 v36, v36, 0xffffff92, vcc_lo
	v_xor_b32_e32 v37, 1, v37
	v_add_nc_u32_e32 v36, v101, v36
	v_bfe_u32 v101, v115, 21, 1
	v_add_nc_u32_e32 v101, -1, v101
	v_cndmask_b32_e64 v101, 0, v101, s16
	s_mov_b32 s16, exec_lo
	v_add_nc_u32_e32 v101, v101, v115
	v_and_b32_e32 v101, 0x1fffff, v101
	v_add_nc_u32_e32 v101, v101, v115
                                        ; implicit-def: $vgpr115
	v_cmpx_ne_u32_e64 v36, v37
	s_xor_b32 s16, exec_lo, s16
; %bb.9333:                             ;   in Loop: Header=BB6_7994 Depth=3
	v_cmp_lt_u32_e32 vcc_lo, 0xffffff, v101
	v_sub_nc_u32_e32 v36, v36, v37
	v_cndmask_b32_e64 v37, 0, 1, vcc_lo
	v_add_co_ci_u32_e64 v115, null, 0, v36, vcc_lo
	v_lshrrev_b32_e32 v101, v37, v101
; %bb.9334:                             ;   in Loop: Header=BB6_7994 Depth=3
	s_andn2_saveexec_b32 s16, s16
; %bb.9335:                             ;   in Loop: Header=BB6_7994 Depth=3
	v_bfe_u32 v115, v101, 23, 1
; %bb.9336:                             ;   in Loop: Header=BB6_7994 Depth=3
	s_or_b32 exec_lo, exec_lo, s16
	v_lshrrev_b32_e32 v36, 21, v101
	v_min_i32_e32 v37, 31, v115
	v_cmp_gt_i32_e32 vcc_lo, 32, v115
	v_and_b32_sdwa v7, v7, v117 dst_sel:DWORD dst_unused:UNUSED_PAD src0_sel:BYTE_3 src1_sel:DWORD
	v_lshlrev_b32_e32 v37, 2, v37
	v_cndmask_b32_e32 v36, 3, v36, vcc_lo
	v_and_b32_e32 v37, 0xfc, v37
	v_or_b32_e32 v101, v115, v36
	v_and_b32_e32 v36, 3, v36
	v_cmp_ne_u32_e32 vcc_lo, 0, v101
	v_or3_b32 v7, v7, v37, v36
	v_lshlrev_b32_e32 v7, 8, v7
	v_cndmask_b32_e32 v115, 0, v7, vcc_lo
.LBB6_9337:                             ;   in Loop: Header=BB6_7994 Depth=3
	s_or_b32 exec_lo, exec_lo, s72
.LBB6_9338:                             ;   in Loop: Header=BB6_7994 Depth=3
	s_or_b32 exec_lo, exec_lo, s23
	v_or_b32_e32 v36, v74, v41
	s_mov_b32 s23, 0
	v_cmp_gt_i16_sdwa s16, v36, v116 src0_sel:BYTE_0 src1_sel:DWORD
	s_and_saveexec_b32 s72, s16
	s_xor_b32 s16, exec_lo, s72
	s_cbranch_execz .LBB6_10392
; %bb.9339:                             ;   in Loop: Header=BB6_7994 Depth=3
	v_cmp_eq_u16_sdwa s73, v36, v117 src0_sel:BYTE_0 src1_sel:DWORD
	s_mov_b32 s23, -1
	s_and_saveexec_b32 s72, s73
; %bb.9340:                             ;   in Loop: Header=BB6_7994 Depth=3
	s_xor_b32 s23, exec_lo, -1
; %bb.9341:                             ;   in Loop: Header=BB6_7994 Depth=3
	s_or_b32 exec_lo, exec_lo, s72
	s_and_b32 s23, s23, exec_lo
	s_or_saveexec_b32 s16, s16
	v_mov_b32_e32 v7, 0x7f800001
	s_xor_b32 exec_lo, exec_lo, s16
	s_cbranch_execnz .LBB6_10393
.LBB6_9342:                             ;   in Loop: Header=BB6_7994 Depth=3
	s_or_b32 exec_lo, exec_lo, s16
	v_lshl_or_b32 v6, v36, 16, v6
	s_and_saveexec_b32 s16, s23
	s_cbranch_execz .LBB6_9344
.LBB6_9343:                             ;   in Loop: Header=BB6_7994 Depth=3
	v_bfe_u32 v7, v6, 16, 2
	v_bfe_u32 v36, v6, 18, 5
	v_ffbh_u32_e32 v37, v7
	v_cmp_eq_u32_e32 vcc_lo, 0, v36
	v_min_u32_e32 v37, 32, v37
	v_subrev_nc_u32_e32 v101, 29, v37
	v_sub_nc_u32_e32 v37, 30, v37
	v_lshlrev_b32_sdwa v101, v101, v6 dst_sel:DWORD dst_unused:UNUSED_PAD src0_sel:DWORD src1_sel:WORD_1
	v_cndmask_b32_e32 v36, v36, v37, vcc_lo
	v_lshlrev_b32_e32 v37, 8, v6
	v_and_b32_e32 v101, 3, v101
	v_lshl_add_u32 v36, v36, 23, 0x37800000
	v_and_b32_e32 v37, 0x80000000, v37
	v_cndmask_b32_e32 v7, v7, v101, vcc_lo
	v_lshlrev_b32_e32 v7, 21, v7
	v_or3_b32 v7, v37, v36, v7
.LBB6_9344:                             ;   in Loop: Header=BB6_7994 Depth=3
	s_or_b32 exec_lo, exec_lo, s16
	v_and_b32_sdwa v37, v17, v40 dst_sel:DWORD dst_unused:UNUSED_PAD src0_sel:WORD_1 src1_sel:DWORD
	s_mov_b32 s23, 0
	s_mov_b32 s16, exec_lo
	v_cmpx_lt_i16_e32 0x7f, v37
	s_xor_b32 s16, exec_lo, s16
	s_cbranch_execz .LBB6_10394
; %bb.9345:                             ;   in Loop: Header=BB6_7994 Depth=3
	s_mov_b32 s23, -1
	s_mov_b32 s72, exec_lo
	v_cmpx_eq_u16_e32 0x80, v37
; %bb.9346:                             ;   in Loop: Header=BB6_7994 Depth=3
	s_xor_b32 s23, exec_lo, -1
; %bb.9347:                             ;   in Loop: Header=BB6_7994 Depth=3
	s_or_b32 exec_lo, exec_lo, s72
	s_and_b32 s23, s23, exec_lo
                                        ; implicit-def: $vgpr37
	s_or_saveexec_b32 s16, s16
	v_mov_b32_e32 v36, 0x7f800001
	s_xor_b32 exec_lo, exec_lo, s16
	s_cbranch_execnz .LBB6_10395
.LBB6_9348:                             ;   in Loop: Header=BB6_7994 Depth=3
	s_or_b32 exec_lo, exec_lo, s16
	s_and_saveexec_b32 s16, s23
	s_cbranch_execz .LBB6_9350
.LBB6_9349:                             ;   in Loop: Header=BB6_7994 Depth=3
	v_bfe_u32 v36, v17, 16, 2
	v_bfe_u32 v37, v17, 18, 5
	v_ffbh_u32_e32 v101, v36
	v_cmp_eq_u32_e32 vcc_lo, 0, v37
	v_min_u32_e32 v101, 32, v101
	v_subrev_nc_u32_e32 v41, 29, v101
	v_sub_nc_u32_e32 v101, 30, v101
	v_lshlrev_b32_sdwa v41, v41, v17 dst_sel:DWORD dst_unused:UNUSED_PAD src0_sel:DWORD src1_sel:WORD_1
	v_cndmask_b32_e32 v37, v37, v101, vcc_lo
	v_lshlrev_b32_e32 v101, 8, v17
	v_and_b32_e32 v41, 3, v41
	v_lshl_add_u32 v37, v37, 23, 0x37800000
	v_and_b32_e32 v101, 0x80000000, v101
	v_cndmask_b32_e32 v36, v36, v41, vcc_lo
	v_lshlrev_b32_e32 v36, 21, v36
	v_or3_b32 v36, v101, v37, v36
.LBB6_9350:                             ;   in Loop: Header=BB6_7994 Depth=3
	s_or_b32 exec_lo, exec_lo, s16
	v_add_f32_e32 v7, v7, v36
	v_mov_b32_e32 v41, 0x80
	s_mov_b32 s23, exec_lo
	v_and_b32_e32 v36, 0x7f800000, v7
	v_cmpx_ne_u32_e32 0x7f800000, v36
	s_cbranch_execz .LBB6_9358
; %bb.9351:                             ;   in Loop: Header=BB6_7994 Depth=3
	v_mov_b32_e32 v41, 0
	s_mov_b32 s72, exec_lo
	v_cmpx_ne_u32_e32 0, v7
	s_cbranch_execz .LBB6_9357
; %bb.9352:                             ;   in Loop: Header=BB6_7994 Depth=3
	v_bfe_u32 v37, v7, 23, 8
	v_and_b32_e32 v36, 0x7fffff, v7
	v_cmp_gt_u32_e64 s16, 0x71, v37
	v_sub_nc_u32_e32 v101, 0x70, v37
	v_cmp_eq_u32_e32 vcc_lo, 0, v37
	v_or_b32_e32 v41, 0x800000, v36
	v_cndmask_b32_e64 v101, 0, v101, s16
	v_cndmask_b32_e32 v36, v41, v36, vcc_lo
	v_cndmask_b32_e64 v101, v101, 0x6f, vcc_lo
	v_lshl_add_u32 v41, 0x200000, v101, -1
	v_lshlrev_b32_e64 v42, v101, 0x100000
	v_and_b32_e32 v41, v41, v36
	v_cmp_eq_u32_e64 s16, v41, v42
	v_lshrrev_b32_e32 v41, v101, v36
	v_add_nc_u32_e32 v36, 0xffffff91, v37
	v_lshrrev_b32_e32 v37, 23, v41
	v_cndmask_b32_e64 v36, v36, 0xffffff92, vcc_lo
	v_xor_b32_e32 v37, 1, v37
	v_add_nc_u32_e32 v36, v101, v36
	v_bfe_u32 v101, v41, 21, 1
	v_add_nc_u32_e32 v101, -1, v101
	v_cndmask_b32_e64 v101, 0, v101, s16
	s_mov_b32 s16, exec_lo
	v_add_nc_u32_e32 v101, v101, v41
	v_and_b32_e32 v101, 0x1fffff, v101
	v_add_nc_u32_e32 v101, v101, v41
                                        ; implicit-def: $vgpr41
	v_cmpx_ne_u32_e64 v36, v37
	s_xor_b32 s16, exec_lo, s16
; %bb.9353:                             ;   in Loop: Header=BB6_7994 Depth=3
	v_cmp_lt_u32_e32 vcc_lo, 0xffffff, v101
	v_sub_nc_u32_e32 v36, v36, v37
	v_cndmask_b32_e64 v37, 0, 1, vcc_lo
	v_add_co_ci_u32_e64 v41, null, 0, v36, vcc_lo
	v_lshrrev_b32_e32 v101, v37, v101
; %bb.9354:                             ;   in Loop: Header=BB6_7994 Depth=3
	s_andn2_saveexec_b32 s16, s16
; %bb.9355:                             ;   in Loop: Header=BB6_7994 Depth=3
	v_bfe_u32 v41, v101, 23, 1
; %bb.9356:                             ;   in Loop: Header=BB6_7994 Depth=3
	s_or_b32 exec_lo, exec_lo, s16
	v_lshrrev_b32_e32 v36, 21, v101
	v_min_i32_e32 v37, 31, v41
	v_cmp_gt_i32_e32 vcc_lo, 32, v41
	v_and_b32_sdwa v7, v7, v117 dst_sel:DWORD dst_unused:UNUSED_PAD src0_sel:BYTE_3 src1_sel:DWORD
	v_lshlrev_b32_e32 v37, 2, v37
	v_cndmask_b32_e32 v36, 3, v36, vcc_lo
	v_and_b32_e32 v37, 0xfc, v37
	v_or_b32_e32 v101, v41, v36
	v_and_b32_e32 v36, 3, v36
	v_cmp_ne_u32_e32 vcc_lo, 0, v101
	v_or3_b32 v7, v37, v7, v36
	v_cndmask_b32_e32 v41, 0, v7, vcc_lo
.LBB6_9357:                             ;   in Loop: Header=BB6_7994 Depth=3
	s_or_b32 exec_lo, exec_lo, s72
.LBB6_9358:                             ;   in Loop: Header=BB6_7994 Depth=3
	s_or_b32 exec_lo, exec_lo, s23
	v_cmp_gt_i16_sdwa s23, v6, v116 src0_sel:BYTE_3 src1_sel:DWORD
	s_mov_b32 s16, 0
	s_and_saveexec_b32 s72, s23
	s_xor_b32 s23, exec_lo, s72
	s_cbranch_execz .LBB6_10396
; %bb.9359:                             ;   in Loop: Header=BB6_7994 Depth=3
	v_cmp_eq_u16_sdwa s73, v6, v117 src0_sel:BYTE_3 src1_sel:DWORD
	s_mov_b32 s16, -1
	s_and_saveexec_b32 s72, s73
; %bb.9360:                             ;   in Loop: Header=BB6_7994 Depth=3
	s_xor_b32 s16, exec_lo, -1
; %bb.9361:                             ;   in Loop: Header=BB6_7994 Depth=3
	s_or_b32 exec_lo, exec_lo, s72
	s_and_b32 s16, s16, exec_lo
	s_or_saveexec_b32 s23, s23
	v_mov_b32_e32 v7, 0x7f800001
	s_xor_b32 exec_lo, exec_lo, s23
	s_cbranch_execnz .LBB6_10397
.LBB6_9362:                             ;   in Loop: Header=BB6_7994 Depth=3
	s_or_b32 exec_lo, exec_lo, s23
	s_and_saveexec_b32 s23, s16
	s_cbranch_execz .LBB6_9364
.LBB6_9363:                             ;   in Loop: Header=BB6_7994 Depth=3
	v_bfe_u32 v7, v6, 24, 2
	v_bfe_u32 v101, v6, 26, 5
	v_ffbh_u32_e32 v36, v7
	v_cmp_eq_u32_e32 vcc_lo, 0, v101
	v_min_u32_e32 v36, 32, v36
	v_subrev_nc_u32_e32 v37, 29, v36
	v_sub_nc_u32_e32 v36, 30, v36
	v_lshlrev_b32_sdwa v37, v37, v6 dst_sel:DWORD dst_unused:UNUSED_PAD src0_sel:DWORD src1_sel:BYTE_3
	v_cndmask_b32_e32 v36, v101, v36, vcc_lo
	v_and_b32_e32 v6, 0x80000000, v6
	v_and_b32_e32 v37, 3, v37
	v_lshl_add_u32 v36, v36, 23, 0x37800000
	v_cndmask_b32_e32 v7, v7, v37, vcc_lo
	v_lshlrev_b32_e32 v7, 21, v7
	v_or3_b32 v7, v6, v36, v7
.LBB6_9364:                             ;   in Loop: Header=BB6_7994 Depth=3
	s_or_b32 exec_lo, exec_lo, s23
	v_cmp_gt_i16_sdwa s23, v17, v116 src0_sel:BYTE_3 src1_sel:DWORD
	s_mov_b32 s16, 0
	s_and_saveexec_b32 s72, s23
	s_xor_b32 s23, exec_lo, s72
	s_cbranch_execz .LBB6_10398
; %bb.9365:                             ;   in Loop: Header=BB6_7994 Depth=3
	v_cmp_eq_u16_sdwa s73, v17, v117 src0_sel:BYTE_3 src1_sel:DWORD
	s_mov_b32 s16, -1
	s_and_saveexec_b32 s72, s73
; %bb.9366:                             ;   in Loop: Header=BB6_7994 Depth=3
	s_xor_b32 s16, exec_lo, -1
; %bb.9367:                             ;   in Loop: Header=BB6_7994 Depth=3
	s_or_b32 exec_lo, exec_lo, s72
	s_and_b32 s16, s16, exec_lo
	s_or_saveexec_b32 s23, s23
	v_mov_b32_e32 v6, 0x7f800001
	s_xor_b32 exec_lo, exec_lo, s23
	s_cbranch_execnz .LBB6_10399
.LBB6_9368:                             ;   in Loop: Header=BB6_7994 Depth=3
	s_or_b32 exec_lo, exec_lo, s23
	s_and_saveexec_b32 s23, s16
	s_cbranch_execz .LBB6_9370
.LBB6_9369:                             ;   in Loop: Header=BB6_7994 Depth=3
	v_bfe_u32 v6, v17, 24, 2
	v_bfe_u32 v101, v17, 26, 5
	v_ffbh_u32_e32 v36, v6
	v_cmp_eq_u32_e32 vcc_lo, 0, v101
	v_min_u32_e32 v36, 32, v36
	v_subrev_nc_u32_e32 v37, 29, v36
	v_sub_nc_u32_e32 v36, 30, v36
	v_lshlrev_b32_sdwa v37, v37, v17 dst_sel:DWORD dst_unused:UNUSED_PAD src0_sel:DWORD src1_sel:BYTE_3
	v_cndmask_b32_e32 v36, v101, v36, vcc_lo
	v_and_b32_e32 v17, 0x80000000, v17
	v_and_b32_e32 v37, 3, v37
	v_lshl_add_u32 v36, v36, 23, 0x37800000
	v_cndmask_b32_e32 v6, v6, v37, vcc_lo
	v_lshlrev_b32_e32 v6, 21, v6
	v_or3_b32 v6, v17, v36, v6
.LBB6_9370:                             ;   in Loop: Header=BB6_7994 Depth=3
	s_or_b32 exec_lo, exec_lo, s23
	v_add_f32_e32 v6, v7, v6
	v_mov_b32_e32 v17, 0x8000
	s_mov_b32 s23, exec_lo
	v_and_b32_e32 v7, 0x7f800000, v6
	v_cmpx_ne_u32_e32 0x7f800000, v7
	s_cbranch_execz .LBB6_9378
; %bb.9371:                             ;   in Loop: Header=BB6_7994 Depth=3
	v_mov_b32_e32 v17, 0
	s_mov_b32 s72, exec_lo
	v_cmpx_ne_u32_e32 0, v6
	s_cbranch_execz .LBB6_9377
; %bb.9372:                             ;   in Loop: Header=BB6_7994 Depth=3
	v_bfe_u32 v17, v6, 23, 8
	v_and_b32_e32 v7, 0x7fffff, v6
	v_cmp_gt_u32_e64 s16, 0x71, v17
	v_sub_nc_u32_e32 v36, 0x70, v17
	v_cmp_eq_u32_e32 vcc_lo, 0, v17
	v_or_b32_e32 v37, 0x800000, v7
	v_cndmask_b32_e64 v36, 0, v36, s16
	v_cndmask_b32_e32 v7, v37, v7, vcc_lo
	v_cndmask_b32_e64 v36, v36, 0x6f, vcc_lo
	v_lshl_add_u32 v37, 0x200000, v36, -1
	v_lshlrev_b32_e64 v101, v36, 0x100000
	v_and_b32_e32 v37, v37, v7
	v_cmp_eq_u32_e64 s16, v37, v101
	v_lshrrev_b32_e32 v37, v36, v7
	v_add_nc_u32_e32 v7, 0xffffff91, v17
	v_lshrrev_b32_e32 v17, 23, v37
	v_cndmask_b32_e64 v7, v7, 0xffffff92, vcc_lo
	v_xor_b32_e32 v17, 1, v17
	v_add_nc_u32_e32 v7, v36, v7
	v_bfe_u32 v36, v37, 21, 1
	v_add_nc_u32_e32 v36, -1, v36
	v_cndmask_b32_e64 v36, 0, v36, s16
	s_mov_b32 s16, exec_lo
	v_add_nc_u32_e32 v36, v36, v37
	v_and_b32_e32 v36, 0x1fffff, v36
	v_add_nc_u32_e32 v36, v36, v37
                                        ; implicit-def: $vgpr37
	v_cmpx_ne_u32_e64 v7, v17
	s_xor_b32 s16, exec_lo, s16
; %bb.9373:                             ;   in Loop: Header=BB6_7994 Depth=3
	v_cmp_lt_u32_e32 vcc_lo, 0xffffff, v36
	v_sub_nc_u32_e32 v7, v7, v17
	v_cndmask_b32_e64 v17, 0, 1, vcc_lo
	v_add_co_ci_u32_e64 v37, null, 0, v7, vcc_lo
	v_lshrrev_b32_e32 v36, v17, v36
; %bb.9374:                             ;   in Loop: Header=BB6_7994 Depth=3
	s_andn2_saveexec_b32 s16, s16
; %bb.9375:                             ;   in Loop: Header=BB6_7994 Depth=3
	v_bfe_u32 v37, v36, 23, 1
; %bb.9376:                             ;   in Loop: Header=BB6_7994 Depth=3
	s_or_b32 exec_lo, exec_lo, s16
	v_lshrrev_b32_e32 v7, 21, v36
	v_min_i32_e32 v17, 31, v37
	v_cmp_gt_i32_e32 vcc_lo, 32, v37
	v_and_b32_sdwa v6, v6, v117 dst_sel:DWORD dst_unused:UNUSED_PAD src0_sel:BYTE_3 src1_sel:DWORD
	v_lshlrev_b32_e32 v17, 2, v17
	v_cndmask_b32_e32 v7, 3, v7, vcc_lo
	v_and_b32_e32 v17, 0xfc, v17
	v_or_b32_e32 v36, v37, v7
	v_and_b32_e32 v7, 3, v7
	v_cmp_ne_u32_e32 vcc_lo, 0, v36
	v_or3_b32 v6, v6, v17, v7
	v_lshlrev_b32_e32 v6, 8, v6
	v_cndmask_b32_e32 v17, 0, v6, vcc_lo
.LBB6_9377:                             ;   in Loop: Header=BB6_7994 Depth=3
	s_or_b32 exec_lo, exec_lo, s72
.LBB6_9378:                             ;   in Loop: Header=BB6_7994 Depth=3
	s_or_b32 exec_lo, exec_lo, s23
	v_or_b32_e32 v6, v43, v57
	s_mov_b32 s23, 0
	v_cmp_gt_i16_sdwa s16, v6, v116 src0_sel:BYTE_0 src1_sel:DWORD
	s_and_saveexec_b32 s72, s16
	s_xor_b32 s16, exec_lo, s72
	s_cbranch_execz .LBB6_10400
; %bb.9379:                             ;   in Loop: Header=BB6_7994 Depth=3
	v_cmp_eq_u16_sdwa s73, v6, v117 src0_sel:BYTE_0 src1_sel:DWORD
	s_mov_b32 s23, -1
	s_and_saveexec_b32 s72, s73
; %bb.9380:                             ;   in Loop: Header=BB6_7994 Depth=3
	s_xor_b32 s23, exec_lo, -1
; %bb.9381:                             ;   in Loop: Header=BB6_7994 Depth=3
	s_or_b32 exec_lo, exec_lo, s72
	s_and_b32 s23, s23, exec_lo
	s_or_saveexec_b32 s16, s16
	v_mov_b32_e32 v7, 0x7f800001
	s_xor_b32 exec_lo, exec_lo, s16
	s_cbranch_execnz .LBB6_10401
.LBB6_9382:                             ;   in Loop: Header=BB6_7994 Depth=3
	s_or_b32 exec_lo, exec_lo, s16
	s_and_saveexec_b32 s16, s23
	s_cbranch_execz .LBB6_9384
.LBB6_9383:                             ;   in Loop: Header=BB6_7994 Depth=3
	v_and_b32_e32 v7, 3, v6
	v_bfe_u32 v36, v6, 2, 5
	v_ffbh_u32_e32 v37, v7
	v_cmp_eq_u32_e32 vcc_lo, 0, v36
	v_min_u32_e32 v37, 32, v37
	v_subrev_nc_u32_e32 v101, 29, v37
	v_sub_nc_u32_e32 v37, 30, v37
	v_lshlrev_b32_e32 v101, v101, v6
	v_cndmask_b32_e32 v36, v36, v37, vcc_lo
	v_lshlrev_b32_e32 v37, 24, v6
	v_and_b32_e32 v101, 3, v101
	v_lshl_add_u32 v36, v36, 23, 0x37800000
	v_and_b32_e32 v37, 0x80000000, v37
	v_cndmask_b32_e32 v7, v7, v101, vcc_lo
	v_lshlrev_b32_e32 v7, 21, v7
	v_or3_b32 v7, v37, v36, v7
.LBB6_9384:                             ;   in Loop: Header=BB6_7994 Depth=3
	s_or_b32 exec_lo, exec_lo, s16
	v_cmp_gt_i16_sdwa s16, v18, v116 src0_sel:BYTE_0 src1_sel:DWORD
	s_mov_b32 s23, 0
	s_and_saveexec_b32 s72, s16
	s_xor_b32 s16, exec_lo, s72
	s_cbranch_execz .LBB6_10402
; %bb.9385:                             ;   in Loop: Header=BB6_7994 Depth=3
	v_cmp_eq_u16_sdwa s73, v18, v117 src0_sel:BYTE_0 src1_sel:DWORD
	s_mov_b32 s23, -1
	s_and_saveexec_b32 s72, s73
; %bb.9386:                             ;   in Loop: Header=BB6_7994 Depth=3
	s_xor_b32 s23, exec_lo, -1
; %bb.9387:                             ;   in Loop: Header=BB6_7994 Depth=3
	s_or_b32 exec_lo, exec_lo, s72
	s_and_b32 s23, s23, exec_lo
	s_or_saveexec_b32 s16, s16
	v_mov_b32_e32 v36, 0x7f800001
	s_xor_b32 exec_lo, exec_lo, s16
	s_cbranch_execnz .LBB6_10403
.LBB6_9388:                             ;   in Loop: Header=BB6_7994 Depth=3
	s_or_b32 exec_lo, exec_lo, s16
	s_and_saveexec_b32 s16, s23
	s_cbranch_execz .LBB6_9390
.LBB6_9389:                             ;   in Loop: Header=BB6_7994 Depth=3
	v_and_b32_e32 v36, 3, v18
	v_bfe_u32 v37, v18, 2, 5
	v_ffbh_u32_e32 v101, v36
	v_cmp_eq_u32_e32 vcc_lo, 0, v37
	v_min_u32_e32 v101, 32, v101
	v_subrev_nc_u32_e32 v42, 29, v101
	v_sub_nc_u32_e32 v101, 30, v101
	v_lshlrev_b32_e32 v42, v42, v18
	v_cndmask_b32_e32 v37, v37, v101, vcc_lo
	v_lshlrev_b32_e32 v101, 24, v18
	v_and_b32_e32 v42, 3, v42
	v_lshl_add_u32 v37, v37, 23, 0x37800000
	v_and_b32_e32 v101, 0x80000000, v101
	v_cndmask_b32_e32 v36, v36, v42, vcc_lo
	v_lshlrev_b32_e32 v36, 21, v36
	v_or3_b32 v36, v101, v37, v36
.LBB6_9390:                             ;   in Loop: Header=BB6_7994 Depth=3
	s_or_b32 exec_lo, exec_lo, s16
	v_add_f32_e32 v7, v7, v36
	v_mov_b32_e32 v43, 0x80
	s_mov_b32 s23, exec_lo
	v_and_b32_e32 v36, 0x7f800000, v7
	v_cmpx_ne_u32_e32 0x7f800000, v36
	s_cbranch_execz .LBB6_9398
; %bb.9391:                             ;   in Loop: Header=BB6_7994 Depth=3
	v_mov_b32_e32 v43, 0
	s_mov_b32 s72, exec_lo
	v_cmpx_ne_u32_e32 0, v7
	s_cbranch_execz .LBB6_9397
; %bb.9392:                             ;   in Loop: Header=BB6_7994 Depth=3
	v_bfe_u32 v37, v7, 23, 8
	v_and_b32_e32 v36, 0x7fffff, v7
	v_cmp_gt_u32_e64 s16, 0x71, v37
	v_sub_nc_u32_e32 v101, 0x70, v37
	v_cmp_eq_u32_e32 vcc_lo, 0, v37
	v_or_b32_e32 v42, 0x800000, v36
	v_cndmask_b32_e64 v101, 0, v101, s16
	v_cndmask_b32_e32 v36, v42, v36, vcc_lo
	v_cndmask_b32_e64 v101, v101, 0x6f, vcc_lo
	v_lshl_add_u32 v42, 0x200000, v101, -1
	v_lshlrev_b32_e64 v43, v101, 0x100000
	v_and_b32_e32 v42, v42, v36
	v_cmp_eq_u32_e64 s16, v42, v43
	v_lshrrev_b32_e32 v42, v101, v36
	v_add_nc_u32_e32 v36, 0xffffff91, v37
	v_lshrrev_b32_e32 v37, 23, v42
	v_cndmask_b32_e64 v36, v36, 0xffffff92, vcc_lo
	v_xor_b32_e32 v37, 1, v37
	v_add_nc_u32_e32 v36, v101, v36
	v_bfe_u32 v101, v42, 21, 1
	v_add_nc_u32_e32 v101, -1, v101
	v_cndmask_b32_e64 v101, 0, v101, s16
	s_mov_b32 s16, exec_lo
	v_add_nc_u32_e32 v101, v101, v42
	v_and_b32_e32 v101, 0x1fffff, v101
	v_add_nc_u32_e32 v101, v101, v42
                                        ; implicit-def: $vgpr42
	v_cmpx_ne_u32_e64 v36, v37
	s_xor_b32 s16, exec_lo, s16
; %bb.9393:                             ;   in Loop: Header=BB6_7994 Depth=3
	v_cmp_lt_u32_e32 vcc_lo, 0xffffff, v101
	v_sub_nc_u32_e32 v36, v36, v37
	v_cndmask_b32_e64 v37, 0, 1, vcc_lo
	v_add_co_ci_u32_e64 v42, null, 0, v36, vcc_lo
	v_lshrrev_b32_e32 v101, v37, v101
; %bb.9394:                             ;   in Loop: Header=BB6_7994 Depth=3
	s_andn2_saveexec_b32 s16, s16
; %bb.9395:                             ;   in Loop: Header=BB6_7994 Depth=3
	v_bfe_u32 v42, v101, 23, 1
; %bb.9396:                             ;   in Loop: Header=BB6_7994 Depth=3
	s_or_b32 exec_lo, exec_lo, s16
	v_lshrrev_b32_e32 v36, 21, v101
	v_min_i32_e32 v37, 31, v42
	v_cmp_gt_i32_e32 vcc_lo, 32, v42
	v_and_b32_sdwa v7, v7, v117 dst_sel:DWORD dst_unused:UNUSED_PAD src0_sel:BYTE_3 src1_sel:DWORD
	v_lshlrev_b32_e32 v37, 2, v37
	v_cndmask_b32_e32 v36, 3, v36, vcc_lo
	v_and_b32_e32 v37, 0xfc, v37
	v_or_b32_e32 v101, v42, v36
	v_and_b32_e32 v36, 3, v36
	v_cmp_ne_u32_e32 vcc_lo, 0, v101
	v_or3_b32 v7, v37, v7, v36
	v_cndmask_b32_e32 v43, 0, v7, vcc_lo
.LBB6_9397:                             ;   in Loop: Header=BB6_7994 Depth=3
	s_or_b32 exec_lo, exec_lo, s72
.LBB6_9398:                             ;   in Loop: Header=BB6_7994 Depth=3
	s_or_b32 exec_lo, exec_lo, s23
	v_cmp_gt_i16_sdwa s23, v6, v116 src0_sel:BYTE_1 src1_sel:DWORD
	s_mov_b32 s16, 0
	s_and_saveexec_b32 s72, s23
	s_xor_b32 s23, exec_lo, s72
	s_cbranch_execz .LBB6_10404
; %bb.9399:                             ;   in Loop: Header=BB6_7994 Depth=3
	v_cmp_eq_u16_sdwa s73, v6, v117 src0_sel:BYTE_1 src1_sel:DWORD
	s_mov_b32 s16, -1
	s_and_saveexec_b32 s72, s73
; %bb.9400:                             ;   in Loop: Header=BB6_7994 Depth=3
	s_xor_b32 s16, exec_lo, -1
; %bb.9401:                             ;   in Loop: Header=BB6_7994 Depth=3
	s_or_b32 exec_lo, exec_lo, s72
	s_and_b32 s16, s16, exec_lo
	s_or_saveexec_b32 s23, s23
	v_mov_b32_e32 v7, 0x7f800001
	s_xor_b32 exec_lo, exec_lo, s23
	s_cbranch_execnz .LBB6_10405
.LBB6_9402:                             ;   in Loop: Header=BB6_7994 Depth=3
	s_or_b32 exec_lo, exec_lo, s23
	s_and_saveexec_b32 s23, s16
	s_cbranch_execz .LBB6_9404
.LBB6_9403:                             ;   in Loop: Header=BB6_7994 Depth=3
	v_and_b32_sdwa v7, v118, v6 dst_sel:DWORD dst_unused:UNUSED_PAD src0_sel:DWORD src1_sel:BYTE_1
	v_and_b32_e32 v36, 3, v7
	v_bfe_u32 v42, v7, 2, 5
	v_ffbh_u32_e32 v37, v36
	v_cmp_eq_u32_e32 vcc_lo, 0, v42
	v_min_u32_e32 v37, 32, v37
	v_subrev_nc_u32_e32 v101, 29, v37
	v_sub_nc_u32_e32 v37, 30, v37
	v_lshlrev_b32_e32 v7, v101, v7
	v_lshlrev_b32_sdwa v101, v119, v6 dst_sel:DWORD dst_unused:UNUSED_PAD src0_sel:DWORD src1_sel:BYTE_1
	v_cndmask_b32_e32 v37, v42, v37, vcc_lo
	v_and_b32_e32 v7, 3, v7
	v_lshl_add_u32 v37, v37, 23, 0x37800000
	v_cndmask_b32_e32 v7, v36, v7, vcc_lo
	v_and_b32_e32 v36, 0x80000000, v101
	v_lshlrev_b32_e32 v7, 21, v7
	v_or3_b32 v7, v36, v37, v7
.LBB6_9404:                             ;   in Loop: Header=BB6_7994 Depth=3
	s_or_b32 exec_lo, exec_lo, s23
	v_cmp_gt_i16_sdwa s23, v18, v116 src0_sel:BYTE_1 src1_sel:DWORD
	s_mov_b32 s16, 0
	s_and_saveexec_b32 s72, s23
	s_xor_b32 s23, exec_lo, s72
	s_cbranch_execz .LBB6_10406
; %bb.9405:                             ;   in Loop: Header=BB6_7994 Depth=3
	v_cmp_eq_u16_sdwa s73, v18, v117 src0_sel:BYTE_1 src1_sel:DWORD
	s_mov_b32 s16, -1
	s_and_saveexec_b32 s72, s73
; %bb.9406:                             ;   in Loop: Header=BB6_7994 Depth=3
	s_xor_b32 s16, exec_lo, -1
; %bb.9407:                             ;   in Loop: Header=BB6_7994 Depth=3
	s_or_b32 exec_lo, exec_lo, s72
	s_and_b32 s16, s16, exec_lo
	s_or_saveexec_b32 s23, s23
	v_mov_b32_e32 v36, 0x7f800001
	s_xor_b32 exec_lo, exec_lo, s23
	s_cbranch_execnz .LBB6_10407
.LBB6_9408:                             ;   in Loop: Header=BB6_7994 Depth=3
	s_or_b32 exec_lo, exec_lo, s23
	s_and_saveexec_b32 s23, s16
	s_cbranch_execz .LBB6_9410
.LBB6_9409:                             ;   in Loop: Header=BB6_7994 Depth=3
	v_and_b32_sdwa v36, v118, v18 dst_sel:DWORD dst_unused:UNUSED_PAD src0_sel:DWORD src1_sel:BYTE_1
	v_and_b32_e32 v37, 3, v36
	v_bfe_u32 v44, v36, 2, 5
	v_ffbh_u32_e32 v101, v37
	v_cmp_eq_u32_e32 vcc_lo, 0, v44
	v_min_u32_e32 v101, 32, v101
	v_subrev_nc_u32_e32 v42, 29, v101
	v_sub_nc_u32_e32 v101, 30, v101
	v_lshlrev_b32_e32 v36, v42, v36
	v_lshlrev_b32_sdwa v42, v119, v18 dst_sel:DWORD dst_unused:UNUSED_PAD src0_sel:DWORD src1_sel:BYTE_1
	v_cndmask_b32_e32 v101, v44, v101, vcc_lo
	v_and_b32_e32 v36, 3, v36
	v_lshl_add_u32 v101, v101, 23, 0x37800000
	v_cndmask_b32_e32 v36, v37, v36, vcc_lo
	v_and_b32_e32 v37, 0x80000000, v42
	v_lshlrev_b32_e32 v36, 21, v36
	v_or3_b32 v36, v37, v101, v36
.LBB6_9410:                             ;   in Loop: Header=BB6_7994 Depth=3
	s_or_b32 exec_lo, exec_lo, s23
	v_add_f32_e32 v7, v7, v36
	v_mov_b32_e32 v44, 0x8000
	s_mov_b32 s23, exec_lo
	v_and_b32_e32 v36, 0x7f800000, v7
	v_cmpx_ne_u32_e32 0x7f800000, v36
	s_cbranch_execz .LBB6_9418
; %bb.9411:                             ;   in Loop: Header=BB6_7994 Depth=3
	v_mov_b32_e32 v44, 0
	s_mov_b32 s72, exec_lo
	v_cmpx_ne_u32_e32 0, v7
	s_cbranch_execz .LBB6_9417
; %bb.9412:                             ;   in Loop: Header=BB6_7994 Depth=3
	v_bfe_u32 v37, v7, 23, 8
	v_and_b32_e32 v36, 0x7fffff, v7
	v_cmp_gt_u32_e64 s16, 0x71, v37
	v_sub_nc_u32_e32 v101, 0x70, v37
	v_cmp_eq_u32_e32 vcc_lo, 0, v37
	v_or_b32_e32 v42, 0x800000, v36
	v_cndmask_b32_e64 v101, 0, v101, s16
	v_cndmask_b32_e32 v36, v42, v36, vcc_lo
	v_cndmask_b32_e64 v101, v101, 0x6f, vcc_lo
	v_lshl_add_u32 v42, 0x200000, v101, -1
	v_lshlrev_b32_e64 v44, v101, 0x100000
	v_and_b32_e32 v42, v42, v36
	v_cmp_eq_u32_e64 s16, v42, v44
	v_lshrrev_b32_e32 v42, v101, v36
	v_add_nc_u32_e32 v36, 0xffffff91, v37
	v_lshrrev_b32_e32 v37, 23, v42
	v_cndmask_b32_e64 v36, v36, 0xffffff92, vcc_lo
	v_xor_b32_e32 v37, 1, v37
	v_add_nc_u32_e32 v36, v101, v36
	v_bfe_u32 v101, v42, 21, 1
	v_add_nc_u32_e32 v101, -1, v101
	v_cndmask_b32_e64 v101, 0, v101, s16
	s_mov_b32 s16, exec_lo
	v_add_nc_u32_e32 v101, v101, v42
	v_and_b32_e32 v101, 0x1fffff, v101
	v_add_nc_u32_e32 v101, v101, v42
                                        ; implicit-def: $vgpr42
	v_cmpx_ne_u32_e64 v36, v37
	s_xor_b32 s16, exec_lo, s16
; %bb.9413:                             ;   in Loop: Header=BB6_7994 Depth=3
	v_cmp_lt_u32_e32 vcc_lo, 0xffffff, v101
	v_sub_nc_u32_e32 v36, v36, v37
	v_cndmask_b32_e64 v37, 0, 1, vcc_lo
	v_add_co_ci_u32_e64 v42, null, 0, v36, vcc_lo
	v_lshrrev_b32_e32 v101, v37, v101
; %bb.9414:                             ;   in Loop: Header=BB6_7994 Depth=3
	s_andn2_saveexec_b32 s16, s16
; %bb.9415:                             ;   in Loop: Header=BB6_7994 Depth=3
	v_bfe_u32 v42, v101, 23, 1
; %bb.9416:                             ;   in Loop: Header=BB6_7994 Depth=3
	s_or_b32 exec_lo, exec_lo, s16
	v_lshrrev_b32_e32 v36, 21, v101
	v_min_i32_e32 v37, 31, v42
	v_cmp_gt_i32_e32 vcc_lo, 32, v42
	v_and_b32_sdwa v7, v7, v117 dst_sel:DWORD dst_unused:UNUSED_PAD src0_sel:BYTE_3 src1_sel:DWORD
	v_lshlrev_b32_e32 v37, 2, v37
	v_cndmask_b32_e32 v36, 3, v36, vcc_lo
	v_and_b32_e32 v37, 0xfc, v37
	v_or_b32_e32 v101, v42, v36
	v_and_b32_e32 v36, 3, v36
	v_cmp_ne_u32_e32 vcc_lo, 0, v101
	v_or3_b32 v7, v7, v37, v36
	v_lshlrev_b32_e32 v7, 8, v7
	v_cndmask_b32_e32 v44, 0, v7, vcc_lo
.LBB6_9417:                             ;   in Loop: Header=BB6_7994 Depth=3
	s_or_b32 exec_lo, exec_lo, s72
.LBB6_9418:                             ;   in Loop: Header=BB6_7994 Depth=3
	s_or_b32 exec_lo, exec_lo, s23
	v_or_b32_e32 v36, v81, v67
	s_mov_b32 s23, 0
	v_cmp_gt_i16_sdwa s16, v36, v116 src0_sel:BYTE_0 src1_sel:DWORD
	s_and_saveexec_b32 s72, s16
	s_xor_b32 s16, exec_lo, s72
	s_cbranch_execz .LBB6_10408
; %bb.9419:                             ;   in Loop: Header=BB6_7994 Depth=3
	v_cmp_eq_u16_sdwa s73, v36, v117 src0_sel:BYTE_0 src1_sel:DWORD
	s_mov_b32 s23, -1
	s_and_saveexec_b32 s72, s73
; %bb.9420:                             ;   in Loop: Header=BB6_7994 Depth=3
	s_xor_b32 s23, exec_lo, -1
; %bb.9421:                             ;   in Loop: Header=BB6_7994 Depth=3
	s_or_b32 exec_lo, exec_lo, s72
	s_and_b32 s23, s23, exec_lo
	s_or_saveexec_b32 s16, s16
	v_mov_b32_e32 v7, 0x7f800001
	s_xor_b32 exec_lo, exec_lo, s16
	s_cbranch_execnz .LBB6_10409
.LBB6_9422:                             ;   in Loop: Header=BB6_7994 Depth=3
	s_or_b32 exec_lo, exec_lo, s16
	v_lshl_or_b32 v6, v36, 16, v6
	s_and_saveexec_b32 s16, s23
	s_cbranch_execz .LBB6_9424
.LBB6_9423:                             ;   in Loop: Header=BB6_7994 Depth=3
	v_bfe_u32 v7, v6, 16, 2
	v_bfe_u32 v36, v6, 18, 5
	v_ffbh_u32_e32 v37, v7
	v_cmp_eq_u32_e32 vcc_lo, 0, v36
	v_min_u32_e32 v37, 32, v37
	v_subrev_nc_u32_e32 v67, 29, v37
	v_sub_nc_u32_e32 v37, 30, v37
	v_lshlrev_b32_sdwa v67, v67, v6 dst_sel:DWORD dst_unused:UNUSED_PAD src0_sel:DWORD src1_sel:WORD_1
	v_cndmask_b32_e32 v36, v36, v37, vcc_lo
	v_lshlrev_b32_e32 v37, 8, v6
	v_and_b32_e32 v67, 3, v67
	v_lshl_add_u32 v36, v36, 23, 0x37800000
	v_and_b32_e32 v37, 0x80000000, v37
	v_cndmask_b32_e32 v7, v7, v67, vcc_lo
	v_lshlrev_b32_e32 v7, 21, v7
	v_or3_b32 v7, v37, v36, v7
.LBB6_9424:                             ;   in Loop: Header=BB6_7994 Depth=3
	s_or_b32 exec_lo, exec_lo, s16
	v_and_b32_sdwa v37, v18, v40 dst_sel:DWORD dst_unused:UNUSED_PAD src0_sel:WORD_1 src1_sel:DWORD
	s_mov_b32 s23, 0
	s_mov_b32 s16, exec_lo
	v_cmpx_lt_i16_e32 0x7f, v37
	s_xor_b32 s16, exec_lo, s16
	s_cbranch_execz .LBB6_10410
; %bb.9425:                             ;   in Loop: Header=BB6_7994 Depth=3
	s_mov_b32 s23, -1
	s_mov_b32 s72, exec_lo
	v_cmpx_eq_u16_e32 0x80, v37
; %bb.9426:                             ;   in Loop: Header=BB6_7994 Depth=3
	s_xor_b32 s23, exec_lo, -1
; %bb.9427:                             ;   in Loop: Header=BB6_7994 Depth=3
	s_or_b32 exec_lo, exec_lo, s72
	s_and_b32 s23, s23, exec_lo
                                        ; implicit-def: $vgpr37
	s_or_saveexec_b32 s16, s16
	v_mov_b32_e32 v36, 0x7f800001
	s_xor_b32 exec_lo, exec_lo, s16
	s_cbranch_execnz .LBB6_10411
.LBB6_9428:                             ;   in Loop: Header=BB6_7994 Depth=3
	s_or_b32 exec_lo, exec_lo, s16
	s_and_saveexec_b32 s16, s23
	s_cbranch_execz .LBB6_9430
.LBB6_9429:                             ;   in Loop: Header=BB6_7994 Depth=3
	v_bfe_u32 v36, v18, 16, 2
	v_bfe_u32 v37, v18, 18, 5
	v_ffbh_u32_e32 v67, v36
	v_cmp_eq_u32_e32 vcc_lo, 0, v37
	v_min_u32_e32 v67, 32, v67
	v_subrev_nc_u32_e32 v81, 29, v67
	v_sub_nc_u32_e32 v67, 30, v67
	v_lshlrev_b32_sdwa v81, v81, v18 dst_sel:DWORD dst_unused:UNUSED_PAD src0_sel:DWORD src1_sel:WORD_1
	v_cndmask_b32_e32 v37, v37, v67, vcc_lo
	v_lshlrev_b32_e32 v67, 8, v18
	v_and_b32_e32 v81, 3, v81
	v_lshl_add_u32 v37, v37, 23, 0x37800000
	v_and_b32_e32 v67, 0x80000000, v67
	v_cndmask_b32_e32 v36, v36, v81, vcc_lo
	v_lshlrev_b32_e32 v36, 21, v36
	v_or3_b32 v36, v67, v37, v36
.LBB6_9430:                             ;   in Loop: Header=BB6_7994 Depth=3
	s_or_b32 exec_lo, exec_lo, s16
	v_add_f32_e32 v7, v7, v36
	v_mov_b32_e32 v67, 0x80
	s_mov_b32 s23, exec_lo
	v_and_b32_e32 v36, 0x7f800000, v7
	v_cmpx_ne_u32_e32 0x7f800000, v36
	s_cbranch_execz .LBB6_9438
; %bb.9431:                             ;   in Loop: Header=BB6_7994 Depth=3
	v_mov_b32_e32 v67, 0
	s_mov_b32 s72, exec_lo
	v_cmpx_ne_u32_e32 0, v7
	s_cbranch_execz .LBB6_9437
; %bb.9432:                             ;   in Loop: Header=BB6_7994 Depth=3
	v_bfe_u32 v37, v7, 23, 8
	v_and_b32_e32 v36, 0x7fffff, v7
	v_cmp_gt_u32_e64 s16, 0x71, v37
	v_sub_nc_u32_e32 v67, 0x70, v37
	v_cmp_eq_u32_e32 vcc_lo, 0, v37
	v_or_b32_e32 v81, 0x800000, v36
	v_cndmask_b32_e64 v67, 0, v67, s16
	v_cndmask_b32_e32 v36, v81, v36, vcc_lo
	v_cndmask_b32_e64 v67, v67, 0x6f, vcc_lo
	v_lshl_add_u32 v81, 0x200000, v67, -1
	v_lshlrev_b32_e64 v101, v67, 0x100000
	v_and_b32_e32 v81, v81, v36
	v_cmp_eq_u32_e64 s16, v81, v101
	v_lshrrev_b32_e32 v81, v67, v36
	v_add_nc_u32_e32 v36, 0xffffff91, v37
	v_lshrrev_b32_e32 v37, 23, v81
	v_cndmask_b32_e64 v36, v36, 0xffffff92, vcc_lo
	v_xor_b32_e32 v37, 1, v37
	v_add_nc_u32_e32 v36, v67, v36
	v_bfe_u32 v67, v81, 21, 1
	v_add_nc_u32_e32 v67, -1, v67
	v_cndmask_b32_e64 v67, 0, v67, s16
	s_mov_b32 s16, exec_lo
	v_add_nc_u32_e32 v67, v67, v81
	v_and_b32_e32 v67, 0x1fffff, v67
	v_add_nc_u32_e32 v67, v67, v81
                                        ; implicit-def: $vgpr81
	v_cmpx_ne_u32_e64 v36, v37
	s_xor_b32 s16, exec_lo, s16
; %bb.9433:                             ;   in Loop: Header=BB6_7994 Depth=3
	v_cmp_lt_u32_e32 vcc_lo, 0xffffff, v67
	v_sub_nc_u32_e32 v36, v36, v37
	v_cndmask_b32_e64 v37, 0, 1, vcc_lo
	v_add_co_ci_u32_e64 v81, null, 0, v36, vcc_lo
	v_lshrrev_b32_e32 v67, v37, v67
; %bb.9434:                             ;   in Loop: Header=BB6_7994 Depth=3
	s_andn2_saveexec_b32 s16, s16
; %bb.9435:                             ;   in Loop: Header=BB6_7994 Depth=3
	v_bfe_u32 v81, v67, 23, 1
; %bb.9436:                             ;   in Loop: Header=BB6_7994 Depth=3
	s_or_b32 exec_lo, exec_lo, s16
	v_lshrrev_b32_e32 v36, 21, v67
	v_min_i32_e32 v37, 31, v81
	v_cmp_gt_i32_e32 vcc_lo, 32, v81
	v_and_b32_sdwa v7, v7, v117 dst_sel:DWORD dst_unused:UNUSED_PAD src0_sel:BYTE_3 src1_sel:DWORD
	v_lshlrev_b32_e32 v37, 2, v37
	v_cndmask_b32_e32 v36, 3, v36, vcc_lo
	v_and_b32_e32 v37, 0xfc, v37
	v_or_b32_e32 v67, v81, v36
	v_and_b32_e32 v36, 3, v36
	v_cmp_ne_u32_e32 vcc_lo, 0, v67
	v_or3_b32 v7, v37, v7, v36
	v_cndmask_b32_e32 v67, 0, v7, vcc_lo
.LBB6_9437:                             ;   in Loop: Header=BB6_7994 Depth=3
	s_or_b32 exec_lo, exec_lo, s72
.LBB6_9438:                             ;   in Loop: Header=BB6_7994 Depth=3
	s_or_b32 exec_lo, exec_lo, s23
	v_cmp_gt_i16_sdwa s23, v6, v116 src0_sel:BYTE_3 src1_sel:DWORD
	s_mov_b32 s16, 0
	s_and_saveexec_b32 s72, s23
	s_xor_b32 s23, exec_lo, s72
	s_cbranch_execz .LBB6_10412
; %bb.9439:                             ;   in Loop: Header=BB6_7994 Depth=3
	v_cmp_eq_u16_sdwa s73, v6, v117 src0_sel:BYTE_3 src1_sel:DWORD
	s_mov_b32 s16, -1
	s_and_saveexec_b32 s72, s73
; %bb.9440:                             ;   in Loop: Header=BB6_7994 Depth=3
	s_xor_b32 s16, exec_lo, -1
; %bb.9441:                             ;   in Loop: Header=BB6_7994 Depth=3
	s_or_b32 exec_lo, exec_lo, s72
	s_and_b32 s16, s16, exec_lo
	s_or_saveexec_b32 s23, s23
	v_mov_b32_e32 v7, 0x7f800001
	s_xor_b32 exec_lo, exec_lo, s23
	s_cbranch_execnz .LBB6_10413
.LBB6_9442:                             ;   in Loop: Header=BB6_7994 Depth=3
	s_or_b32 exec_lo, exec_lo, s23
	s_and_saveexec_b32 s23, s16
	s_cbranch_execz .LBB6_9444
.LBB6_9443:                             ;   in Loop: Header=BB6_7994 Depth=3
	v_bfe_u32 v7, v6, 24, 2
	v_bfe_u32 v81, v6, 26, 5
	v_ffbh_u32_e32 v36, v7
	v_cmp_eq_u32_e32 vcc_lo, 0, v81
	v_min_u32_e32 v36, 32, v36
	v_subrev_nc_u32_e32 v37, 29, v36
	v_sub_nc_u32_e32 v36, 30, v36
	v_lshlrev_b32_sdwa v37, v37, v6 dst_sel:DWORD dst_unused:UNUSED_PAD src0_sel:DWORD src1_sel:BYTE_3
	v_cndmask_b32_e32 v36, v81, v36, vcc_lo
	v_and_b32_e32 v6, 0x80000000, v6
	v_and_b32_e32 v37, 3, v37
	v_lshl_add_u32 v36, v36, 23, 0x37800000
	v_cndmask_b32_e32 v7, v7, v37, vcc_lo
	v_lshlrev_b32_e32 v7, 21, v7
	v_or3_b32 v7, v6, v36, v7
.LBB6_9444:                             ;   in Loop: Header=BB6_7994 Depth=3
	s_or_b32 exec_lo, exec_lo, s23
	v_cmp_gt_i16_sdwa s23, v18, v116 src0_sel:BYTE_3 src1_sel:DWORD
	s_mov_b32 s16, 0
	s_and_saveexec_b32 s72, s23
	s_xor_b32 s23, exec_lo, s72
	s_cbranch_execz .LBB6_10414
; %bb.9445:                             ;   in Loop: Header=BB6_7994 Depth=3
	v_cmp_eq_u16_sdwa s73, v18, v117 src0_sel:BYTE_3 src1_sel:DWORD
	s_mov_b32 s16, -1
	s_and_saveexec_b32 s72, s73
; %bb.9446:                             ;   in Loop: Header=BB6_7994 Depth=3
	s_xor_b32 s16, exec_lo, -1
; %bb.9447:                             ;   in Loop: Header=BB6_7994 Depth=3
	s_or_b32 exec_lo, exec_lo, s72
	s_and_b32 s16, s16, exec_lo
	s_or_saveexec_b32 s23, s23
	v_mov_b32_e32 v6, 0x7f800001
	s_xor_b32 exec_lo, exec_lo, s23
	s_cbranch_execnz .LBB6_10415
.LBB6_9448:                             ;   in Loop: Header=BB6_7994 Depth=3
	s_or_b32 exec_lo, exec_lo, s23
	s_and_saveexec_b32 s23, s16
	s_cbranch_execz .LBB6_9450
.LBB6_9449:                             ;   in Loop: Header=BB6_7994 Depth=3
	v_bfe_u32 v6, v18, 24, 2
	v_bfe_u32 v81, v18, 26, 5
	v_ffbh_u32_e32 v36, v6
	v_cmp_eq_u32_e32 vcc_lo, 0, v81
	v_min_u32_e32 v36, 32, v36
	v_subrev_nc_u32_e32 v37, 29, v36
	v_sub_nc_u32_e32 v36, 30, v36
	v_lshlrev_b32_sdwa v37, v37, v18 dst_sel:DWORD dst_unused:UNUSED_PAD src0_sel:DWORD src1_sel:BYTE_3
	v_cndmask_b32_e32 v36, v81, v36, vcc_lo
	v_and_b32_e32 v18, 0x80000000, v18
	v_and_b32_e32 v37, 3, v37
	v_lshl_add_u32 v36, v36, 23, 0x37800000
	v_cndmask_b32_e32 v6, v6, v37, vcc_lo
	v_lshlrev_b32_e32 v6, 21, v6
	v_or3_b32 v6, v18, v36, v6
.LBB6_9450:                             ;   in Loop: Header=BB6_7994 Depth=3
	s_or_b32 exec_lo, exec_lo, s23
	v_add_f32_e32 v6, v7, v6
	v_mov_b32_e32 v18, 0x8000
	s_mov_b32 s23, exec_lo
	v_and_b32_e32 v7, 0x7f800000, v6
	v_cmpx_ne_u32_e32 0x7f800000, v7
	s_cbranch_execz .LBB6_9458
; %bb.9451:                             ;   in Loop: Header=BB6_7994 Depth=3
	v_mov_b32_e32 v18, 0
	s_mov_b32 s72, exec_lo
	v_cmpx_ne_u32_e32 0, v6
	s_cbranch_execz .LBB6_9457
; %bb.9452:                             ;   in Loop: Header=BB6_7994 Depth=3
	v_bfe_u32 v18, v6, 23, 8
	v_and_b32_e32 v7, 0x7fffff, v6
	v_cmp_gt_u32_e64 s16, 0x71, v18
	v_sub_nc_u32_e32 v36, 0x70, v18
	v_cmp_eq_u32_e32 vcc_lo, 0, v18
	v_or_b32_e32 v37, 0x800000, v7
	v_cndmask_b32_e64 v36, 0, v36, s16
	v_cndmask_b32_e32 v7, v37, v7, vcc_lo
	v_cndmask_b32_e64 v36, v36, 0x6f, vcc_lo
	v_lshl_add_u32 v37, 0x200000, v36, -1
	v_lshlrev_b32_e64 v81, v36, 0x100000
	v_and_b32_e32 v37, v37, v7
	v_cmp_eq_u32_e64 s16, v37, v81
	v_lshrrev_b32_e32 v37, v36, v7
	v_add_nc_u32_e32 v7, 0xffffff91, v18
	v_lshrrev_b32_e32 v18, 23, v37
	v_cndmask_b32_e64 v7, v7, 0xffffff92, vcc_lo
	v_xor_b32_e32 v18, 1, v18
	v_add_nc_u32_e32 v7, v36, v7
	v_bfe_u32 v36, v37, 21, 1
	v_add_nc_u32_e32 v36, -1, v36
	v_cndmask_b32_e64 v36, 0, v36, s16
	s_mov_b32 s16, exec_lo
	v_add_nc_u32_e32 v36, v36, v37
	v_and_b32_e32 v36, 0x1fffff, v36
	v_add_nc_u32_e32 v36, v36, v37
                                        ; implicit-def: $vgpr37
	v_cmpx_ne_u32_e64 v7, v18
	s_xor_b32 s16, exec_lo, s16
; %bb.9453:                             ;   in Loop: Header=BB6_7994 Depth=3
	v_cmp_lt_u32_e32 vcc_lo, 0xffffff, v36
	v_sub_nc_u32_e32 v7, v7, v18
	v_cndmask_b32_e64 v18, 0, 1, vcc_lo
	v_add_co_ci_u32_e64 v37, null, 0, v7, vcc_lo
	v_lshrrev_b32_e32 v36, v18, v36
; %bb.9454:                             ;   in Loop: Header=BB6_7994 Depth=3
	s_andn2_saveexec_b32 s16, s16
; %bb.9455:                             ;   in Loop: Header=BB6_7994 Depth=3
	v_bfe_u32 v37, v36, 23, 1
; %bb.9456:                             ;   in Loop: Header=BB6_7994 Depth=3
	s_or_b32 exec_lo, exec_lo, s16
	v_lshrrev_b32_e32 v7, 21, v36
	v_min_i32_e32 v18, 31, v37
	v_cmp_gt_i32_e32 vcc_lo, 32, v37
	v_and_b32_sdwa v6, v6, v117 dst_sel:DWORD dst_unused:UNUSED_PAD src0_sel:BYTE_3 src1_sel:DWORD
	v_lshlrev_b32_e32 v18, 2, v18
	v_cndmask_b32_e32 v7, 3, v7, vcc_lo
	v_and_b32_e32 v18, 0xfc, v18
	v_or_b32_e32 v36, v37, v7
	v_and_b32_e32 v7, 3, v7
	v_cmp_ne_u32_e32 vcc_lo, 0, v36
	v_or3_b32 v6, v6, v18, v7
	v_lshlrev_b32_e32 v6, 8, v6
	v_cndmask_b32_e32 v18, 0, v6, vcc_lo
.LBB6_9457:                             ;   in Loop: Header=BB6_7994 Depth=3
	s_or_b32 exec_lo, exec_lo, s72
.LBB6_9458:                             ;   in Loop: Header=BB6_7994 Depth=3
	s_or_b32 exec_lo, exec_lo, s23
	v_or_b32_e32 v6, v80, v78
	s_mov_b32 s23, 0
	v_cmp_gt_i16_sdwa s16, v6, v116 src0_sel:BYTE_0 src1_sel:DWORD
	s_and_saveexec_b32 s72, s16
	s_xor_b32 s16, exec_lo, s72
	s_cbranch_execz .LBB6_10416
; %bb.9459:                             ;   in Loop: Header=BB6_7994 Depth=3
	v_cmp_eq_u16_sdwa s73, v6, v117 src0_sel:BYTE_0 src1_sel:DWORD
	s_mov_b32 s23, -1
	s_and_saveexec_b32 s72, s73
; %bb.9460:                             ;   in Loop: Header=BB6_7994 Depth=3
	s_xor_b32 s23, exec_lo, -1
; %bb.9461:                             ;   in Loop: Header=BB6_7994 Depth=3
	s_or_b32 exec_lo, exec_lo, s72
	s_and_b32 s23, s23, exec_lo
	s_or_saveexec_b32 s16, s16
	v_mov_b32_e32 v7, 0x7f800001
	s_xor_b32 exec_lo, exec_lo, s16
	s_cbranch_execnz .LBB6_10417
.LBB6_9462:                             ;   in Loop: Header=BB6_7994 Depth=3
	s_or_b32 exec_lo, exec_lo, s16
	s_and_saveexec_b32 s16, s23
	s_cbranch_execz .LBB6_9464
.LBB6_9463:                             ;   in Loop: Header=BB6_7994 Depth=3
	v_and_b32_e32 v7, 3, v6
	v_bfe_u32 v36, v6, 2, 5
	v_ffbh_u32_e32 v37, v7
	v_cmp_eq_u32_e32 vcc_lo, 0, v36
	v_min_u32_e32 v37, 32, v37
	v_subrev_nc_u32_e32 v80, 29, v37
	v_sub_nc_u32_e32 v37, 30, v37
	v_lshlrev_b32_e32 v80, v80, v6
	v_cndmask_b32_e32 v36, v36, v37, vcc_lo
	v_lshlrev_b32_e32 v37, 24, v6
	v_and_b32_e32 v80, 3, v80
	v_lshl_add_u32 v36, v36, 23, 0x37800000
	v_and_b32_e32 v37, 0x80000000, v37
	v_cndmask_b32_e32 v7, v7, v80, vcc_lo
	v_lshlrev_b32_e32 v7, 21, v7
	v_or3_b32 v7, v37, v36, v7
.LBB6_9464:                             ;   in Loop: Header=BB6_7994 Depth=3
	s_or_b32 exec_lo, exec_lo, s16
	v_cmp_gt_i16_sdwa s16, v19, v116 src0_sel:BYTE_0 src1_sel:DWORD
	s_mov_b32 s23, 0
	s_and_saveexec_b32 s72, s16
	s_xor_b32 s16, exec_lo, s72
	s_cbranch_execz .LBB6_10418
; %bb.9465:                             ;   in Loop: Header=BB6_7994 Depth=3
	v_cmp_eq_u16_sdwa s73, v19, v117 src0_sel:BYTE_0 src1_sel:DWORD
	s_mov_b32 s23, -1
	s_and_saveexec_b32 s72, s73
; %bb.9466:                             ;   in Loop: Header=BB6_7994 Depth=3
	s_xor_b32 s23, exec_lo, -1
; %bb.9467:                             ;   in Loop: Header=BB6_7994 Depth=3
	s_or_b32 exec_lo, exec_lo, s72
	s_and_b32 s23, s23, exec_lo
	s_or_saveexec_b32 s16, s16
	v_mov_b32_e32 v36, 0x7f800001
	s_xor_b32 exec_lo, exec_lo, s16
	s_cbranch_execnz .LBB6_10419
.LBB6_9468:                             ;   in Loop: Header=BB6_7994 Depth=3
	s_or_b32 exec_lo, exec_lo, s16
	s_and_saveexec_b32 s16, s23
	s_cbranch_execz .LBB6_9470
.LBB6_9469:                             ;   in Loop: Header=BB6_7994 Depth=3
	v_and_b32_e32 v36, 3, v19
	v_bfe_u32 v37, v19, 2, 5
	v_ffbh_u32_e32 v80, v36
	v_cmp_eq_u32_e32 vcc_lo, 0, v37
	v_min_u32_e32 v80, 32, v80
	v_subrev_nc_u32_e32 v81, 29, v80
	v_sub_nc_u32_e32 v80, 30, v80
	v_lshlrev_b32_e32 v81, v81, v19
	v_cndmask_b32_e32 v37, v37, v80, vcc_lo
	v_lshlrev_b32_e32 v80, 24, v19
	v_and_b32_e32 v81, 3, v81
	v_lshl_add_u32 v37, v37, 23, 0x37800000
	v_and_b32_e32 v80, 0x80000000, v80
	v_cndmask_b32_e32 v36, v36, v81, vcc_lo
	v_lshlrev_b32_e32 v36, 21, v36
	v_or3_b32 v36, v80, v37, v36
.LBB6_9470:                             ;   in Loop: Header=BB6_7994 Depth=3
	s_or_b32 exec_lo, exec_lo, s16
	v_add_f32_e32 v7, v7, v36
	v_mov_b32_e32 v80, 0x80
	s_mov_b32 s23, exec_lo
	v_and_b32_e32 v36, 0x7f800000, v7
	v_cmpx_ne_u32_e32 0x7f800000, v36
	s_cbranch_execz .LBB6_9478
; %bb.9471:                             ;   in Loop: Header=BB6_7994 Depth=3
	v_mov_b32_e32 v80, 0
	s_mov_b32 s72, exec_lo
	v_cmpx_ne_u32_e32 0, v7
	s_cbranch_execz .LBB6_9477
; %bb.9472:                             ;   in Loop: Header=BB6_7994 Depth=3
	v_bfe_u32 v37, v7, 23, 8
	v_and_b32_e32 v36, 0x7fffff, v7
	v_cmp_gt_u32_e64 s16, 0x71, v37
	v_sub_nc_u32_e32 v80, 0x70, v37
	v_cmp_eq_u32_e32 vcc_lo, 0, v37
	v_or_b32_e32 v81, 0x800000, v36
	v_cndmask_b32_e64 v80, 0, v80, s16
	v_cndmask_b32_e32 v36, v81, v36, vcc_lo
	v_cndmask_b32_e64 v80, v80, 0x6f, vcc_lo
	v_lshl_add_u32 v81, 0x200000, v80, -1
	v_lshlrev_b32_e64 v101, v80, 0x100000
	v_and_b32_e32 v81, v81, v36
	v_cmp_eq_u32_e64 s16, v81, v101
	v_lshrrev_b32_e32 v81, v80, v36
	v_add_nc_u32_e32 v36, 0xffffff91, v37
	v_lshrrev_b32_e32 v37, 23, v81
	v_cndmask_b32_e64 v36, v36, 0xffffff92, vcc_lo
	v_xor_b32_e32 v37, 1, v37
	v_add_nc_u32_e32 v36, v80, v36
	v_bfe_u32 v80, v81, 21, 1
	v_add_nc_u32_e32 v80, -1, v80
	v_cndmask_b32_e64 v80, 0, v80, s16
	s_mov_b32 s16, exec_lo
	v_add_nc_u32_e32 v80, v80, v81
	v_and_b32_e32 v80, 0x1fffff, v80
	v_add_nc_u32_e32 v80, v80, v81
                                        ; implicit-def: $vgpr81
	v_cmpx_ne_u32_e64 v36, v37
	s_xor_b32 s16, exec_lo, s16
; %bb.9473:                             ;   in Loop: Header=BB6_7994 Depth=3
	v_cmp_lt_u32_e32 vcc_lo, 0xffffff, v80
	v_sub_nc_u32_e32 v36, v36, v37
	v_cndmask_b32_e64 v37, 0, 1, vcc_lo
	v_add_co_ci_u32_e64 v81, null, 0, v36, vcc_lo
	v_lshrrev_b32_e32 v80, v37, v80
; %bb.9474:                             ;   in Loop: Header=BB6_7994 Depth=3
	s_andn2_saveexec_b32 s16, s16
; %bb.9475:                             ;   in Loop: Header=BB6_7994 Depth=3
	v_bfe_u32 v81, v80, 23, 1
; %bb.9476:                             ;   in Loop: Header=BB6_7994 Depth=3
	s_or_b32 exec_lo, exec_lo, s16
	v_lshrrev_b32_e32 v36, 21, v80
	v_min_i32_e32 v37, 31, v81
	v_cmp_gt_i32_e32 vcc_lo, 32, v81
	v_and_b32_sdwa v7, v7, v117 dst_sel:DWORD dst_unused:UNUSED_PAD src0_sel:BYTE_3 src1_sel:DWORD
	v_lshlrev_b32_e32 v37, 2, v37
	v_cndmask_b32_e32 v36, 3, v36, vcc_lo
	v_and_b32_e32 v37, 0xfc, v37
	v_or_b32_e32 v80, v81, v36
	v_and_b32_e32 v36, 3, v36
	v_cmp_ne_u32_e32 vcc_lo, 0, v80
	v_or3_b32 v7, v37, v7, v36
	v_cndmask_b32_e32 v80, 0, v7, vcc_lo
.LBB6_9477:                             ;   in Loop: Header=BB6_7994 Depth=3
	s_or_b32 exec_lo, exec_lo, s72
.LBB6_9478:                             ;   in Loop: Header=BB6_7994 Depth=3
	s_or_b32 exec_lo, exec_lo, s23
	v_cmp_gt_i16_sdwa s23, v6, v116 src0_sel:BYTE_1 src1_sel:DWORD
	s_mov_b32 s16, 0
	s_and_saveexec_b32 s72, s23
	s_xor_b32 s23, exec_lo, s72
	s_cbranch_execz .LBB6_10420
; %bb.9479:                             ;   in Loop: Header=BB6_7994 Depth=3
	v_cmp_eq_u16_sdwa s73, v6, v117 src0_sel:BYTE_1 src1_sel:DWORD
	s_mov_b32 s16, -1
	s_and_saveexec_b32 s72, s73
; %bb.9480:                             ;   in Loop: Header=BB6_7994 Depth=3
	s_xor_b32 s16, exec_lo, -1
; %bb.9481:                             ;   in Loop: Header=BB6_7994 Depth=3
	s_or_b32 exec_lo, exec_lo, s72
	s_and_b32 s16, s16, exec_lo
	s_or_saveexec_b32 s23, s23
	v_mov_b32_e32 v7, 0x7f800001
	s_xor_b32 exec_lo, exec_lo, s23
	s_cbranch_execnz .LBB6_10421
.LBB6_9482:                             ;   in Loop: Header=BB6_7994 Depth=3
	s_or_b32 exec_lo, exec_lo, s23
	s_and_saveexec_b32 s23, s16
	s_cbranch_execz .LBB6_9484
.LBB6_9483:                             ;   in Loop: Header=BB6_7994 Depth=3
	v_and_b32_sdwa v7, v118, v6 dst_sel:DWORD dst_unused:UNUSED_PAD src0_sel:DWORD src1_sel:BYTE_1
	v_and_b32_e32 v36, 3, v7
	v_bfe_u32 v101, v7, 2, 5
	v_ffbh_u32_e32 v37, v36
	v_cmp_eq_u32_e32 vcc_lo, 0, v101
	v_min_u32_e32 v37, 32, v37
	v_subrev_nc_u32_e32 v81, 29, v37
	v_sub_nc_u32_e32 v37, 30, v37
	v_lshlrev_b32_e32 v7, v81, v7
	v_lshlrev_b32_sdwa v81, v119, v6 dst_sel:DWORD dst_unused:UNUSED_PAD src0_sel:DWORD src1_sel:BYTE_1
	v_cndmask_b32_e32 v37, v101, v37, vcc_lo
	v_and_b32_e32 v7, 3, v7
	v_lshl_add_u32 v37, v37, 23, 0x37800000
	v_cndmask_b32_e32 v7, v36, v7, vcc_lo
	v_and_b32_e32 v36, 0x80000000, v81
	v_lshlrev_b32_e32 v7, 21, v7
	v_or3_b32 v7, v36, v37, v7
.LBB6_9484:                             ;   in Loop: Header=BB6_7994 Depth=3
	s_or_b32 exec_lo, exec_lo, s23
	v_cmp_gt_i16_sdwa s23, v19, v116 src0_sel:BYTE_1 src1_sel:DWORD
	s_mov_b32 s16, 0
	s_and_saveexec_b32 s72, s23
	s_xor_b32 s23, exec_lo, s72
	s_cbranch_execz .LBB6_10422
; %bb.9485:                             ;   in Loop: Header=BB6_7994 Depth=3
	v_cmp_eq_u16_sdwa s73, v19, v117 src0_sel:BYTE_1 src1_sel:DWORD
	s_mov_b32 s16, -1
	s_and_saveexec_b32 s72, s73
; %bb.9486:                             ;   in Loop: Header=BB6_7994 Depth=3
	s_xor_b32 s16, exec_lo, -1
; %bb.9487:                             ;   in Loop: Header=BB6_7994 Depth=3
	s_or_b32 exec_lo, exec_lo, s72
	s_and_b32 s16, s16, exec_lo
	s_or_saveexec_b32 s23, s23
	v_mov_b32_e32 v36, 0x7f800001
	s_xor_b32 exec_lo, exec_lo, s23
	s_cbranch_execnz .LBB6_10423
.LBB6_9488:                             ;   in Loop: Header=BB6_7994 Depth=3
	s_or_b32 exec_lo, exec_lo, s23
	s_and_saveexec_b32 s23, s16
	s_cbranch_execz .LBB6_9490
.LBB6_9489:                             ;   in Loop: Header=BB6_7994 Depth=3
	v_and_b32_sdwa v36, v118, v19 dst_sel:DWORD dst_unused:UNUSED_PAD src0_sel:DWORD src1_sel:BYTE_1
	v_and_b32_e32 v37, 3, v36
	v_bfe_u32 v42, v36, 2, 5
	v_ffbh_u32_e32 v81, v37
	v_cmp_eq_u32_e32 vcc_lo, 0, v42
	v_min_u32_e32 v81, 32, v81
	v_subrev_nc_u32_e32 v101, 29, v81
	v_sub_nc_u32_e32 v81, 30, v81
	v_lshlrev_b32_e32 v36, v101, v36
	v_lshlrev_b32_sdwa v101, v119, v19 dst_sel:DWORD dst_unused:UNUSED_PAD src0_sel:DWORD src1_sel:BYTE_1
	v_cndmask_b32_e32 v81, v42, v81, vcc_lo
	v_and_b32_e32 v36, 3, v36
	v_lshl_add_u32 v81, v81, 23, 0x37800000
	v_cndmask_b32_e32 v36, v37, v36, vcc_lo
	v_and_b32_e32 v37, 0x80000000, v101
	v_lshlrev_b32_e32 v36, 21, v36
	v_or3_b32 v36, v37, v81, v36
.LBB6_9490:                             ;   in Loop: Header=BB6_7994 Depth=3
	s_or_b32 exec_lo, exec_lo, s23
	v_add_f32_e32 v7, v7, v36
	v_and_b32_e32 v36, 0x7f800000, v7
	v_cmp_ne_u32_e32 vcc_lo, 0x7f800000, v36
	v_mov_b32_e32 v36, 0x8000
	s_and_saveexec_b32 s23, vcc_lo
	s_cbranch_execz .LBB6_9498
; %bb.9491:                             ;   in Loop: Header=BB6_7994 Depth=3
	v_mov_b32_e32 v36, 0
	s_mov_b32 s72, exec_lo
	v_cmpx_ne_u32_e32 0, v7
	s_cbranch_execz .LBB6_9497
; %bb.9492:                             ;   in Loop: Header=BB6_7994 Depth=3
	v_bfe_u32 v37, v7, 23, 8
	v_and_b32_e32 v36, 0x7fffff, v7
	v_cmp_gt_u32_e64 s16, 0x71, v37
	v_sub_nc_u32_e32 v81, 0x70, v37
	v_cmp_eq_u32_e32 vcc_lo, 0, v37
	v_or_b32_e32 v101, 0x800000, v36
	v_cndmask_b32_e64 v81, 0, v81, s16
	v_cndmask_b32_e32 v36, v101, v36, vcc_lo
	v_cndmask_b32_e64 v81, v81, 0x6f, vcc_lo
	v_lshl_add_u32 v101, 0x200000, v81, -1
	v_lshlrev_b32_e64 v42, v81, 0x100000
	v_and_b32_e32 v101, v101, v36
	v_cmp_eq_u32_e64 s16, v101, v42
	v_lshrrev_b32_e32 v101, v81, v36
	v_add_nc_u32_e32 v36, 0xffffff91, v37
	v_lshrrev_b32_e32 v37, 23, v101
	v_cndmask_b32_e64 v36, v36, 0xffffff92, vcc_lo
	v_xor_b32_e32 v37, 1, v37
	v_add_nc_u32_e32 v36, v81, v36
	v_bfe_u32 v81, v101, 21, 1
	v_add_nc_u32_e32 v81, -1, v81
	v_cndmask_b32_e64 v81, 0, v81, s16
	s_mov_b32 s16, exec_lo
	v_add_nc_u32_e32 v81, v81, v101
	v_and_b32_e32 v81, 0x1fffff, v81
	v_add_nc_u32_e32 v81, v81, v101
                                        ; implicit-def: $vgpr101
	v_cmpx_ne_u32_e64 v36, v37
	s_xor_b32 s16, exec_lo, s16
; %bb.9493:                             ;   in Loop: Header=BB6_7994 Depth=3
	v_cmp_lt_u32_e32 vcc_lo, 0xffffff, v81
	v_sub_nc_u32_e32 v36, v36, v37
	v_cndmask_b32_e64 v37, 0, 1, vcc_lo
	v_add_co_ci_u32_e64 v101, null, 0, v36, vcc_lo
	v_lshrrev_b32_e32 v81, v37, v81
; %bb.9494:                             ;   in Loop: Header=BB6_7994 Depth=3
	s_andn2_saveexec_b32 s16, s16
; %bb.9495:                             ;   in Loop: Header=BB6_7994 Depth=3
	v_bfe_u32 v101, v81, 23, 1
; %bb.9496:                             ;   in Loop: Header=BB6_7994 Depth=3
	s_or_b32 exec_lo, exec_lo, s16
	v_lshrrev_b32_e32 v36, 21, v81
	v_min_i32_e32 v37, 31, v101
	v_cmp_gt_i32_e32 vcc_lo, 32, v101
	v_and_b32_sdwa v7, v7, v117 dst_sel:DWORD dst_unused:UNUSED_PAD src0_sel:BYTE_3 src1_sel:DWORD
	v_lshlrev_b32_e32 v37, 2, v37
	v_cndmask_b32_e32 v36, 3, v36, vcc_lo
	v_and_b32_e32 v37, 0xfc, v37
	v_or_b32_e32 v81, v101, v36
	v_and_b32_e32 v36, 3, v36
	v_cmp_ne_u32_e32 vcc_lo, 0, v81
	v_or3_b32 v7, v7, v37, v36
	v_lshlrev_b32_e32 v7, 8, v7
	v_cndmask_b32_e32 v36, 0, v7, vcc_lo
.LBB6_9497:                             ;   in Loop: Header=BB6_7994 Depth=3
	s_or_b32 exec_lo, exec_lo, s72
.LBB6_9498:                             ;   in Loop: Header=BB6_7994 Depth=3
	s_or_b32 exec_lo, exec_lo, s23
	v_or_b32_e32 v37, v77, v113
	s_mov_b32 s23, 0
	v_cmp_gt_i16_sdwa s16, v37, v116 src0_sel:BYTE_0 src1_sel:DWORD
	s_and_saveexec_b32 s72, s16
	s_xor_b32 s16, exec_lo, s72
	s_cbranch_execz .LBB6_10424
; %bb.9499:                             ;   in Loop: Header=BB6_7994 Depth=3
	v_cmp_eq_u16_sdwa s73, v37, v117 src0_sel:BYTE_0 src1_sel:DWORD
	s_mov_b32 s23, -1
	s_and_saveexec_b32 s72, s73
; %bb.9500:                             ;   in Loop: Header=BB6_7994 Depth=3
	s_xor_b32 s23, exec_lo, -1
; %bb.9501:                             ;   in Loop: Header=BB6_7994 Depth=3
	s_or_b32 exec_lo, exec_lo, s72
	s_and_b32 s23, s23, exec_lo
	s_or_saveexec_b32 s16, s16
	v_mov_b32_e32 v7, 0x7f800001
	s_xor_b32 exec_lo, exec_lo, s16
	s_cbranch_execnz .LBB6_10425
.LBB6_9502:                             ;   in Loop: Header=BB6_7994 Depth=3
	s_or_b32 exec_lo, exec_lo, s16
	v_lshl_or_b32 v6, v37, 16, v6
	s_and_saveexec_b32 s16, s23
	s_cbranch_execz .LBB6_9504
.LBB6_9503:                             ;   in Loop: Header=BB6_7994 Depth=3
	v_bfe_u32 v7, v6, 16, 2
	v_bfe_u32 v37, v6, 18, 5
	v_ffbh_u32_e32 v81, v7
	v_cmp_eq_u32_e32 vcc_lo, 0, v37
	v_min_u32_e32 v81, 32, v81
	v_subrev_nc_u32_e32 v101, 29, v81
	v_sub_nc_u32_e32 v81, 30, v81
	v_lshlrev_b32_sdwa v101, v101, v6 dst_sel:DWORD dst_unused:UNUSED_PAD src0_sel:DWORD src1_sel:WORD_1
	v_cndmask_b32_e32 v37, v37, v81, vcc_lo
	v_lshlrev_b32_e32 v81, 8, v6
	v_and_b32_e32 v101, 3, v101
	v_lshl_add_u32 v37, v37, 23, 0x37800000
	v_and_b32_e32 v81, 0x80000000, v81
	v_cndmask_b32_e32 v7, v7, v101, vcc_lo
	v_lshlrev_b32_e32 v7, 21, v7
	v_or3_b32 v7, v81, v37, v7
.LBB6_9504:                             ;   in Loop: Header=BB6_7994 Depth=3
	s_or_b32 exec_lo, exec_lo, s16
	v_and_b32_sdwa v81, v19, v40 dst_sel:DWORD dst_unused:UNUSED_PAD src0_sel:WORD_1 src1_sel:DWORD
	s_mov_b32 s23, 0
	s_mov_b32 s16, exec_lo
	v_cmpx_lt_i16_e32 0x7f, v81
	s_xor_b32 s16, exec_lo, s16
	s_cbranch_execz .LBB6_10426
; %bb.9505:                             ;   in Loop: Header=BB6_7994 Depth=3
	s_mov_b32 s23, -1
	s_mov_b32 s72, exec_lo
	v_cmpx_eq_u16_e32 0x80, v81
; %bb.9506:                             ;   in Loop: Header=BB6_7994 Depth=3
	s_xor_b32 s23, exec_lo, -1
; %bb.9507:                             ;   in Loop: Header=BB6_7994 Depth=3
	s_or_b32 exec_lo, exec_lo, s72
	s_and_b32 s23, s23, exec_lo
                                        ; implicit-def: $vgpr81
	s_or_saveexec_b32 s16, s16
	v_mov_b32_e32 v37, 0x7f800001
	s_xor_b32 exec_lo, exec_lo, s16
	s_cbranch_execnz .LBB6_10427
.LBB6_9508:                             ;   in Loop: Header=BB6_7994 Depth=3
	s_or_b32 exec_lo, exec_lo, s16
	s_and_saveexec_b32 s16, s23
	s_cbranch_execz .LBB6_9510
.LBB6_9509:                             ;   in Loop: Header=BB6_7994 Depth=3
	v_bfe_u32 v37, v19, 16, 2
	v_bfe_u32 v81, v19, 18, 5
	v_ffbh_u32_e32 v101, v37
	v_cmp_eq_u32_e32 vcc_lo, 0, v81
	v_min_u32_e32 v101, 32, v101
	v_subrev_nc_u32_e32 v113, 29, v101
	v_sub_nc_u32_e32 v101, 30, v101
	v_lshlrev_b32_sdwa v113, v113, v19 dst_sel:DWORD dst_unused:UNUSED_PAD src0_sel:DWORD src1_sel:WORD_1
	v_cndmask_b32_e32 v81, v81, v101, vcc_lo
	v_lshlrev_b32_e32 v101, 8, v19
	v_and_b32_e32 v113, 3, v113
	v_lshl_add_u32 v81, v81, 23, 0x37800000
	v_and_b32_e32 v101, 0x80000000, v101
	v_cndmask_b32_e32 v37, v37, v113, vcc_lo
	v_lshlrev_b32_e32 v37, 21, v37
	v_or3_b32 v37, v101, v81, v37
.LBB6_9510:                             ;   in Loop: Header=BB6_7994 Depth=3
	s_or_b32 exec_lo, exec_lo, s16
	v_add_f32_e32 v7, v7, v37
	v_and_b32_e32 v37, 0x7f800000, v7
	v_cmp_ne_u32_e32 vcc_lo, 0x7f800000, v37
	v_mov_b32_e32 v37, 0x80
	s_and_saveexec_b32 s23, vcc_lo
	s_cbranch_execz .LBB6_9518
; %bb.9511:                             ;   in Loop: Header=BB6_7994 Depth=3
	v_mov_b32_e32 v37, 0
	s_mov_b32 s72, exec_lo
	v_cmpx_ne_u32_e32 0, v7
	s_cbranch_execz .LBB6_9517
; %bb.9512:                             ;   in Loop: Header=BB6_7994 Depth=3
	v_bfe_u32 v81, v7, 23, 8
	v_and_b32_e32 v37, 0x7fffff, v7
	v_cmp_gt_u32_e64 s16, 0x71, v81
	v_sub_nc_u32_e32 v101, 0x70, v81
	v_cmp_eq_u32_e32 vcc_lo, 0, v81
	v_or_b32_e32 v113, 0x800000, v37
	v_cndmask_b32_e64 v101, 0, v101, s16
	v_cndmask_b32_e32 v37, v113, v37, vcc_lo
	v_cndmask_b32_e64 v101, v101, 0x6f, vcc_lo
	v_lshl_add_u32 v113, 0x200000, v101, -1
	v_lshlrev_b32_e64 v42, v101, 0x100000
	v_and_b32_e32 v113, v113, v37
	v_cmp_eq_u32_e64 s16, v113, v42
	v_lshrrev_b32_e32 v113, v101, v37
	v_add_nc_u32_e32 v37, 0xffffff91, v81
	v_lshrrev_b32_e32 v81, 23, v113
	v_cndmask_b32_e64 v37, v37, 0xffffff92, vcc_lo
	v_xor_b32_e32 v81, 1, v81
	v_add_nc_u32_e32 v37, v101, v37
	v_bfe_u32 v101, v113, 21, 1
	v_add_nc_u32_e32 v101, -1, v101
	v_cndmask_b32_e64 v101, 0, v101, s16
	s_mov_b32 s16, exec_lo
	v_add_nc_u32_e32 v101, v101, v113
	v_and_b32_e32 v101, 0x1fffff, v101
	v_add_nc_u32_e32 v101, v101, v113
                                        ; implicit-def: $vgpr113
	v_cmpx_ne_u32_e64 v37, v81
	s_xor_b32 s16, exec_lo, s16
; %bb.9513:                             ;   in Loop: Header=BB6_7994 Depth=3
	v_cmp_lt_u32_e32 vcc_lo, 0xffffff, v101
	v_sub_nc_u32_e32 v37, v37, v81
	v_cndmask_b32_e64 v81, 0, 1, vcc_lo
	v_add_co_ci_u32_e64 v113, null, 0, v37, vcc_lo
	v_lshrrev_b32_e32 v101, v81, v101
; %bb.9514:                             ;   in Loop: Header=BB6_7994 Depth=3
	s_andn2_saveexec_b32 s16, s16
; %bb.9515:                             ;   in Loop: Header=BB6_7994 Depth=3
	v_bfe_u32 v113, v101, 23, 1
; %bb.9516:                             ;   in Loop: Header=BB6_7994 Depth=3
	s_or_b32 exec_lo, exec_lo, s16
	v_lshrrev_b32_e32 v37, 21, v101
	v_min_i32_e32 v81, 31, v113
	v_cmp_gt_i32_e32 vcc_lo, 32, v113
	v_and_b32_sdwa v7, v7, v117 dst_sel:DWORD dst_unused:UNUSED_PAD src0_sel:BYTE_3 src1_sel:DWORD
	v_lshlrev_b32_e32 v81, 2, v81
	v_cndmask_b32_e32 v37, 3, v37, vcc_lo
	v_and_b32_e32 v81, 0xfc, v81
	v_or_b32_e32 v101, v113, v37
	v_and_b32_e32 v37, 3, v37
	v_cmp_ne_u32_e32 vcc_lo, 0, v101
	v_or3_b32 v7, v81, v7, v37
	v_cndmask_b32_e32 v37, 0, v7, vcc_lo
.LBB6_9517:                             ;   in Loop: Header=BB6_7994 Depth=3
	s_or_b32 exec_lo, exec_lo, s72
.LBB6_9518:                             ;   in Loop: Header=BB6_7994 Depth=3
	s_or_b32 exec_lo, exec_lo, s23
	v_cmp_gt_i16_sdwa s23, v6, v116 src0_sel:BYTE_3 src1_sel:DWORD
	s_mov_b32 s16, 0
	s_and_saveexec_b32 s72, s23
	s_xor_b32 s23, exec_lo, s72
	s_cbranch_execz .LBB6_10428
; %bb.9519:                             ;   in Loop: Header=BB6_7994 Depth=3
	v_cmp_eq_u16_sdwa s73, v6, v117 src0_sel:BYTE_3 src1_sel:DWORD
	s_mov_b32 s16, -1
	s_and_saveexec_b32 s72, s73
; %bb.9520:                             ;   in Loop: Header=BB6_7994 Depth=3
	s_xor_b32 s16, exec_lo, -1
; %bb.9521:                             ;   in Loop: Header=BB6_7994 Depth=3
	s_or_b32 exec_lo, exec_lo, s72
	s_and_b32 s16, s16, exec_lo
	s_or_saveexec_b32 s23, s23
	v_mov_b32_e32 v7, 0x7f800001
	s_xor_b32 exec_lo, exec_lo, s23
	s_cbranch_execnz .LBB6_10429
.LBB6_9522:                             ;   in Loop: Header=BB6_7994 Depth=3
	s_or_b32 exec_lo, exec_lo, s23
	s_and_saveexec_b32 s23, s16
	s_cbranch_execz .LBB6_9524
.LBB6_9523:                             ;   in Loop: Header=BB6_7994 Depth=3
	v_bfe_u32 v7, v6, 24, 2
	v_bfe_u32 v113, v6, 26, 5
	v_ffbh_u32_e32 v81, v7
	v_cmp_eq_u32_e32 vcc_lo, 0, v113
	v_min_u32_e32 v81, 32, v81
	v_subrev_nc_u32_e32 v101, 29, v81
	v_sub_nc_u32_e32 v81, 30, v81
	v_lshlrev_b32_sdwa v101, v101, v6 dst_sel:DWORD dst_unused:UNUSED_PAD src0_sel:DWORD src1_sel:BYTE_3
	v_cndmask_b32_e32 v81, v113, v81, vcc_lo
	v_and_b32_e32 v6, 0x80000000, v6
	v_and_b32_e32 v101, 3, v101
	v_lshl_add_u32 v81, v81, 23, 0x37800000
	v_cndmask_b32_e32 v7, v7, v101, vcc_lo
	v_lshlrev_b32_e32 v7, 21, v7
	v_or3_b32 v7, v6, v81, v7
.LBB6_9524:                             ;   in Loop: Header=BB6_7994 Depth=3
	s_or_b32 exec_lo, exec_lo, s23
	v_cmp_gt_i16_sdwa s23, v19, v116 src0_sel:BYTE_3 src1_sel:DWORD
	s_mov_b32 s16, 0
	s_and_saveexec_b32 s72, s23
	s_xor_b32 s23, exec_lo, s72
	s_cbranch_execz .LBB6_10430
; %bb.9525:                             ;   in Loop: Header=BB6_7994 Depth=3
	v_cmp_eq_u16_sdwa s73, v19, v117 src0_sel:BYTE_3 src1_sel:DWORD
	s_mov_b32 s16, -1
	s_and_saveexec_b32 s72, s73
; %bb.9526:                             ;   in Loop: Header=BB6_7994 Depth=3
	s_xor_b32 s16, exec_lo, -1
; %bb.9527:                             ;   in Loop: Header=BB6_7994 Depth=3
	s_or_b32 exec_lo, exec_lo, s72
	s_and_b32 s16, s16, exec_lo
	s_or_saveexec_b32 s23, s23
	v_mov_b32_e32 v6, 0x7f800001
	s_xor_b32 exec_lo, exec_lo, s23
	s_cbranch_execnz .LBB6_10431
.LBB6_9528:                             ;   in Loop: Header=BB6_7994 Depth=3
	s_or_b32 exec_lo, exec_lo, s23
	s_and_saveexec_b32 s23, s16
	s_cbranch_execz .LBB6_9530
.LBB6_9529:                             ;   in Loop: Header=BB6_7994 Depth=3
	v_bfe_u32 v6, v19, 24, 2
	v_bfe_u32 v113, v19, 26, 5
	v_ffbh_u32_e32 v81, v6
	v_cmp_eq_u32_e32 vcc_lo, 0, v113
	v_min_u32_e32 v81, 32, v81
	v_subrev_nc_u32_e32 v101, 29, v81
	v_sub_nc_u32_e32 v81, 30, v81
	v_lshlrev_b32_sdwa v101, v101, v19 dst_sel:DWORD dst_unused:UNUSED_PAD src0_sel:DWORD src1_sel:BYTE_3
	v_cndmask_b32_e32 v81, v113, v81, vcc_lo
	v_and_b32_e32 v19, 0x80000000, v19
	v_and_b32_e32 v101, 3, v101
	v_lshl_add_u32 v81, v81, 23, 0x37800000
	v_cndmask_b32_e32 v6, v6, v101, vcc_lo
	v_lshlrev_b32_e32 v6, 21, v6
	v_or3_b32 v6, v19, v81, v6
.LBB6_9530:                             ;   in Loop: Header=BB6_7994 Depth=3
	s_or_b32 exec_lo, exec_lo, s23
	v_add_f32_e32 v7, v7, v6
	v_and_b32_e32 v6, 0x7f800000, v7
	v_cmp_ne_u32_e32 vcc_lo, 0x7f800000, v6
	v_mov_b32_e32 v6, 0x8000
	s_and_saveexec_b32 s23, vcc_lo
	s_cbranch_execz .LBB6_9538
; %bb.9531:                             ;   in Loop: Header=BB6_7994 Depth=3
	v_mov_b32_e32 v6, 0
	s_mov_b32 s72, exec_lo
	v_cmpx_ne_u32_e32 0, v7
	s_cbranch_execz .LBB6_9537
; %bb.9532:                             ;   in Loop: Header=BB6_7994 Depth=3
	v_bfe_u32 v19, v7, 23, 8
	v_and_b32_e32 v6, 0x7fffff, v7
	v_cmp_gt_u32_e64 s16, 0x71, v19
	v_sub_nc_u32_e32 v81, 0x70, v19
	v_cmp_eq_u32_e32 vcc_lo, 0, v19
	v_or_b32_e32 v101, 0x800000, v6
	v_cndmask_b32_e64 v81, 0, v81, s16
	v_cndmask_b32_e32 v6, v101, v6, vcc_lo
	v_cndmask_b32_e64 v81, v81, 0x6f, vcc_lo
	v_lshl_add_u32 v101, 0x200000, v81, -1
	v_lshlrev_b32_e64 v113, v81, 0x100000
	v_and_b32_e32 v101, v101, v6
	v_cmp_eq_u32_e64 s16, v101, v113
	v_lshrrev_b32_e32 v101, v81, v6
	v_add_nc_u32_e32 v6, 0xffffff91, v19
	v_lshrrev_b32_e32 v19, 23, v101
	v_cndmask_b32_e64 v6, v6, 0xffffff92, vcc_lo
	v_xor_b32_e32 v19, 1, v19
	v_add_nc_u32_e32 v6, v81, v6
	v_bfe_u32 v81, v101, 21, 1
	v_add_nc_u32_e32 v81, -1, v81
	v_cndmask_b32_e64 v81, 0, v81, s16
	s_mov_b32 s16, exec_lo
	v_add_nc_u32_e32 v81, v81, v101
	v_and_b32_e32 v81, 0x1fffff, v81
	v_add_nc_u32_e32 v81, v81, v101
                                        ; implicit-def: $vgpr101
	v_cmpx_ne_u32_e64 v6, v19
	s_xor_b32 s16, exec_lo, s16
; %bb.9533:                             ;   in Loop: Header=BB6_7994 Depth=3
	v_cmp_lt_u32_e32 vcc_lo, 0xffffff, v81
	v_sub_nc_u32_e32 v6, v6, v19
	v_cndmask_b32_e64 v19, 0, 1, vcc_lo
	v_add_co_ci_u32_e64 v101, null, 0, v6, vcc_lo
	v_lshrrev_b32_e32 v81, v19, v81
; %bb.9534:                             ;   in Loop: Header=BB6_7994 Depth=3
	s_andn2_saveexec_b32 s16, s16
; %bb.9535:                             ;   in Loop: Header=BB6_7994 Depth=3
	v_bfe_u32 v101, v81, 23, 1
; %bb.9536:                             ;   in Loop: Header=BB6_7994 Depth=3
	s_or_b32 exec_lo, exec_lo, s16
	v_and_b32_sdwa v6, v7, v117 dst_sel:DWORD dst_unused:UNUSED_PAD src0_sel:BYTE_3 src1_sel:DWORD
	v_lshrrev_b32_e32 v7, 21, v81
	v_min_i32_e32 v19, 31, v101
	v_cmp_gt_i32_e32 vcc_lo, 32, v101
	v_lshlrev_b32_e32 v19, 2, v19
	v_cndmask_b32_e32 v7, 3, v7, vcc_lo
	v_and_b32_e32 v19, 0xfc, v19
	v_or_b32_e32 v81, v101, v7
	v_and_b32_e32 v7, 3, v7
	v_cmp_ne_u32_e32 vcc_lo, 0, v81
	v_or3_b32 v6, v6, v19, v7
	v_lshlrev_b32_e32 v6, 8, v6
	v_cndmask_b32_e32 v6, 0, v6, vcc_lo
.LBB6_9537:                             ;   in Loop: Header=BB6_7994 Depth=3
	s_or_b32 exec_lo, exec_lo, s72
.LBB6_9538:                             ;   in Loop: Header=BB6_7994 Depth=3
	s_or_b32 exec_lo, exec_lo, s23
	v_or_b32_e32 v81, v88, v124
	s_mov_b32 s23, 0
	v_cmp_gt_i16_sdwa s16, v81, v116 src0_sel:BYTE_0 src1_sel:DWORD
	s_and_saveexec_b32 s72, s16
	s_xor_b32 s16, exec_lo, s72
	s_cbranch_execz .LBB6_10432
; %bb.9539:                             ;   in Loop: Header=BB6_7994 Depth=3
	v_cmp_eq_u16_sdwa s73, v81, v117 src0_sel:BYTE_0 src1_sel:DWORD
	s_mov_b32 s23, -1
	s_and_saveexec_b32 s72, s73
; %bb.9540:                             ;   in Loop: Header=BB6_7994 Depth=3
	s_xor_b32 s23, exec_lo, -1
; %bb.9541:                             ;   in Loop: Header=BB6_7994 Depth=3
	s_or_b32 exec_lo, exec_lo, s72
	s_and_b32 s23, s23, exec_lo
	s_or_saveexec_b32 s16, s16
	v_mov_b32_e32 v7, 0x7f800001
	s_xor_b32 exec_lo, exec_lo, s16
	s_cbranch_execnz .LBB6_10433
.LBB6_9542:                             ;   in Loop: Header=BB6_7994 Depth=3
	s_or_b32 exec_lo, exec_lo, s16
	s_and_saveexec_b32 s16, s23
	s_cbranch_execz .LBB6_9544
.LBB6_9543:                             ;   in Loop: Header=BB6_7994 Depth=3
	v_and_b32_e32 v7, 3, v81
	v_bfe_u32 v19, v81, 2, 5
	v_ffbh_u32_e32 v101, v7
	v_cmp_eq_u32_e32 vcc_lo, 0, v19
	v_min_u32_e32 v101, 32, v101
	v_subrev_nc_u32_e32 v113, 29, v101
	v_sub_nc_u32_e32 v101, 30, v101
	v_lshlrev_b32_e32 v113, v113, v81
	v_cndmask_b32_e32 v19, v19, v101, vcc_lo
	v_lshlrev_b32_e32 v101, 24, v81
	v_and_b32_e32 v113, 3, v113
	v_lshl_add_u32 v19, v19, 23, 0x37800000
	v_and_b32_e32 v101, 0x80000000, v101
	v_cndmask_b32_e32 v7, v7, v113, vcc_lo
	v_lshlrev_b32_e32 v7, 21, v7
	v_or3_b32 v7, v101, v19, v7
.LBB6_9544:                             ;   in Loop: Header=BB6_7994 Depth=3
	s_or_b32 exec_lo, exec_lo, s16
	s_waitcnt vmcnt(1)
	v_cmp_gt_i16_sdwa s16, v12, v116 src0_sel:BYTE_0 src1_sel:DWORD
	s_mov_b32 s23, 0
	s_and_saveexec_b32 s72, s16
	s_xor_b32 s16, exec_lo, s72
	s_cbranch_execz .LBB6_10434
; %bb.9545:                             ;   in Loop: Header=BB6_7994 Depth=3
	v_cmp_eq_u16_sdwa s73, v12, v117 src0_sel:BYTE_0 src1_sel:DWORD
	s_mov_b32 s23, -1
	s_and_saveexec_b32 s72, s73
; %bb.9546:                             ;   in Loop: Header=BB6_7994 Depth=3
	s_xor_b32 s23, exec_lo, -1
; %bb.9547:                             ;   in Loop: Header=BB6_7994 Depth=3
	s_or_b32 exec_lo, exec_lo, s72
	s_and_b32 s23, s23, exec_lo
	s_or_saveexec_b32 s16, s16
	v_mov_b32_e32 v19, 0x7f800001
	s_xor_b32 exec_lo, exec_lo, s16
	s_cbranch_execnz .LBB6_10435
.LBB6_9548:                             ;   in Loop: Header=BB6_7994 Depth=3
	s_or_b32 exec_lo, exec_lo, s16
	s_and_saveexec_b32 s16, s23
	s_cbranch_execz .LBB6_9550
.LBB6_9549:                             ;   in Loop: Header=BB6_7994 Depth=3
	v_and_b32_e32 v19, 3, v12
	v_bfe_u32 v101, v12, 2, 5
	v_ffbh_u32_e32 v113, v19
	v_cmp_eq_u32_e32 vcc_lo, 0, v101
	v_min_u32_e32 v113, 32, v113
	v_subrev_nc_u32_e32 v42, 29, v113
	v_sub_nc_u32_e32 v113, 30, v113
	v_lshlrev_b32_e32 v42, v42, v12
	v_cndmask_b32_e32 v101, v101, v113, vcc_lo
	v_lshlrev_b32_e32 v113, 24, v12
	v_and_b32_e32 v42, 3, v42
	v_lshl_add_u32 v101, v101, 23, 0x37800000
	v_and_b32_e32 v113, 0x80000000, v113
	v_cndmask_b32_e32 v19, v19, v42, vcc_lo
	v_lshlrev_b32_e32 v19, 21, v19
	v_or3_b32 v19, v113, v101, v19
.LBB6_9550:                             ;   in Loop: Header=BB6_7994 Depth=3
	s_or_b32 exec_lo, exec_lo, s16
	v_add_f32_e32 v19, v7, v19
	v_and_b32_e32 v7, 0x7f800000, v19
	v_cmp_ne_u32_e32 vcc_lo, 0x7f800000, v7
	v_mov_b32_e32 v7, 0x80
	s_and_saveexec_b32 s23, vcc_lo
	s_cbranch_execz .LBB6_9558
; %bb.9551:                             ;   in Loop: Header=BB6_7994 Depth=3
	v_mov_b32_e32 v7, 0
	s_mov_b32 s72, exec_lo
	v_cmpx_ne_u32_e32 0, v19
	s_cbranch_execz .LBB6_9557
; %bb.9552:                             ;   in Loop: Header=BB6_7994 Depth=3
	v_bfe_u32 v101, v19, 23, 8
	v_and_b32_e32 v7, 0x7fffff, v19
	v_cmp_gt_u32_e64 s16, 0x71, v101
	v_sub_nc_u32_e32 v113, 0x70, v101
	v_cmp_eq_u32_e32 vcc_lo, 0, v101
	v_or_b32_e32 v42, 0x800000, v7
	v_cndmask_b32_e64 v113, 0, v113, s16
	v_cndmask_b32_e32 v7, v42, v7, vcc_lo
	v_cndmask_b32_e64 v113, v113, 0x6f, vcc_lo
	v_lshl_add_u32 v42, 0x200000, v113, -1
	v_lshlrev_b32_e64 v45, v113, 0x100000
	v_and_b32_e32 v42, v42, v7
	v_cmp_eq_u32_e64 s16, v42, v45
	v_lshrrev_b32_e32 v42, v113, v7
	v_add_nc_u32_e32 v7, 0xffffff91, v101
	v_lshrrev_b32_e32 v101, 23, v42
	v_cndmask_b32_e64 v7, v7, 0xffffff92, vcc_lo
	v_xor_b32_e32 v101, 1, v101
	v_add_nc_u32_e32 v7, v113, v7
	v_bfe_u32 v113, v42, 21, 1
	v_add_nc_u32_e32 v113, -1, v113
	v_cndmask_b32_e64 v113, 0, v113, s16
	s_mov_b32 s16, exec_lo
	v_add_nc_u32_e32 v113, v113, v42
	v_and_b32_e32 v113, 0x1fffff, v113
	v_add_nc_u32_e32 v113, v113, v42
                                        ; implicit-def: $vgpr42
	v_cmpx_ne_u32_e64 v7, v101
	s_xor_b32 s16, exec_lo, s16
; %bb.9553:                             ;   in Loop: Header=BB6_7994 Depth=3
	v_cmp_lt_u32_e32 vcc_lo, 0xffffff, v113
	v_sub_nc_u32_e32 v7, v7, v101
	v_cndmask_b32_e64 v101, 0, 1, vcc_lo
	v_add_co_ci_u32_e64 v42, null, 0, v7, vcc_lo
	v_lshrrev_b32_e32 v113, v101, v113
; %bb.9554:                             ;   in Loop: Header=BB6_7994 Depth=3
	s_andn2_saveexec_b32 s16, s16
; %bb.9555:                             ;   in Loop: Header=BB6_7994 Depth=3
	v_bfe_u32 v42, v113, 23, 1
; %bb.9556:                             ;   in Loop: Header=BB6_7994 Depth=3
	s_or_b32 exec_lo, exec_lo, s16
	v_and_b32_sdwa v7, v19, v117 dst_sel:DWORD dst_unused:UNUSED_PAD src0_sel:BYTE_3 src1_sel:DWORD
	v_lshrrev_b32_e32 v19, 21, v113
	v_min_i32_e32 v101, 31, v42
	v_cmp_gt_i32_e32 vcc_lo, 32, v42
	v_lshlrev_b32_e32 v101, 2, v101
	v_cndmask_b32_e32 v19, 3, v19, vcc_lo
	v_and_b32_e32 v101, 0xfc, v101
	v_or_b32_e32 v113, v42, v19
	v_and_b32_e32 v19, 3, v19
	v_cmp_ne_u32_e32 vcc_lo, 0, v113
	v_or3_b32 v7, v101, v7, v19
	v_cndmask_b32_e32 v7, 0, v7, vcc_lo
.LBB6_9557:                             ;   in Loop: Header=BB6_7994 Depth=3
	s_or_b32 exec_lo, exec_lo, s72
.LBB6_9558:                             ;   in Loop: Header=BB6_7994 Depth=3
	s_or_b32 exec_lo, exec_lo, s23
	v_cmp_gt_i16_sdwa s23, v81, v116 src0_sel:BYTE_1 src1_sel:DWORD
	s_mov_b32 s16, 0
	s_and_saveexec_b32 s72, s23
	s_xor_b32 s23, exec_lo, s72
	s_cbranch_execz .LBB6_10436
; %bb.9559:                             ;   in Loop: Header=BB6_7994 Depth=3
	v_cmp_eq_u16_sdwa s73, v81, v117 src0_sel:BYTE_1 src1_sel:DWORD
	s_mov_b32 s16, -1
	s_and_saveexec_b32 s72, s73
; %bb.9560:                             ;   in Loop: Header=BB6_7994 Depth=3
	s_xor_b32 s16, exec_lo, -1
; %bb.9561:                             ;   in Loop: Header=BB6_7994 Depth=3
	s_or_b32 exec_lo, exec_lo, s72
	s_and_b32 s16, s16, exec_lo
	s_or_saveexec_b32 s23, s23
	v_mov_b32_e32 v19, 0x7f800001
	s_xor_b32 exec_lo, exec_lo, s23
	s_cbranch_execnz .LBB6_10437
.LBB6_9562:                             ;   in Loop: Header=BB6_7994 Depth=3
	s_or_b32 exec_lo, exec_lo, s23
	s_and_saveexec_b32 s23, s16
	s_cbranch_execz .LBB6_9564
.LBB6_9563:                             ;   in Loop: Header=BB6_7994 Depth=3
	v_and_b32_sdwa v19, v118, v81 dst_sel:DWORD dst_unused:UNUSED_PAD src0_sel:DWORD src1_sel:BYTE_1
	v_and_b32_e32 v101, 3, v19
	v_bfe_u32 v45, v19, 2, 5
	v_ffbh_u32_e32 v113, v101
	v_cmp_eq_u32_e32 vcc_lo, 0, v45
	v_min_u32_e32 v113, 32, v113
	v_subrev_nc_u32_e32 v42, 29, v113
	v_sub_nc_u32_e32 v113, 30, v113
	v_lshlrev_b32_e32 v19, v42, v19
	v_lshlrev_b32_sdwa v42, v119, v81 dst_sel:DWORD dst_unused:UNUSED_PAD src0_sel:DWORD src1_sel:BYTE_1
	v_cndmask_b32_e32 v113, v45, v113, vcc_lo
	v_and_b32_e32 v19, 3, v19
	v_lshl_add_u32 v113, v113, 23, 0x37800000
	v_cndmask_b32_e32 v19, v101, v19, vcc_lo
	v_and_b32_e32 v101, 0x80000000, v42
	v_lshlrev_b32_e32 v19, 21, v19
	v_or3_b32 v19, v101, v113, v19
.LBB6_9564:                             ;   in Loop: Header=BB6_7994 Depth=3
	s_or_b32 exec_lo, exec_lo, s23
	v_cmp_gt_i16_sdwa s23, v12, v116 src0_sel:BYTE_1 src1_sel:DWORD
	s_mov_b32 s16, 0
	s_and_saveexec_b32 s72, s23
	s_xor_b32 s23, exec_lo, s72
	s_cbranch_execz .LBB6_10438
; %bb.9565:                             ;   in Loop: Header=BB6_7994 Depth=3
	v_cmp_eq_u16_sdwa s73, v12, v117 src0_sel:BYTE_1 src1_sel:DWORD
	s_mov_b32 s16, -1
	s_and_saveexec_b32 s72, s73
; %bb.9566:                             ;   in Loop: Header=BB6_7994 Depth=3
	s_xor_b32 s16, exec_lo, -1
; %bb.9567:                             ;   in Loop: Header=BB6_7994 Depth=3
	s_or_b32 exec_lo, exec_lo, s72
	s_and_b32 s16, s16, exec_lo
	s_or_saveexec_b32 s23, s23
	v_mov_b32_e32 v101, 0x7f800001
	s_xor_b32 exec_lo, exec_lo, s23
	s_cbranch_execnz .LBB6_10439
.LBB6_9568:                             ;   in Loop: Header=BB6_7994 Depth=3
	s_or_b32 exec_lo, exec_lo, s23
	s_and_saveexec_b32 s23, s16
	s_cbranch_execz .LBB6_9570
.LBB6_9569:                             ;   in Loop: Header=BB6_7994 Depth=3
	v_and_b32_sdwa v101, v118, v12 dst_sel:DWORD dst_unused:UNUSED_PAD src0_sel:DWORD src1_sel:BYTE_1
	v_and_b32_e32 v113, 3, v101
	v_bfe_u32 v57, v101, 2, 5
	v_ffbh_u32_e32 v42, v113
	v_cmp_eq_u32_e32 vcc_lo, 0, v57
	v_min_u32_e32 v42, 32, v42
	v_subrev_nc_u32_e32 v45, 29, v42
	v_sub_nc_u32_e32 v42, 30, v42
	v_lshlrev_b32_e32 v101, v45, v101
	v_lshlrev_b32_sdwa v45, v119, v12 dst_sel:DWORD dst_unused:UNUSED_PAD src0_sel:DWORD src1_sel:BYTE_1
	v_cndmask_b32_e32 v42, v57, v42, vcc_lo
	v_and_b32_e32 v101, 3, v101
	v_lshl_add_u32 v42, v42, 23, 0x37800000
	v_cndmask_b32_e32 v101, v113, v101, vcc_lo
	v_and_b32_e32 v113, 0x80000000, v45
	v_lshlrev_b32_e32 v101, 21, v101
	v_or3_b32 v101, v113, v42, v101
.LBB6_9570:                             ;   in Loop: Header=BB6_7994 Depth=3
	s_or_b32 exec_lo, exec_lo, s23
	v_add_f32_e32 v101, v19, v101
	v_and_b32_e32 v19, 0x7f800000, v101
	v_cmp_ne_u32_e32 vcc_lo, 0x7f800000, v19
	v_mov_b32_e32 v19, 0x8000
	s_and_saveexec_b32 s23, vcc_lo
	s_cbranch_execz .LBB6_9578
; %bb.9571:                             ;   in Loop: Header=BB6_7994 Depth=3
	v_mov_b32_e32 v19, 0
	s_mov_b32 s72, exec_lo
	v_cmpx_ne_u32_e32 0, v101
	s_cbranch_execz .LBB6_9577
; %bb.9572:                             ;   in Loop: Header=BB6_7994 Depth=3
	v_bfe_u32 v113, v101, 23, 8
	v_and_b32_e32 v19, 0x7fffff, v101
	v_cmp_gt_u32_e64 s16, 0x71, v113
	v_sub_nc_u32_e32 v42, 0x70, v113
	v_cmp_eq_u32_e32 vcc_lo, 0, v113
	v_or_b32_e32 v45, 0x800000, v19
	v_cndmask_b32_e64 v42, 0, v42, s16
	v_cndmask_b32_e32 v19, v45, v19, vcc_lo
	v_cndmask_b32_e64 v42, v42, 0x6f, vcc_lo
	v_lshl_add_u32 v45, 0x200000, v42, -1
	v_lshlrev_b32_e64 v57, v42, 0x100000
	v_and_b32_e32 v45, v45, v19
	v_cmp_eq_u32_e64 s16, v45, v57
	v_lshrrev_b32_e32 v45, v42, v19
	v_add_nc_u32_e32 v19, 0xffffff91, v113
	v_lshrrev_b32_e32 v113, 23, v45
	v_cndmask_b32_e64 v19, v19, 0xffffff92, vcc_lo
	v_xor_b32_e32 v113, 1, v113
	v_add_nc_u32_e32 v19, v42, v19
	v_bfe_u32 v42, v45, 21, 1
	v_add_nc_u32_e32 v42, -1, v42
	v_cndmask_b32_e64 v42, 0, v42, s16
	s_mov_b32 s16, exec_lo
	v_add_nc_u32_e32 v42, v42, v45
	v_and_b32_e32 v42, 0x1fffff, v42
	v_add_nc_u32_e32 v42, v42, v45
                                        ; implicit-def: $vgpr45
	v_cmpx_ne_u32_e64 v19, v113
	s_xor_b32 s16, exec_lo, s16
; %bb.9573:                             ;   in Loop: Header=BB6_7994 Depth=3
	v_cmp_lt_u32_e32 vcc_lo, 0xffffff, v42
	v_sub_nc_u32_e32 v19, v19, v113
	v_cndmask_b32_e64 v113, 0, 1, vcc_lo
	v_add_co_ci_u32_e64 v45, null, 0, v19, vcc_lo
	v_lshrrev_b32_e32 v42, v113, v42
; %bb.9574:                             ;   in Loop: Header=BB6_7994 Depth=3
	s_andn2_saveexec_b32 s16, s16
; %bb.9575:                             ;   in Loop: Header=BB6_7994 Depth=3
	v_bfe_u32 v45, v42, 23, 1
; %bb.9576:                             ;   in Loop: Header=BB6_7994 Depth=3
	s_or_b32 exec_lo, exec_lo, s16
	v_and_b32_sdwa v19, v101, v117 dst_sel:DWORD dst_unused:UNUSED_PAD src0_sel:BYTE_3 src1_sel:DWORD
	v_lshrrev_b32_e32 v101, 21, v42
	v_min_i32_e32 v113, 31, v45
	v_cmp_gt_i32_e32 vcc_lo, 32, v45
	v_lshlrev_b32_e32 v113, 2, v113
	v_cndmask_b32_e32 v101, 3, v101, vcc_lo
	v_and_b32_e32 v113, 0xfc, v113
	v_or_b32_e32 v42, v45, v101
	v_and_b32_e32 v101, 3, v101
	v_cmp_ne_u32_e32 vcc_lo, 0, v42
	v_or3_b32 v19, v19, v113, v101
	v_lshlrev_b32_e32 v19, 8, v19
	v_cndmask_b32_e32 v19, 0, v19, vcc_lo
.LBB6_9577:                             ;   in Loop: Header=BB6_7994 Depth=3
	s_or_b32 exec_lo, exec_lo, s72
.LBB6_9578:                             ;   in Loop: Header=BB6_7994 Depth=3
	s_or_b32 exec_lo, exec_lo, s23
	v_or_b32_e32 v101, v126, v123
	s_mov_b32 s23, 0
	v_cmp_gt_i16_sdwa s16, v101, v116 src0_sel:BYTE_0 src1_sel:DWORD
	s_and_saveexec_b32 s72, s16
	s_xor_b32 s16, exec_lo, s72
	s_cbranch_execz .LBB6_10440
; %bb.9579:                             ;   in Loop: Header=BB6_7994 Depth=3
	v_cmp_eq_u16_sdwa s73, v101, v117 src0_sel:BYTE_0 src1_sel:DWORD
	s_mov_b32 s23, -1
	s_and_saveexec_b32 s72, s73
; %bb.9580:                             ;   in Loop: Header=BB6_7994 Depth=3
	s_xor_b32 s23, exec_lo, -1
; %bb.9581:                             ;   in Loop: Header=BB6_7994 Depth=3
	s_or_b32 exec_lo, exec_lo, s72
	s_and_b32 s23, s23, exec_lo
	s_or_saveexec_b32 s16, s16
	v_mov_b32_e32 v113, 0x7f800001
	s_xor_b32 exec_lo, exec_lo, s16
	s_cbranch_execnz .LBB6_10441
.LBB6_9582:                             ;   in Loop: Header=BB6_7994 Depth=3
	s_or_b32 exec_lo, exec_lo, s16
	v_lshl_or_b32 v101, v101, 16, v81
	s_and_saveexec_b32 s16, s23
	s_cbranch_execz .LBB6_9584
.LBB6_9583:                             ;   in Loop: Header=BB6_7994 Depth=3
	v_bfe_u32 v81, v101, 16, 2
	v_bfe_u32 v113, v101, 18, 5
	v_ffbh_u32_e32 v42, v81
	v_cmp_eq_u32_e32 vcc_lo, 0, v113
	v_min_u32_e32 v42, 32, v42
	v_subrev_nc_u32_e32 v45, 29, v42
	v_sub_nc_u32_e32 v42, 30, v42
	v_lshlrev_b32_sdwa v45, v45, v101 dst_sel:DWORD dst_unused:UNUSED_PAD src0_sel:DWORD src1_sel:WORD_1
	v_cndmask_b32_e32 v113, v113, v42, vcc_lo
	v_lshlrev_b32_e32 v42, 8, v101
	v_and_b32_e32 v45, 3, v45
	v_lshl_add_u32 v113, v113, 23, 0x37800000
	v_and_b32_e32 v42, 0x80000000, v42
	v_cndmask_b32_e32 v81, v81, v45, vcc_lo
	v_lshlrev_b32_e32 v81, 21, v81
	v_or3_b32 v113, v42, v113, v81
.LBB6_9584:                             ;   in Loop: Header=BB6_7994 Depth=3
	s_or_b32 exec_lo, exec_lo, s16
	v_and_b32_sdwa v42, v12, v40 dst_sel:DWORD dst_unused:UNUSED_PAD src0_sel:WORD_1 src1_sel:DWORD
	s_mov_b32 s23, 0
	s_mov_b32 s16, exec_lo
	v_cmpx_lt_i16_e32 0x7f, v42
	s_xor_b32 s16, exec_lo, s16
	s_cbranch_execz .LBB6_10442
; %bb.9585:                             ;   in Loop: Header=BB6_7994 Depth=3
	s_mov_b32 s23, -1
	s_mov_b32 s72, exec_lo
	v_cmpx_eq_u16_e32 0x80, v42
; %bb.9586:                             ;   in Loop: Header=BB6_7994 Depth=3
	s_xor_b32 s23, exec_lo, -1
; %bb.9587:                             ;   in Loop: Header=BB6_7994 Depth=3
	s_or_b32 exec_lo, exec_lo, s72
	s_and_b32 s23, s23, exec_lo
                                        ; implicit-def: $vgpr42
	s_or_saveexec_b32 s16, s16
	v_mov_b32_e32 v81, 0x7f800001
	s_xor_b32 exec_lo, exec_lo, s16
	s_cbranch_execnz .LBB6_10443
.LBB6_9588:                             ;   in Loop: Header=BB6_7994 Depth=3
	s_or_b32 exec_lo, exec_lo, s16
	s_and_saveexec_b32 s16, s23
	s_cbranch_execz .LBB6_9590
.LBB6_9589:                             ;   in Loop: Header=BB6_7994 Depth=3
	v_bfe_u32 v81, v12, 16, 2
	v_bfe_u32 v42, v12, 18, 5
	v_ffbh_u32_e32 v45, v81
	v_cmp_eq_u32_e32 vcc_lo, 0, v42
	v_min_u32_e32 v45, 32, v45
	v_subrev_nc_u32_e32 v57, 29, v45
	v_sub_nc_u32_e32 v45, 30, v45
	v_lshlrev_b32_sdwa v57, v57, v12 dst_sel:DWORD dst_unused:UNUSED_PAD src0_sel:DWORD src1_sel:WORD_1
	v_cndmask_b32_e32 v42, v42, v45, vcc_lo
	v_lshlrev_b32_e32 v45, 8, v12
	v_and_b32_e32 v57, 3, v57
	v_lshl_add_u32 v42, v42, 23, 0x37800000
	v_and_b32_e32 v45, 0x80000000, v45
	v_cndmask_b32_e32 v81, v81, v57, vcc_lo
	v_lshlrev_b32_e32 v81, 21, v81
	v_or3_b32 v81, v45, v42, v81
.LBB6_9590:                             ;   in Loop: Header=BB6_7994 Depth=3
	s_or_b32 exec_lo, exec_lo, s16
	v_add_f32_e32 v113, v113, v81
	v_and_b32_e32 v81, 0x7f800000, v113
	v_cmp_ne_u32_e32 vcc_lo, 0x7f800000, v81
	v_mov_b32_e32 v81, 0x80
	s_and_saveexec_b32 s23, vcc_lo
	s_cbranch_execz .LBB6_9598
; %bb.9591:                             ;   in Loop: Header=BB6_7994 Depth=3
	v_mov_b32_e32 v81, 0
	s_mov_b32 s72, exec_lo
	v_cmpx_ne_u32_e32 0, v113
	s_cbranch_execz .LBB6_9597
; %bb.9592:                             ;   in Loop: Header=BB6_7994 Depth=3
	v_bfe_u32 v42, v113, 23, 8
	v_and_b32_e32 v81, 0x7fffff, v113
	v_cmp_gt_u32_e64 s16, 0x71, v42
	v_sub_nc_u32_e32 v45, 0x70, v42
	v_cmp_eq_u32_e32 vcc_lo, 0, v42
	v_or_b32_e32 v57, 0x800000, v81
	v_cndmask_b32_e64 v45, 0, v45, s16
	v_cndmask_b32_e32 v81, v57, v81, vcc_lo
	v_cndmask_b32_e64 v45, v45, 0x6f, vcc_lo
	v_lshl_add_u32 v57, 0x200000, v45, -1
	v_lshlrev_b32_e64 v60, v45, 0x100000
	v_and_b32_e32 v57, v57, v81
	v_cmp_eq_u32_e64 s16, v57, v60
	v_lshrrev_b32_e32 v57, v45, v81
	v_add_nc_u32_e32 v81, 0xffffff91, v42
	v_lshrrev_b32_e32 v42, 23, v57
	v_cndmask_b32_e64 v81, v81, 0xffffff92, vcc_lo
	v_xor_b32_e32 v42, 1, v42
	v_add_nc_u32_e32 v81, v45, v81
	v_bfe_u32 v45, v57, 21, 1
	v_add_nc_u32_e32 v45, -1, v45
	v_cndmask_b32_e64 v45, 0, v45, s16
	s_mov_b32 s16, exec_lo
	v_add_nc_u32_e32 v45, v45, v57
	v_and_b32_e32 v45, 0x1fffff, v45
	v_add_nc_u32_e32 v45, v45, v57
                                        ; implicit-def: $vgpr57
	v_cmpx_ne_u32_e64 v81, v42
	s_xor_b32 s16, exec_lo, s16
; %bb.9593:                             ;   in Loop: Header=BB6_7994 Depth=3
	v_cmp_lt_u32_e32 vcc_lo, 0xffffff, v45
	v_sub_nc_u32_e32 v81, v81, v42
	v_cndmask_b32_e64 v42, 0, 1, vcc_lo
	v_add_co_ci_u32_e64 v57, null, 0, v81, vcc_lo
	v_lshrrev_b32_e32 v45, v42, v45
; %bb.9594:                             ;   in Loop: Header=BB6_7994 Depth=3
	s_andn2_saveexec_b32 s16, s16
; %bb.9595:                             ;   in Loop: Header=BB6_7994 Depth=3
	v_bfe_u32 v57, v45, 23, 1
; %bb.9596:                             ;   in Loop: Header=BB6_7994 Depth=3
	s_or_b32 exec_lo, exec_lo, s16
	v_and_b32_sdwa v81, v113, v117 dst_sel:DWORD dst_unused:UNUSED_PAD src0_sel:BYTE_3 src1_sel:DWORD
	v_lshrrev_b32_e32 v113, 21, v45
	v_min_i32_e32 v42, 31, v57
	v_cmp_gt_i32_e32 vcc_lo, 32, v57
	v_lshlrev_b32_e32 v42, 2, v42
	v_cndmask_b32_e32 v113, 3, v113, vcc_lo
	v_and_b32_e32 v42, 0xfc, v42
	v_or_b32_e32 v45, v57, v113
	v_and_b32_e32 v113, 3, v113
	v_cmp_ne_u32_e32 vcc_lo, 0, v45
	v_or3_b32 v81, v42, v81, v113
	v_cndmask_b32_e32 v81, 0, v81, vcc_lo
.LBB6_9597:                             ;   in Loop: Header=BB6_7994 Depth=3
	s_or_b32 exec_lo, exec_lo, s72
.LBB6_9598:                             ;   in Loop: Header=BB6_7994 Depth=3
	s_or_b32 exec_lo, exec_lo, s23
	v_cmp_gt_i16_sdwa s23, v101, v116 src0_sel:BYTE_3 src1_sel:DWORD
	s_mov_b32 s16, 0
	s_and_saveexec_b32 s72, s23
	s_xor_b32 s23, exec_lo, s72
	s_cbranch_execz .LBB6_10444
; %bb.9599:                             ;   in Loop: Header=BB6_7994 Depth=3
	v_cmp_eq_u16_sdwa s73, v101, v117 src0_sel:BYTE_3 src1_sel:DWORD
	s_mov_b32 s16, -1
	s_and_saveexec_b32 s72, s73
; %bb.9600:                             ;   in Loop: Header=BB6_7994 Depth=3
	s_xor_b32 s16, exec_lo, -1
; %bb.9601:                             ;   in Loop: Header=BB6_7994 Depth=3
	s_or_b32 exec_lo, exec_lo, s72
	s_and_b32 s16, s16, exec_lo
	s_or_saveexec_b32 s23, s23
	v_mov_b32_e32 v113, 0x7f800001
	s_xor_b32 exec_lo, exec_lo, s23
	s_cbranch_execnz .LBB6_10445
.LBB6_9602:                             ;   in Loop: Header=BB6_7994 Depth=3
	s_or_b32 exec_lo, exec_lo, s23
	s_and_saveexec_b32 s23, s16
	s_cbranch_execz .LBB6_9604
.LBB6_9603:                             ;   in Loop: Header=BB6_7994 Depth=3
	v_bfe_u32 v113, v101, 24, 2
	v_bfe_u32 v57, v101, 26, 5
	v_ffbh_u32_e32 v42, v113
	v_cmp_eq_u32_e32 vcc_lo, 0, v57
	v_min_u32_e32 v42, 32, v42
	v_subrev_nc_u32_e32 v45, 29, v42
	v_sub_nc_u32_e32 v42, 30, v42
	v_lshlrev_b32_sdwa v45, v45, v101 dst_sel:DWORD dst_unused:UNUSED_PAD src0_sel:DWORD src1_sel:BYTE_3
	v_cndmask_b32_e32 v42, v57, v42, vcc_lo
	v_and_b32_e32 v101, 0x80000000, v101
	v_and_b32_e32 v45, 3, v45
	v_lshl_add_u32 v42, v42, 23, 0x37800000
	v_cndmask_b32_e32 v113, v113, v45, vcc_lo
	v_lshlrev_b32_e32 v113, 21, v113
	v_or3_b32 v113, v101, v42, v113
.LBB6_9604:                             ;   in Loop: Header=BB6_7994 Depth=3
	s_or_b32 exec_lo, exec_lo, s23
	v_cmp_gt_i16_sdwa s23, v12, v116 src0_sel:BYTE_3 src1_sel:DWORD
	s_mov_b32 s16, 0
	s_and_saveexec_b32 s72, s23
	s_xor_b32 s23, exec_lo, s72
	s_cbranch_execz .LBB6_10446
; %bb.9605:                             ;   in Loop: Header=BB6_7994 Depth=3
	v_cmp_eq_u16_sdwa s73, v12, v117 src0_sel:BYTE_3 src1_sel:DWORD
	s_mov_b32 s16, -1
	s_and_saveexec_b32 s72, s73
; %bb.9606:                             ;   in Loop: Header=BB6_7994 Depth=3
	s_xor_b32 s16, exec_lo, -1
; %bb.9607:                             ;   in Loop: Header=BB6_7994 Depth=3
	s_or_b32 exec_lo, exec_lo, s72
	s_and_b32 s16, s16, exec_lo
	s_or_saveexec_b32 s23, s23
	v_mov_b32_e32 v101, 0x7f800001
	s_xor_b32 exec_lo, exec_lo, s23
	s_cbranch_execnz .LBB6_10447
.LBB6_9608:                             ;   in Loop: Header=BB6_7994 Depth=3
	s_or_b32 exec_lo, exec_lo, s23
	s_and_saveexec_b32 s23, s16
	s_cbranch_execz .LBB6_9610
.LBB6_9609:                             ;   in Loop: Header=BB6_7994 Depth=3
	v_bfe_u32 v101, v12, 24, 2
	v_bfe_u32 v57, v12, 26, 5
	v_ffbh_u32_e32 v42, v101
	v_cmp_eq_u32_e32 vcc_lo, 0, v57
	v_min_u32_e32 v42, 32, v42
	v_subrev_nc_u32_e32 v45, 29, v42
	v_sub_nc_u32_e32 v42, 30, v42
	v_lshlrev_b32_sdwa v45, v45, v12 dst_sel:DWORD dst_unused:UNUSED_PAD src0_sel:DWORD src1_sel:BYTE_3
	v_cndmask_b32_e32 v42, v57, v42, vcc_lo
	v_and_b32_e32 v12, 0x80000000, v12
	v_and_b32_e32 v45, 3, v45
	v_lshl_add_u32 v42, v42, 23, 0x37800000
	v_cndmask_b32_e32 v101, v101, v45, vcc_lo
	v_lshlrev_b32_e32 v101, 21, v101
	v_or3_b32 v101, v12, v42, v101
.LBB6_9610:                             ;   in Loop: Header=BB6_7994 Depth=3
	s_or_b32 exec_lo, exec_lo, s23
	v_add_f32_e32 v101, v113, v101
	v_and_b32_e32 v12, 0x7f800000, v101
	v_cmp_ne_u32_e32 vcc_lo, 0x7f800000, v12
	v_mov_b32_e32 v12, 0x8000
	s_and_saveexec_b32 s23, vcc_lo
	s_cbranch_execz .LBB6_9618
; %bb.9611:                             ;   in Loop: Header=BB6_7994 Depth=3
	v_mov_b32_e32 v12, 0
	s_mov_b32 s72, exec_lo
	v_cmpx_ne_u32_e32 0, v101
	s_cbranch_execz .LBB6_9617
; %bb.9612:                             ;   in Loop: Header=BB6_7994 Depth=3
	v_bfe_u32 v113, v101, 23, 8
	v_and_b32_e32 v12, 0x7fffff, v101
	v_cmp_gt_u32_e64 s16, 0x71, v113
	v_sub_nc_u32_e32 v42, 0x70, v113
	v_cmp_eq_u32_e32 vcc_lo, 0, v113
	v_or_b32_e32 v45, 0x800000, v12
	v_cndmask_b32_e64 v42, 0, v42, s16
	v_cndmask_b32_e32 v12, v45, v12, vcc_lo
	v_cndmask_b32_e64 v42, v42, 0x6f, vcc_lo
	v_lshl_add_u32 v45, 0x200000, v42, -1
	v_lshlrev_b32_e64 v57, v42, 0x100000
	v_and_b32_e32 v45, v45, v12
	v_cmp_eq_u32_e64 s16, v45, v57
	v_lshrrev_b32_e32 v45, v42, v12
	v_add_nc_u32_e32 v12, 0xffffff91, v113
	v_lshrrev_b32_e32 v113, 23, v45
	v_cndmask_b32_e64 v12, v12, 0xffffff92, vcc_lo
	v_xor_b32_e32 v113, 1, v113
	v_add_nc_u32_e32 v12, v42, v12
	v_bfe_u32 v42, v45, 21, 1
	v_add_nc_u32_e32 v42, -1, v42
	v_cndmask_b32_e64 v42, 0, v42, s16
	s_mov_b32 s16, exec_lo
	v_add_nc_u32_e32 v42, v42, v45
	v_and_b32_e32 v42, 0x1fffff, v42
	v_add_nc_u32_e32 v42, v42, v45
                                        ; implicit-def: $vgpr45
	v_cmpx_ne_u32_e64 v12, v113
	s_xor_b32 s16, exec_lo, s16
; %bb.9613:                             ;   in Loop: Header=BB6_7994 Depth=3
	v_cmp_lt_u32_e32 vcc_lo, 0xffffff, v42
	v_sub_nc_u32_e32 v12, v12, v113
	v_cndmask_b32_e64 v113, 0, 1, vcc_lo
	v_add_co_ci_u32_e64 v45, null, 0, v12, vcc_lo
	v_lshrrev_b32_e32 v42, v113, v42
; %bb.9614:                             ;   in Loop: Header=BB6_7994 Depth=3
	s_andn2_saveexec_b32 s16, s16
; %bb.9615:                             ;   in Loop: Header=BB6_7994 Depth=3
	v_bfe_u32 v45, v42, 23, 1
; %bb.9616:                             ;   in Loop: Header=BB6_7994 Depth=3
	s_or_b32 exec_lo, exec_lo, s16
	v_and_b32_sdwa v12, v101, v117 dst_sel:DWORD dst_unused:UNUSED_PAD src0_sel:BYTE_3 src1_sel:DWORD
	v_lshrrev_b32_e32 v101, 21, v42
	v_min_i32_e32 v113, 31, v45
	v_cmp_gt_i32_e32 vcc_lo, 32, v45
	v_lshlrev_b32_e32 v113, 2, v113
	v_cndmask_b32_e32 v101, 3, v101, vcc_lo
	v_and_b32_e32 v113, 0xfc, v113
	v_or_b32_e32 v42, v45, v101
	v_and_b32_e32 v101, 3, v101
	v_cmp_ne_u32_e32 vcc_lo, 0, v42
	v_or3_b32 v12, v12, v113, v101
	v_lshlrev_b32_e32 v12, 8, v12
	v_cndmask_b32_e32 v12, 0, v12, vcc_lo
.LBB6_9617:                             ;   in Loop: Header=BB6_7994 Depth=3
	s_or_b32 exec_lo, exec_lo, s72
.LBB6_9618:                             ;   in Loop: Header=BB6_7994 Depth=3
	s_or_b32 exec_lo, exec_lo, s23
	v_or_b32_e32 v101, v1, v31
	s_mov_b32 s23, 0
	v_cmp_gt_i16_sdwa s16, v101, v116 src0_sel:BYTE_0 src1_sel:DWORD
	s_and_saveexec_b32 s72, s16
	s_xor_b32 s16, exec_lo, s72
	s_cbranch_execz .LBB6_10448
; %bb.9619:                             ;   in Loop: Header=BB6_7994 Depth=3
	v_cmp_eq_u16_sdwa s73, v101, v117 src0_sel:BYTE_0 src1_sel:DWORD
	s_mov_b32 s23, -1
	s_and_saveexec_b32 s72, s73
; %bb.9620:                             ;   in Loop: Header=BB6_7994 Depth=3
	s_xor_b32 s23, exec_lo, -1
; %bb.9621:                             ;   in Loop: Header=BB6_7994 Depth=3
	s_or_b32 exec_lo, exec_lo, s72
	s_and_b32 s23, s23, exec_lo
	s_or_saveexec_b32 s16, s16
	v_mov_b32_e32 v1, 0x7f800001
	s_xor_b32 exec_lo, exec_lo, s16
	s_cbranch_execnz .LBB6_10449
.LBB6_9622:                             ;   in Loop: Header=BB6_7994 Depth=3
	s_or_b32 exec_lo, exec_lo, s16
	s_and_saveexec_b32 s16, s23
	s_cbranch_execz .LBB6_9624
.LBB6_9623:                             ;   in Loop: Header=BB6_7994 Depth=3
	v_and_b32_e32 v1, 3, v101
	v_bfe_u32 v31, v101, 2, 5
	v_ffbh_u32_e32 v113, v1
	v_cmp_eq_u32_e32 vcc_lo, 0, v31
	v_min_u32_e32 v113, 32, v113
	v_subrev_nc_u32_e32 v42, 29, v113
	v_sub_nc_u32_e32 v113, 30, v113
	v_lshlrev_b32_e32 v42, v42, v101
	v_cndmask_b32_e32 v31, v31, v113, vcc_lo
	v_lshlrev_b32_e32 v113, 24, v101
	v_and_b32_e32 v42, 3, v42
	v_lshl_add_u32 v31, v31, 23, 0x37800000
	v_and_b32_e32 v113, 0x80000000, v113
	v_cndmask_b32_e32 v1, v1, v42, vcc_lo
	v_lshlrev_b32_e32 v1, 21, v1
	v_or3_b32 v1, v113, v31, v1
.LBB6_9624:                             ;   in Loop: Header=BB6_7994 Depth=3
	s_or_b32 exec_lo, exec_lo, s16
	v_cmp_gt_i16_sdwa s16, v13, v116 src0_sel:BYTE_0 src1_sel:DWORD
	s_mov_b32 s23, 0
	s_and_saveexec_b32 s72, s16
	s_xor_b32 s16, exec_lo, s72
	s_cbranch_execz .LBB6_10450
; %bb.9625:                             ;   in Loop: Header=BB6_7994 Depth=3
	v_cmp_eq_u16_sdwa s73, v13, v117 src0_sel:BYTE_0 src1_sel:DWORD
	s_mov_b32 s23, -1
	s_and_saveexec_b32 s72, s73
; %bb.9626:                             ;   in Loop: Header=BB6_7994 Depth=3
	s_xor_b32 s23, exec_lo, -1
; %bb.9627:                             ;   in Loop: Header=BB6_7994 Depth=3
	s_or_b32 exec_lo, exec_lo, s72
	s_and_b32 s23, s23, exec_lo
	s_or_saveexec_b32 s16, s16
	v_mov_b32_e32 v31, 0x7f800001
	s_xor_b32 exec_lo, exec_lo, s16
	s_cbranch_execnz .LBB6_10451
.LBB6_9628:                             ;   in Loop: Header=BB6_7994 Depth=3
	s_or_b32 exec_lo, exec_lo, s16
	s_and_saveexec_b32 s16, s23
	s_cbranch_execz .LBB6_9630
.LBB6_9629:                             ;   in Loop: Header=BB6_7994 Depth=3
	v_and_b32_e32 v31, 3, v13
	v_bfe_u32 v113, v13, 2, 5
	v_ffbh_u32_e32 v42, v31
	v_cmp_eq_u32_e32 vcc_lo, 0, v113
	v_min_u32_e32 v42, 32, v42
	v_subrev_nc_u32_e32 v45, 29, v42
	v_sub_nc_u32_e32 v42, 30, v42
	v_lshlrev_b32_e32 v45, v45, v13
	v_cndmask_b32_e32 v113, v113, v42, vcc_lo
	v_lshlrev_b32_e32 v42, 24, v13
	v_and_b32_e32 v45, 3, v45
	v_lshl_add_u32 v113, v113, 23, 0x37800000
	v_and_b32_e32 v42, 0x80000000, v42
	v_cndmask_b32_e32 v31, v31, v45, vcc_lo
	v_lshlrev_b32_e32 v31, 21, v31
	v_or3_b32 v31, v42, v113, v31
.LBB6_9630:                             ;   in Loop: Header=BB6_7994 Depth=3
	s_or_b32 exec_lo, exec_lo, s16
	v_add_f32_e32 v31, v1, v31
	v_and_b32_e32 v1, 0x7f800000, v31
	v_cmp_ne_u32_e32 vcc_lo, 0x7f800000, v1
	v_mov_b32_e32 v1, 0x80
	s_and_saveexec_b32 s23, vcc_lo
	s_cbranch_execz .LBB6_9638
; %bb.9631:                             ;   in Loop: Header=BB6_7994 Depth=3
	v_mov_b32_e32 v1, 0
	s_mov_b32 s72, exec_lo
	v_cmpx_ne_u32_e32 0, v31
	s_cbranch_execz .LBB6_9637
; %bb.9632:                             ;   in Loop: Header=BB6_7994 Depth=3
	v_bfe_u32 v113, v31, 23, 8
	v_and_b32_e32 v1, 0x7fffff, v31
	v_cmp_gt_u32_e64 s16, 0x71, v113
	v_sub_nc_u32_e32 v42, 0x70, v113
	v_cmp_eq_u32_e32 vcc_lo, 0, v113
	v_or_b32_e32 v45, 0x800000, v1
	v_cndmask_b32_e64 v42, 0, v42, s16
	v_cndmask_b32_e32 v1, v45, v1, vcc_lo
	v_cndmask_b32_e64 v42, v42, 0x6f, vcc_lo
	v_lshl_add_u32 v45, 0x200000, v42, -1
	v_lshlrev_b32_e64 v57, v42, 0x100000
	v_and_b32_e32 v45, v45, v1
	v_cmp_eq_u32_e64 s16, v45, v57
	v_lshrrev_b32_e32 v45, v42, v1
	v_add_nc_u32_e32 v1, 0xffffff91, v113
	v_lshrrev_b32_e32 v113, 23, v45
	v_cndmask_b32_e64 v1, v1, 0xffffff92, vcc_lo
	v_xor_b32_e32 v113, 1, v113
	v_add_nc_u32_e32 v1, v42, v1
	v_bfe_u32 v42, v45, 21, 1
	v_add_nc_u32_e32 v42, -1, v42
	v_cndmask_b32_e64 v42, 0, v42, s16
	s_mov_b32 s16, exec_lo
	v_add_nc_u32_e32 v42, v42, v45
	v_and_b32_e32 v42, 0x1fffff, v42
	v_add_nc_u32_e32 v42, v42, v45
                                        ; implicit-def: $vgpr45
	v_cmpx_ne_u32_e64 v1, v113
	s_xor_b32 s16, exec_lo, s16
; %bb.9633:                             ;   in Loop: Header=BB6_7994 Depth=3
	v_cmp_lt_u32_e32 vcc_lo, 0xffffff, v42
	v_sub_nc_u32_e32 v1, v1, v113
	v_cndmask_b32_e64 v113, 0, 1, vcc_lo
	v_add_co_ci_u32_e64 v45, null, 0, v1, vcc_lo
	v_lshrrev_b32_e32 v42, v113, v42
; %bb.9634:                             ;   in Loop: Header=BB6_7994 Depth=3
	s_andn2_saveexec_b32 s16, s16
; %bb.9635:                             ;   in Loop: Header=BB6_7994 Depth=3
	v_bfe_u32 v45, v42, 23, 1
; %bb.9636:                             ;   in Loop: Header=BB6_7994 Depth=3
	s_or_b32 exec_lo, exec_lo, s16
	v_and_b32_sdwa v1, v31, v117 dst_sel:DWORD dst_unused:UNUSED_PAD src0_sel:BYTE_3 src1_sel:DWORD
	v_lshrrev_b32_e32 v31, 21, v42
	v_min_i32_e32 v113, 31, v45
	v_cmp_gt_i32_e32 vcc_lo, 32, v45
	v_lshlrev_b32_e32 v113, 2, v113
	v_cndmask_b32_e32 v31, 3, v31, vcc_lo
	v_and_b32_e32 v113, 0xfc, v113
	v_or_b32_e32 v42, v45, v31
	v_and_b32_e32 v31, 3, v31
	v_cmp_ne_u32_e32 vcc_lo, 0, v42
	v_or3_b32 v1, v113, v1, v31
	v_cndmask_b32_e32 v1, 0, v1, vcc_lo
.LBB6_9637:                             ;   in Loop: Header=BB6_7994 Depth=3
	s_or_b32 exec_lo, exec_lo, s72
.LBB6_9638:                             ;   in Loop: Header=BB6_7994 Depth=3
	s_or_b32 exec_lo, exec_lo, s23
	v_cmp_gt_i16_sdwa s23, v101, v116 src0_sel:BYTE_1 src1_sel:DWORD
	s_mov_b32 s16, 0
	s_and_saveexec_b32 s72, s23
	s_xor_b32 s23, exec_lo, s72
	s_cbranch_execz .LBB6_10452
; %bb.9639:                             ;   in Loop: Header=BB6_7994 Depth=3
	v_cmp_eq_u16_sdwa s73, v101, v117 src0_sel:BYTE_1 src1_sel:DWORD
	s_mov_b32 s16, -1
	s_and_saveexec_b32 s72, s73
; %bb.9640:                             ;   in Loop: Header=BB6_7994 Depth=3
	s_xor_b32 s16, exec_lo, -1
; %bb.9641:                             ;   in Loop: Header=BB6_7994 Depth=3
	s_or_b32 exec_lo, exec_lo, s72
	s_and_b32 s16, s16, exec_lo
	s_or_saveexec_b32 s23, s23
	v_mov_b32_e32 v31, 0x7f800001
	s_xor_b32 exec_lo, exec_lo, s23
	s_cbranch_execnz .LBB6_10453
.LBB6_9642:                             ;   in Loop: Header=BB6_7994 Depth=3
	s_or_b32 exec_lo, exec_lo, s23
	s_and_saveexec_b32 s23, s16
	s_cbranch_execz .LBB6_9644
.LBB6_9643:                             ;   in Loop: Header=BB6_7994 Depth=3
	v_and_b32_sdwa v31, v118, v101 dst_sel:DWORD dst_unused:UNUSED_PAD src0_sel:DWORD src1_sel:BYTE_1
	v_and_b32_e32 v113, 3, v31
	v_bfe_u32 v57, v31, 2, 5
	v_ffbh_u32_e32 v42, v113
	v_cmp_eq_u32_e32 vcc_lo, 0, v57
	v_min_u32_e32 v42, 32, v42
	v_subrev_nc_u32_e32 v45, 29, v42
	v_sub_nc_u32_e32 v42, 30, v42
	v_lshlrev_b32_e32 v31, v45, v31
	v_lshlrev_b32_sdwa v45, v119, v101 dst_sel:DWORD dst_unused:UNUSED_PAD src0_sel:DWORD src1_sel:BYTE_1
	v_cndmask_b32_e32 v42, v57, v42, vcc_lo
	v_and_b32_e32 v31, 3, v31
	v_lshl_add_u32 v42, v42, 23, 0x37800000
	v_cndmask_b32_e32 v31, v113, v31, vcc_lo
	v_and_b32_e32 v113, 0x80000000, v45
	v_lshlrev_b32_e32 v31, 21, v31
	v_or3_b32 v31, v113, v42, v31
.LBB6_9644:                             ;   in Loop: Header=BB6_7994 Depth=3
	s_or_b32 exec_lo, exec_lo, s23
	v_cmp_gt_i16_sdwa s23, v13, v116 src0_sel:BYTE_1 src1_sel:DWORD
	s_mov_b32 s16, 0
	s_and_saveexec_b32 s72, s23
	s_xor_b32 s23, exec_lo, s72
	s_cbranch_execz .LBB6_10454
; %bb.9645:                             ;   in Loop: Header=BB6_7994 Depth=3
	v_cmp_eq_u16_sdwa s73, v13, v117 src0_sel:BYTE_1 src1_sel:DWORD
	s_mov_b32 s16, -1
	s_and_saveexec_b32 s72, s73
; %bb.9646:                             ;   in Loop: Header=BB6_7994 Depth=3
	s_xor_b32 s16, exec_lo, -1
; %bb.9647:                             ;   in Loop: Header=BB6_7994 Depth=3
	s_or_b32 exec_lo, exec_lo, s72
	s_and_b32 s16, s16, exec_lo
	s_or_saveexec_b32 s23, s23
	v_mov_b32_e32 v113, 0x7f800001
	s_xor_b32 exec_lo, exec_lo, s23
	s_cbranch_execnz .LBB6_10455
.LBB6_9648:                             ;   in Loop: Header=BB6_7994 Depth=3
	s_or_b32 exec_lo, exec_lo, s23
	s_and_saveexec_b32 s23, s16
	s_cbranch_execz .LBB6_9650
.LBB6_9649:                             ;   in Loop: Header=BB6_7994 Depth=3
	v_and_b32_sdwa v113, v118, v13 dst_sel:DWORD dst_unused:UNUSED_PAD src0_sel:DWORD src1_sel:BYTE_1
	v_and_b32_e32 v42, 3, v113
	v_bfe_u32 v60, v113, 2, 5
	v_ffbh_u32_e32 v45, v42
	v_cmp_eq_u32_e32 vcc_lo, 0, v60
	v_min_u32_e32 v45, 32, v45
	v_subrev_nc_u32_e32 v57, 29, v45
	v_sub_nc_u32_e32 v45, 30, v45
	v_lshlrev_b32_e32 v113, v57, v113
	v_lshlrev_b32_sdwa v57, v119, v13 dst_sel:DWORD dst_unused:UNUSED_PAD src0_sel:DWORD src1_sel:BYTE_1
	v_cndmask_b32_e32 v45, v60, v45, vcc_lo
	v_and_b32_e32 v113, 3, v113
	v_lshl_add_u32 v45, v45, 23, 0x37800000
	v_cndmask_b32_e32 v113, v42, v113, vcc_lo
	v_and_b32_e32 v42, 0x80000000, v57
	v_lshlrev_b32_e32 v113, 21, v113
	v_or3_b32 v113, v42, v45, v113
.LBB6_9650:                             ;   in Loop: Header=BB6_7994 Depth=3
	s_or_b32 exec_lo, exec_lo, s23
	v_add_f32_e32 v113, v31, v113
	v_and_b32_e32 v31, 0x7f800000, v113
	v_cmp_ne_u32_e32 vcc_lo, 0x7f800000, v31
	v_mov_b32_e32 v31, 0x8000
	s_and_saveexec_b32 s23, vcc_lo
	s_cbranch_execz .LBB6_9658
; %bb.9651:                             ;   in Loop: Header=BB6_7994 Depth=3
	v_mov_b32_e32 v31, 0
	s_mov_b32 s72, exec_lo
	v_cmpx_ne_u32_e32 0, v113
	s_cbranch_execz .LBB6_9657
; %bb.9652:                             ;   in Loop: Header=BB6_7994 Depth=3
	v_bfe_u32 v42, v113, 23, 8
	v_and_b32_e32 v31, 0x7fffff, v113
	v_cmp_gt_u32_e64 s16, 0x71, v42
	v_sub_nc_u32_e32 v45, 0x70, v42
	v_cmp_eq_u32_e32 vcc_lo, 0, v42
	v_or_b32_e32 v57, 0x800000, v31
	v_cndmask_b32_e64 v45, 0, v45, s16
	v_cndmask_b32_e32 v31, v57, v31, vcc_lo
	v_cndmask_b32_e64 v45, v45, 0x6f, vcc_lo
	v_lshl_add_u32 v57, 0x200000, v45, -1
	v_lshlrev_b32_e64 v60, v45, 0x100000
	v_and_b32_e32 v57, v57, v31
	v_cmp_eq_u32_e64 s16, v57, v60
	v_lshrrev_b32_e32 v57, v45, v31
	v_add_nc_u32_e32 v31, 0xffffff91, v42
	v_lshrrev_b32_e32 v42, 23, v57
	v_cndmask_b32_e64 v31, v31, 0xffffff92, vcc_lo
	v_xor_b32_e32 v42, 1, v42
	v_add_nc_u32_e32 v31, v45, v31
	v_bfe_u32 v45, v57, 21, 1
	v_add_nc_u32_e32 v45, -1, v45
	v_cndmask_b32_e64 v45, 0, v45, s16
	s_mov_b32 s16, exec_lo
	v_add_nc_u32_e32 v45, v45, v57
	v_and_b32_e32 v45, 0x1fffff, v45
	v_add_nc_u32_e32 v45, v45, v57
                                        ; implicit-def: $vgpr57
	v_cmpx_ne_u32_e64 v31, v42
	s_xor_b32 s16, exec_lo, s16
; %bb.9653:                             ;   in Loop: Header=BB6_7994 Depth=3
	v_cmp_lt_u32_e32 vcc_lo, 0xffffff, v45
	v_sub_nc_u32_e32 v31, v31, v42
	v_cndmask_b32_e64 v42, 0, 1, vcc_lo
	v_add_co_ci_u32_e64 v57, null, 0, v31, vcc_lo
	v_lshrrev_b32_e32 v45, v42, v45
; %bb.9654:                             ;   in Loop: Header=BB6_7994 Depth=3
	s_andn2_saveexec_b32 s16, s16
; %bb.9655:                             ;   in Loop: Header=BB6_7994 Depth=3
	v_bfe_u32 v57, v45, 23, 1
; %bb.9656:                             ;   in Loop: Header=BB6_7994 Depth=3
	s_or_b32 exec_lo, exec_lo, s16
	v_and_b32_sdwa v31, v113, v117 dst_sel:DWORD dst_unused:UNUSED_PAD src0_sel:BYTE_3 src1_sel:DWORD
	v_lshrrev_b32_e32 v113, 21, v45
	v_min_i32_e32 v42, 31, v57
	v_cmp_gt_i32_e32 vcc_lo, 32, v57
	v_lshlrev_b32_e32 v42, 2, v42
	v_cndmask_b32_e32 v113, 3, v113, vcc_lo
	v_and_b32_e32 v42, 0xfc, v42
	v_or_b32_e32 v45, v57, v113
	v_and_b32_e32 v113, 3, v113
	v_cmp_ne_u32_e32 vcc_lo, 0, v45
	v_or3_b32 v31, v31, v42, v113
	v_lshlrev_b32_e32 v31, 8, v31
	v_cndmask_b32_e32 v31, 0, v31, vcc_lo
.LBB6_9657:                             ;   in Loop: Header=BB6_7994 Depth=3
	s_or_b32 exec_lo, exec_lo, s72
.LBB6_9658:                             ;   in Loop: Header=BB6_7994 Depth=3
	s_or_b32 exec_lo, exec_lo, s23
	v_or_b32_e32 v113, v122, v120
	s_mov_b32 s23, 0
	v_cmp_gt_i16_sdwa s16, v113, v116 src0_sel:BYTE_0 src1_sel:DWORD
	s_and_saveexec_b32 s72, s16
	s_xor_b32 s16, exec_lo, s72
	s_cbranch_execz .LBB6_10456
; %bb.9659:                             ;   in Loop: Header=BB6_7994 Depth=3
	v_cmp_eq_u16_sdwa s73, v113, v117 src0_sel:BYTE_0 src1_sel:DWORD
	s_mov_b32 s23, -1
	s_and_saveexec_b32 s72, s73
; %bb.9660:                             ;   in Loop: Header=BB6_7994 Depth=3
	s_xor_b32 s23, exec_lo, -1
; %bb.9661:                             ;   in Loop: Header=BB6_7994 Depth=3
	s_or_b32 exec_lo, exec_lo, s72
	s_and_b32 s23, s23, exec_lo
	s_or_saveexec_b32 s16, s16
	v_mov_b32_e32 v42, 0x7f800001
	s_xor_b32 exec_lo, exec_lo, s16
	s_cbranch_execnz .LBB6_10457
.LBB6_9662:                             ;   in Loop: Header=BB6_7994 Depth=3
	s_or_b32 exec_lo, exec_lo, s16
	v_lshl_or_b32 v113, v113, 16, v101
	s_and_saveexec_b32 s16, s23
	s_cbranch_execz .LBB6_9664
.LBB6_9663:                             ;   in Loop: Header=BB6_7994 Depth=3
	v_bfe_u32 v101, v113, 16, 2
	v_bfe_u32 v42, v113, 18, 5
	v_ffbh_u32_e32 v45, v101
	v_cmp_eq_u32_e32 vcc_lo, 0, v42
	v_min_u32_e32 v45, 32, v45
	v_subrev_nc_u32_e32 v57, 29, v45
	v_sub_nc_u32_e32 v45, 30, v45
	v_lshlrev_b32_sdwa v57, v57, v113 dst_sel:DWORD dst_unused:UNUSED_PAD src0_sel:DWORD src1_sel:WORD_1
	v_cndmask_b32_e32 v42, v42, v45, vcc_lo
	v_lshlrev_b32_e32 v45, 8, v113
	v_and_b32_e32 v57, 3, v57
	v_lshl_add_u32 v42, v42, 23, 0x37800000
	v_and_b32_e32 v45, 0x80000000, v45
	v_cndmask_b32_e32 v101, v101, v57, vcc_lo
	v_lshlrev_b32_e32 v101, 21, v101
	v_or3_b32 v42, v45, v42, v101
.LBB6_9664:                             ;   in Loop: Header=BB6_7994 Depth=3
	s_or_b32 exec_lo, exec_lo, s16
	v_and_b32_sdwa v45, v13, v40 dst_sel:DWORD dst_unused:UNUSED_PAD src0_sel:WORD_1 src1_sel:DWORD
	s_mov_b32 s23, 0
	s_mov_b32 s16, exec_lo
	v_cmpx_lt_i16_e32 0x7f, v45
	s_xor_b32 s16, exec_lo, s16
	s_cbranch_execz .LBB6_10458
; %bb.9665:                             ;   in Loop: Header=BB6_7994 Depth=3
	s_mov_b32 s23, -1
	s_mov_b32 s72, exec_lo
	v_cmpx_eq_u16_e32 0x80, v45
; %bb.9666:                             ;   in Loop: Header=BB6_7994 Depth=3
	s_xor_b32 s23, exec_lo, -1
; %bb.9667:                             ;   in Loop: Header=BB6_7994 Depth=3
	s_or_b32 exec_lo, exec_lo, s72
	s_and_b32 s23, s23, exec_lo
                                        ; implicit-def: $vgpr45
	s_or_saveexec_b32 s16, s16
	v_mov_b32_e32 v101, 0x7f800001
	s_xor_b32 exec_lo, exec_lo, s16
	s_cbranch_execnz .LBB6_10459
.LBB6_9668:                             ;   in Loop: Header=BB6_7994 Depth=3
	s_or_b32 exec_lo, exec_lo, s16
	s_and_saveexec_b32 s16, s23
	s_cbranch_execz .LBB6_9670
.LBB6_9669:                             ;   in Loop: Header=BB6_7994 Depth=3
	v_bfe_u32 v101, v13, 16, 2
	v_bfe_u32 v45, v13, 18, 5
	v_ffbh_u32_e32 v57, v101
	v_cmp_eq_u32_e32 vcc_lo, 0, v45
	v_min_u32_e32 v57, 32, v57
	v_subrev_nc_u32_e32 v60, 29, v57
	v_sub_nc_u32_e32 v57, 30, v57
	v_lshlrev_b32_sdwa v60, v60, v13 dst_sel:DWORD dst_unused:UNUSED_PAD src0_sel:DWORD src1_sel:WORD_1
	v_cndmask_b32_e32 v45, v45, v57, vcc_lo
	v_lshlrev_b32_e32 v57, 8, v13
	v_and_b32_e32 v60, 3, v60
	v_lshl_add_u32 v45, v45, 23, 0x37800000
	v_and_b32_e32 v57, 0x80000000, v57
	v_cndmask_b32_e32 v101, v101, v60, vcc_lo
	v_lshlrev_b32_e32 v101, 21, v101
	v_or3_b32 v101, v57, v45, v101
.LBB6_9670:                             ;   in Loop: Header=BB6_7994 Depth=3
	s_or_b32 exec_lo, exec_lo, s16
	v_add_f32_e32 v42, v42, v101
	v_and_b32_e32 v101, 0x7f800000, v42
	v_cmp_ne_u32_e32 vcc_lo, 0x7f800000, v101
	v_mov_b32_e32 v101, 0x80
	s_and_saveexec_b32 s23, vcc_lo
	s_cbranch_execz .LBB6_9678
; %bb.9671:                             ;   in Loop: Header=BB6_7994 Depth=3
	v_mov_b32_e32 v101, 0
	s_mov_b32 s72, exec_lo
	v_cmpx_ne_u32_e32 0, v42
	s_cbranch_execz .LBB6_9677
; %bb.9672:                             ;   in Loop: Header=BB6_7994 Depth=3
	v_bfe_u32 v45, v42, 23, 8
	v_and_b32_e32 v101, 0x7fffff, v42
	v_cmp_gt_u32_e64 s16, 0x71, v45
	v_sub_nc_u32_e32 v57, 0x70, v45
	v_cmp_eq_u32_e32 vcc_lo, 0, v45
	v_or_b32_e32 v60, 0x800000, v101
	v_cndmask_b32_e64 v57, 0, v57, s16
	v_cndmask_b32_e32 v101, v60, v101, vcc_lo
	v_cndmask_b32_e64 v57, v57, 0x6f, vcc_lo
	v_lshl_add_u32 v60, 0x200000, v57, -1
	v_lshlrev_b32_e64 v61, v57, 0x100000
	v_and_b32_e32 v60, v60, v101
	v_cmp_eq_u32_e64 s16, v60, v61
	v_lshrrev_b32_e32 v60, v57, v101
	v_add_nc_u32_e32 v101, 0xffffff91, v45
	v_lshrrev_b32_e32 v45, 23, v60
	v_cndmask_b32_e64 v101, v101, 0xffffff92, vcc_lo
	v_xor_b32_e32 v45, 1, v45
	v_add_nc_u32_e32 v101, v57, v101
	v_bfe_u32 v57, v60, 21, 1
	v_add_nc_u32_e32 v57, -1, v57
	v_cndmask_b32_e64 v57, 0, v57, s16
	s_mov_b32 s16, exec_lo
	v_add_nc_u32_e32 v57, v57, v60
	v_and_b32_e32 v57, 0x1fffff, v57
	v_add_nc_u32_e32 v57, v57, v60
                                        ; implicit-def: $vgpr60
	v_cmpx_ne_u32_e64 v101, v45
	s_xor_b32 s16, exec_lo, s16
; %bb.9673:                             ;   in Loop: Header=BB6_7994 Depth=3
	v_cmp_lt_u32_e32 vcc_lo, 0xffffff, v57
	v_sub_nc_u32_e32 v101, v101, v45
	v_cndmask_b32_e64 v45, 0, 1, vcc_lo
	v_add_co_ci_u32_e64 v60, null, 0, v101, vcc_lo
	v_lshrrev_b32_e32 v57, v45, v57
; %bb.9674:                             ;   in Loop: Header=BB6_7994 Depth=3
	s_andn2_saveexec_b32 s16, s16
; %bb.9675:                             ;   in Loop: Header=BB6_7994 Depth=3
	v_bfe_u32 v60, v57, 23, 1
; %bb.9676:                             ;   in Loop: Header=BB6_7994 Depth=3
	s_or_b32 exec_lo, exec_lo, s16
	v_and_b32_sdwa v101, v42, v117 dst_sel:DWORD dst_unused:UNUSED_PAD src0_sel:BYTE_3 src1_sel:DWORD
	v_lshrrev_b32_e32 v42, 21, v57
	v_min_i32_e32 v45, 31, v60
	v_cmp_gt_i32_e32 vcc_lo, 32, v60
	v_lshlrev_b32_e32 v45, 2, v45
	v_cndmask_b32_e32 v42, 3, v42, vcc_lo
	v_and_b32_e32 v45, 0xfc, v45
	v_or_b32_e32 v57, v60, v42
	v_and_b32_e32 v42, 3, v42
	v_cmp_ne_u32_e32 vcc_lo, 0, v57
	v_or3_b32 v101, v45, v101, v42
	v_cndmask_b32_e32 v101, 0, v101, vcc_lo
.LBB6_9677:                             ;   in Loop: Header=BB6_7994 Depth=3
	s_or_b32 exec_lo, exec_lo, s72
.LBB6_9678:                             ;   in Loop: Header=BB6_7994 Depth=3
	s_or_b32 exec_lo, exec_lo, s23
	v_cmp_gt_i16_sdwa s23, v113, v116 src0_sel:BYTE_3 src1_sel:DWORD
	s_mov_b32 s16, 0
	s_and_saveexec_b32 s72, s23
	s_xor_b32 s23, exec_lo, s72
	s_cbranch_execz .LBB6_10460
; %bb.9679:                             ;   in Loop: Header=BB6_7994 Depth=3
	v_cmp_eq_u16_sdwa s73, v113, v117 src0_sel:BYTE_3 src1_sel:DWORD
	s_mov_b32 s16, -1
	s_and_saveexec_b32 s72, s73
; %bb.9680:                             ;   in Loop: Header=BB6_7994 Depth=3
	s_xor_b32 s16, exec_lo, -1
; %bb.9681:                             ;   in Loop: Header=BB6_7994 Depth=3
	s_or_b32 exec_lo, exec_lo, s72
	s_and_b32 s16, s16, exec_lo
	s_or_saveexec_b32 s23, s23
	v_mov_b32_e32 v42, 0x7f800001
	s_xor_b32 exec_lo, exec_lo, s23
	s_cbranch_execnz .LBB6_10461
.LBB6_9682:                             ;   in Loop: Header=BB6_7994 Depth=3
	s_or_b32 exec_lo, exec_lo, s23
	s_and_saveexec_b32 s23, s16
	s_cbranch_execz .LBB6_9684
.LBB6_9683:                             ;   in Loop: Header=BB6_7994 Depth=3
	v_bfe_u32 v42, v113, 24, 2
	v_bfe_u32 v60, v113, 26, 5
	v_ffbh_u32_e32 v45, v42
	v_cmp_eq_u32_e32 vcc_lo, 0, v60
	v_min_u32_e32 v45, 32, v45
	v_subrev_nc_u32_e32 v57, 29, v45
	v_sub_nc_u32_e32 v45, 30, v45
	v_lshlrev_b32_sdwa v57, v57, v113 dst_sel:DWORD dst_unused:UNUSED_PAD src0_sel:DWORD src1_sel:BYTE_3
	v_cndmask_b32_e32 v45, v60, v45, vcc_lo
	v_and_b32_e32 v113, 0x80000000, v113
	v_and_b32_e32 v57, 3, v57
	v_lshl_add_u32 v45, v45, 23, 0x37800000
	v_cndmask_b32_e32 v42, v42, v57, vcc_lo
	v_lshlrev_b32_e32 v42, 21, v42
	v_or3_b32 v42, v113, v45, v42
.LBB6_9684:                             ;   in Loop: Header=BB6_7994 Depth=3
	s_or_b32 exec_lo, exec_lo, s23
	v_cmp_gt_i16_sdwa s23, v13, v116 src0_sel:BYTE_3 src1_sel:DWORD
	s_mov_b32 s16, 0
	s_and_saveexec_b32 s72, s23
	s_xor_b32 s23, exec_lo, s72
	s_cbranch_execz .LBB6_10462
; %bb.9685:                             ;   in Loop: Header=BB6_7994 Depth=3
	v_cmp_eq_u16_sdwa s73, v13, v117 src0_sel:BYTE_3 src1_sel:DWORD
	s_mov_b32 s16, -1
	s_and_saveexec_b32 s72, s73
; %bb.9686:                             ;   in Loop: Header=BB6_7994 Depth=3
	s_xor_b32 s16, exec_lo, -1
; %bb.9687:                             ;   in Loop: Header=BB6_7994 Depth=3
	s_or_b32 exec_lo, exec_lo, s72
	s_and_b32 s16, s16, exec_lo
	s_or_saveexec_b32 s23, s23
	v_mov_b32_e32 v113, 0x7f800001
	s_xor_b32 exec_lo, exec_lo, s23
	s_cbranch_execnz .LBB6_10463
.LBB6_9688:                             ;   in Loop: Header=BB6_7994 Depth=3
	s_or_b32 exec_lo, exec_lo, s23
	s_and_saveexec_b32 s23, s16
	s_cbranch_execz .LBB6_9690
.LBB6_9689:                             ;   in Loop: Header=BB6_7994 Depth=3
	v_bfe_u32 v113, v13, 24, 2
	v_bfe_u32 v60, v13, 26, 5
	v_ffbh_u32_e32 v45, v113
	v_cmp_eq_u32_e32 vcc_lo, 0, v60
	v_min_u32_e32 v45, 32, v45
	v_subrev_nc_u32_e32 v57, 29, v45
	v_sub_nc_u32_e32 v45, 30, v45
	v_lshlrev_b32_sdwa v57, v57, v13 dst_sel:DWORD dst_unused:UNUSED_PAD src0_sel:DWORD src1_sel:BYTE_3
	v_cndmask_b32_e32 v45, v60, v45, vcc_lo
	v_and_b32_e32 v13, 0x80000000, v13
	v_and_b32_e32 v57, 3, v57
	v_lshl_add_u32 v45, v45, 23, 0x37800000
	v_cndmask_b32_e32 v113, v113, v57, vcc_lo
	v_lshlrev_b32_e32 v113, 21, v113
	v_or3_b32 v113, v13, v45, v113
.LBB6_9690:                             ;   in Loop: Header=BB6_7994 Depth=3
	s_or_b32 exec_lo, exec_lo, s23
	v_add_f32_e32 v113, v42, v113
	v_and_b32_e32 v13, 0x7f800000, v113
	v_cmp_ne_u32_e32 vcc_lo, 0x7f800000, v13
	v_mov_b32_e32 v13, 0x8000
	s_and_saveexec_b32 s23, vcc_lo
	s_cbranch_execz .LBB6_9698
; %bb.9691:                             ;   in Loop: Header=BB6_7994 Depth=3
	v_mov_b32_e32 v13, 0
	s_mov_b32 s72, exec_lo
	v_cmpx_ne_u32_e32 0, v113
	s_cbranch_execz .LBB6_9697
; %bb.9692:                             ;   in Loop: Header=BB6_7994 Depth=3
	v_bfe_u32 v42, v113, 23, 8
	v_and_b32_e32 v13, 0x7fffff, v113
	v_cmp_gt_u32_e64 s16, 0x71, v42
	v_sub_nc_u32_e32 v45, 0x70, v42
	v_cmp_eq_u32_e32 vcc_lo, 0, v42
	v_or_b32_e32 v57, 0x800000, v13
	v_cndmask_b32_e64 v45, 0, v45, s16
	v_cndmask_b32_e32 v13, v57, v13, vcc_lo
	v_cndmask_b32_e64 v45, v45, 0x6f, vcc_lo
	v_lshl_add_u32 v57, 0x200000, v45, -1
	v_lshlrev_b32_e64 v60, v45, 0x100000
	v_and_b32_e32 v57, v57, v13
	v_cmp_eq_u32_e64 s16, v57, v60
	v_lshrrev_b32_e32 v57, v45, v13
	v_add_nc_u32_e32 v13, 0xffffff91, v42
	v_lshrrev_b32_e32 v42, 23, v57
	v_cndmask_b32_e64 v13, v13, 0xffffff92, vcc_lo
	v_xor_b32_e32 v42, 1, v42
	v_add_nc_u32_e32 v13, v45, v13
	v_bfe_u32 v45, v57, 21, 1
	v_add_nc_u32_e32 v45, -1, v45
	v_cndmask_b32_e64 v45, 0, v45, s16
	s_mov_b32 s16, exec_lo
	v_add_nc_u32_e32 v45, v45, v57
	v_and_b32_e32 v45, 0x1fffff, v45
	v_add_nc_u32_e32 v45, v45, v57
                                        ; implicit-def: $vgpr57
	v_cmpx_ne_u32_e64 v13, v42
	s_xor_b32 s16, exec_lo, s16
; %bb.9693:                             ;   in Loop: Header=BB6_7994 Depth=3
	v_cmp_lt_u32_e32 vcc_lo, 0xffffff, v45
	v_sub_nc_u32_e32 v13, v13, v42
	v_cndmask_b32_e64 v42, 0, 1, vcc_lo
	v_add_co_ci_u32_e64 v57, null, 0, v13, vcc_lo
	v_lshrrev_b32_e32 v45, v42, v45
; %bb.9694:                             ;   in Loop: Header=BB6_7994 Depth=3
	s_andn2_saveexec_b32 s16, s16
; %bb.9695:                             ;   in Loop: Header=BB6_7994 Depth=3
	v_bfe_u32 v57, v45, 23, 1
; %bb.9696:                             ;   in Loop: Header=BB6_7994 Depth=3
	s_or_b32 exec_lo, exec_lo, s16
	v_and_b32_sdwa v13, v113, v117 dst_sel:DWORD dst_unused:UNUSED_PAD src0_sel:BYTE_3 src1_sel:DWORD
	v_lshrrev_b32_e32 v113, 21, v45
	v_min_i32_e32 v42, 31, v57
	v_cmp_gt_i32_e32 vcc_lo, 32, v57
	v_lshlrev_b32_e32 v42, 2, v42
	v_cndmask_b32_e32 v113, 3, v113, vcc_lo
	v_and_b32_e32 v42, 0xfc, v42
	v_or_b32_e32 v45, v57, v113
	v_and_b32_e32 v113, 3, v113
	v_cmp_ne_u32_e32 vcc_lo, 0, v45
	v_or3_b32 v13, v13, v42, v113
	v_lshlrev_b32_e32 v13, 8, v13
	v_cndmask_b32_e32 v13, 0, v13, vcc_lo
.LBB6_9697:                             ;   in Loop: Header=BB6_7994 Depth=3
	s_or_b32 exec_lo, exec_lo, s72
.LBB6_9698:                             ;   in Loop: Header=BB6_7994 Depth=3
	s_or_b32 exec_lo, exec_lo, s23
	v_or_b32_e32 v45, v121, v110
	s_mov_b32 s23, 0
	v_cmp_gt_i16_sdwa s16, v45, v116 src0_sel:BYTE_0 src1_sel:DWORD
	s_and_saveexec_b32 s72, s16
	s_xor_b32 s16, exec_lo, s72
	s_cbranch_execz .LBB6_10464
; %bb.9699:                             ;   in Loop: Header=BB6_7994 Depth=3
	v_cmp_eq_u16_sdwa s73, v45, v117 src0_sel:BYTE_0 src1_sel:DWORD
	s_mov_b32 s23, -1
	s_and_saveexec_b32 s72, s73
; %bb.9700:                             ;   in Loop: Header=BB6_7994 Depth=3
	s_xor_b32 s23, exec_lo, -1
; %bb.9701:                             ;   in Loop: Header=BB6_7994 Depth=3
	s_or_b32 exec_lo, exec_lo, s72
	s_and_b32 s23, s23, exec_lo
	s_or_saveexec_b32 s16, s16
	v_mov_b32_e32 v113, 0x7f800001
	s_xor_b32 exec_lo, exec_lo, s16
	s_cbranch_execnz .LBB6_10465
.LBB6_9702:                             ;   in Loop: Header=BB6_7994 Depth=3
	s_or_b32 exec_lo, exec_lo, s16
	s_and_saveexec_b32 s16, s23
	s_cbranch_execz .LBB6_9704
.LBB6_9703:                             ;   in Loop: Header=BB6_7994 Depth=3
	v_and_b32_e32 v113, 3, v45
	v_bfe_u32 v42, v45, 2, 5
	v_ffbh_u32_e32 v57, v113
	v_cmp_eq_u32_e32 vcc_lo, 0, v42
	v_min_u32_e32 v57, 32, v57
	v_subrev_nc_u32_e32 v60, 29, v57
	v_sub_nc_u32_e32 v57, 30, v57
	v_lshlrev_b32_e32 v60, v60, v45
	v_cndmask_b32_e32 v42, v42, v57, vcc_lo
	v_lshlrev_b32_e32 v57, 24, v45
	v_and_b32_e32 v60, 3, v60
	v_lshl_add_u32 v42, v42, 23, 0x37800000
	v_and_b32_e32 v57, 0x80000000, v57
	v_cndmask_b32_e32 v113, v113, v60, vcc_lo
	v_lshlrev_b32_e32 v113, 21, v113
	v_or3_b32 v113, v57, v42, v113
.LBB6_9704:                             ;   in Loop: Header=BB6_7994 Depth=3
	s_or_b32 exec_lo, exec_lo, s16
	v_cmp_gt_i16_sdwa s16, v14, v116 src0_sel:BYTE_0 src1_sel:DWORD
	s_mov_b32 s23, 0
	s_and_saveexec_b32 s72, s16
	s_xor_b32 s16, exec_lo, s72
	s_cbranch_execz .LBB6_10466
; %bb.9705:                             ;   in Loop: Header=BB6_7994 Depth=3
	v_cmp_eq_u16_sdwa s73, v14, v117 src0_sel:BYTE_0 src1_sel:DWORD
	s_mov_b32 s23, -1
	s_and_saveexec_b32 s72, s73
; %bb.9706:                             ;   in Loop: Header=BB6_7994 Depth=3
	s_xor_b32 s23, exec_lo, -1
; %bb.9707:                             ;   in Loop: Header=BB6_7994 Depth=3
	s_or_b32 exec_lo, exec_lo, s72
	s_and_b32 s23, s23, exec_lo
	s_or_saveexec_b32 s16, s16
	v_mov_b32_e32 v42, 0x7f800001
	s_xor_b32 exec_lo, exec_lo, s16
	s_cbranch_execnz .LBB6_10467
.LBB6_9708:                             ;   in Loop: Header=BB6_7994 Depth=3
	s_or_b32 exec_lo, exec_lo, s16
	s_and_saveexec_b32 s16, s23
	s_cbranch_execz .LBB6_9710
.LBB6_9709:                             ;   in Loop: Header=BB6_7994 Depth=3
	v_and_b32_e32 v42, 3, v14
	v_bfe_u32 v57, v14, 2, 5
	v_ffbh_u32_e32 v60, v42
	v_cmp_eq_u32_e32 vcc_lo, 0, v57
	v_min_u32_e32 v60, 32, v60
	v_subrev_nc_u32_e32 v61, 29, v60
	v_sub_nc_u32_e32 v60, 30, v60
	v_lshlrev_b32_e32 v61, v61, v14
	v_cndmask_b32_e32 v57, v57, v60, vcc_lo
	v_lshlrev_b32_e32 v60, 24, v14
	v_and_b32_e32 v61, 3, v61
	v_lshl_add_u32 v57, v57, 23, 0x37800000
	v_and_b32_e32 v60, 0x80000000, v60
	v_cndmask_b32_e32 v42, v42, v61, vcc_lo
	v_lshlrev_b32_e32 v42, 21, v42
	v_or3_b32 v42, v60, v57, v42
.LBB6_9710:                             ;   in Loop: Header=BB6_7994 Depth=3
	s_or_b32 exec_lo, exec_lo, s16
	v_add_f32_e32 v42, v113, v42
	v_and_b32_e32 v113, 0x7f800000, v42
	v_cmp_ne_u32_e32 vcc_lo, 0x7f800000, v113
	v_mov_b32_e32 v113, 0x80
	s_and_saveexec_b32 s23, vcc_lo
	s_cbranch_execz .LBB6_9718
; %bb.9711:                             ;   in Loop: Header=BB6_7994 Depth=3
	v_mov_b32_e32 v113, 0
	s_mov_b32 s72, exec_lo
	v_cmpx_ne_u32_e32 0, v42
	s_cbranch_execz .LBB6_9717
; %bb.9712:                             ;   in Loop: Header=BB6_7994 Depth=3
	v_bfe_u32 v57, v42, 23, 8
	v_and_b32_e32 v113, 0x7fffff, v42
	v_cmp_gt_u32_e64 s16, 0x71, v57
	v_sub_nc_u32_e32 v60, 0x70, v57
	v_cmp_eq_u32_e32 vcc_lo, 0, v57
	v_or_b32_e32 v61, 0x800000, v113
	v_cndmask_b32_e64 v60, 0, v60, s16
	v_cndmask_b32_e32 v113, v61, v113, vcc_lo
	v_cndmask_b32_e64 v60, v60, 0x6f, vcc_lo
	v_lshl_add_u32 v61, 0x200000, v60, -1
	v_lshlrev_b32_e64 v62, v60, 0x100000
	v_and_b32_e32 v61, v61, v113
	v_cmp_eq_u32_e64 s16, v61, v62
	v_lshrrev_b32_e32 v61, v60, v113
	v_add_nc_u32_e32 v113, 0xffffff91, v57
	v_lshrrev_b32_e32 v57, 23, v61
	v_cndmask_b32_e64 v113, v113, 0xffffff92, vcc_lo
	v_xor_b32_e32 v57, 1, v57
	v_add_nc_u32_e32 v113, v60, v113
	v_bfe_u32 v60, v61, 21, 1
	v_add_nc_u32_e32 v60, -1, v60
	v_cndmask_b32_e64 v60, 0, v60, s16
	s_mov_b32 s16, exec_lo
	v_add_nc_u32_e32 v60, v60, v61
	v_and_b32_e32 v60, 0x1fffff, v60
	v_add_nc_u32_e32 v60, v60, v61
                                        ; implicit-def: $vgpr61
	v_cmpx_ne_u32_e64 v113, v57
	s_xor_b32 s16, exec_lo, s16
; %bb.9713:                             ;   in Loop: Header=BB6_7994 Depth=3
	v_cmp_lt_u32_e32 vcc_lo, 0xffffff, v60
	v_sub_nc_u32_e32 v113, v113, v57
	v_cndmask_b32_e64 v57, 0, 1, vcc_lo
	v_add_co_ci_u32_e64 v61, null, 0, v113, vcc_lo
	v_lshrrev_b32_e32 v60, v57, v60
; %bb.9714:                             ;   in Loop: Header=BB6_7994 Depth=3
	s_andn2_saveexec_b32 s16, s16
; %bb.9715:                             ;   in Loop: Header=BB6_7994 Depth=3
	v_bfe_u32 v61, v60, 23, 1
; %bb.9716:                             ;   in Loop: Header=BB6_7994 Depth=3
	s_or_b32 exec_lo, exec_lo, s16
	v_and_b32_sdwa v113, v42, v117 dst_sel:DWORD dst_unused:UNUSED_PAD src0_sel:BYTE_3 src1_sel:DWORD
	v_lshrrev_b32_e32 v42, 21, v60
	v_min_i32_e32 v57, 31, v61
	v_cmp_gt_i32_e32 vcc_lo, 32, v61
	v_lshlrev_b32_e32 v57, 2, v57
	v_cndmask_b32_e32 v42, 3, v42, vcc_lo
	v_and_b32_e32 v57, 0xfc, v57
	v_or_b32_e32 v60, v61, v42
	v_and_b32_e32 v42, 3, v42
	v_cmp_ne_u32_e32 vcc_lo, 0, v60
	v_or3_b32 v113, v57, v113, v42
	v_cndmask_b32_e32 v113, 0, v113, vcc_lo
.LBB6_9717:                             ;   in Loop: Header=BB6_7994 Depth=3
	s_or_b32 exec_lo, exec_lo, s72
.LBB6_9718:                             ;   in Loop: Header=BB6_7994 Depth=3
	s_or_b32 exec_lo, exec_lo, s23
	v_cmp_gt_i16_sdwa s23, v45, v116 src0_sel:BYTE_1 src1_sel:DWORD
	s_mov_b32 s16, 0
	s_and_saveexec_b32 s72, s23
	s_xor_b32 s23, exec_lo, s72
	s_cbranch_execz .LBB6_10468
; %bb.9719:                             ;   in Loop: Header=BB6_7994 Depth=3
	v_cmp_eq_u16_sdwa s73, v45, v117 src0_sel:BYTE_1 src1_sel:DWORD
	s_mov_b32 s16, -1
	s_and_saveexec_b32 s72, s73
; %bb.9720:                             ;   in Loop: Header=BB6_7994 Depth=3
	s_xor_b32 s16, exec_lo, -1
; %bb.9721:                             ;   in Loop: Header=BB6_7994 Depth=3
	s_or_b32 exec_lo, exec_lo, s72
	s_and_b32 s16, s16, exec_lo
	s_or_saveexec_b32 s23, s23
	v_mov_b32_e32 v42, 0x7f800001
	s_xor_b32 exec_lo, exec_lo, s23
	s_cbranch_execnz .LBB6_10469
.LBB6_9722:                             ;   in Loop: Header=BB6_7994 Depth=3
	s_or_b32 exec_lo, exec_lo, s23
	s_and_saveexec_b32 s23, s16
	s_cbranch_execz .LBB6_9724
.LBB6_9723:                             ;   in Loop: Header=BB6_7994 Depth=3
	v_and_b32_sdwa v42, v118, v45 dst_sel:DWORD dst_unused:UNUSED_PAD src0_sel:DWORD src1_sel:BYTE_1
	v_and_b32_e32 v57, 3, v42
	v_bfe_u32 v62, v42, 2, 5
	v_ffbh_u32_e32 v60, v57
	v_cmp_eq_u32_e32 vcc_lo, 0, v62
	v_min_u32_e32 v60, 32, v60
	v_subrev_nc_u32_e32 v61, 29, v60
	v_sub_nc_u32_e32 v60, 30, v60
	v_lshlrev_b32_e32 v42, v61, v42
	v_lshlrev_b32_sdwa v61, v119, v45 dst_sel:DWORD dst_unused:UNUSED_PAD src0_sel:DWORD src1_sel:BYTE_1
	v_cndmask_b32_e32 v60, v62, v60, vcc_lo
	v_and_b32_e32 v42, 3, v42
	v_lshl_add_u32 v60, v60, 23, 0x37800000
	v_cndmask_b32_e32 v42, v57, v42, vcc_lo
	v_and_b32_e32 v57, 0x80000000, v61
	v_lshlrev_b32_e32 v42, 21, v42
	v_or3_b32 v42, v57, v60, v42
.LBB6_9724:                             ;   in Loop: Header=BB6_7994 Depth=3
	s_or_b32 exec_lo, exec_lo, s23
	v_cmp_gt_i16_sdwa s23, v14, v116 src0_sel:BYTE_1 src1_sel:DWORD
	s_mov_b32 s16, 0
	s_and_saveexec_b32 s72, s23
	s_xor_b32 s23, exec_lo, s72
	s_cbranch_execz .LBB6_10470
; %bb.9725:                             ;   in Loop: Header=BB6_7994 Depth=3
	v_cmp_eq_u16_sdwa s73, v14, v117 src0_sel:BYTE_1 src1_sel:DWORD
	s_mov_b32 s16, -1
	s_and_saveexec_b32 s72, s73
; %bb.9726:                             ;   in Loop: Header=BB6_7994 Depth=3
	s_xor_b32 s16, exec_lo, -1
; %bb.9727:                             ;   in Loop: Header=BB6_7994 Depth=3
	s_or_b32 exec_lo, exec_lo, s72
	s_and_b32 s16, s16, exec_lo
	s_or_saveexec_b32 s23, s23
	v_mov_b32_e32 v57, 0x7f800001
	s_xor_b32 exec_lo, exec_lo, s23
	s_cbranch_execnz .LBB6_10471
.LBB6_9728:                             ;   in Loop: Header=BB6_7994 Depth=3
	s_or_b32 exec_lo, exec_lo, s23
	s_and_saveexec_b32 s23, s16
	s_cbranch_execz .LBB6_9730
.LBB6_9729:                             ;   in Loop: Header=BB6_7994 Depth=3
	v_and_b32_sdwa v57, v118, v14 dst_sel:DWORD dst_unused:UNUSED_PAD src0_sel:DWORD src1_sel:BYTE_1
	v_and_b32_e32 v60, 3, v57
	v_bfe_u32 v63, v57, 2, 5
	v_ffbh_u32_e32 v61, v60
	v_cmp_eq_u32_e32 vcc_lo, 0, v63
	v_min_u32_e32 v61, 32, v61
	v_subrev_nc_u32_e32 v62, 29, v61
	v_sub_nc_u32_e32 v61, 30, v61
	v_lshlrev_b32_e32 v57, v62, v57
	v_lshlrev_b32_sdwa v62, v119, v14 dst_sel:DWORD dst_unused:UNUSED_PAD src0_sel:DWORD src1_sel:BYTE_1
	v_cndmask_b32_e32 v61, v63, v61, vcc_lo
	v_and_b32_e32 v57, 3, v57
	v_lshl_add_u32 v61, v61, 23, 0x37800000
	v_cndmask_b32_e32 v57, v60, v57, vcc_lo
	v_and_b32_e32 v60, 0x80000000, v62
	v_lshlrev_b32_e32 v57, 21, v57
	v_or3_b32 v57, v60, v61, v57
.LBB6_9730:                             ;   in Loop: Header=BB6_7994 Depth=3
	s_or_b32 exec_lo, exec_lo, s23
	v_add_f32_e32 v57, v42, v57
	v_and_b32_e32 v42, 0x7f800000, v57
	v_cmp_ne_u32_e32 vcc_lo, 0x7f800000, v42
	v_mov_b32_e32 v42, 0x8000
	s_and_saveexec_b32 s23, vcc_lo
	s_cbranch_execz .LBB6_9738
; %bb.9731:                             ;   in Loop: Header=BB6_7994 Depth=3
	v_mov_b32_e32 v42, 0
	s_mov_b32 s72, exec_lo
	v_cmpx_ne_u32_e32 0, v57
	s_cbranch_execz .LBB6_9737
; %bb.9732:                             ;   in Loop: Header=BB6_7994 Depth=3
	v_bfe_u32 v60, v57, 23, 8
	v_and_b32_e32 v42, 0x7fffff, v57
	v_cmp_gt_u32_e64 s16, 0x71, v60
	v_sub_nc_u32_e32 v61, 0x70, v60
	v_cmp_eq_u32_e32 vcc_lo, 0, v60
	v_or_b32_e32 v62, 0x800000, v42
	v_cndmask_b32_e64 v61, 0, v61, s16
	v_cndmask_b32_e32 v42, v62, v42, vcc_lo
	v_cndmask_b32_e64 v61, v61, 0x6f, vcc_lo
	v_lshl_add_u32 v62, 0x200000, v61, -1
	v_lshlrev_b32_e64 v63, v61, 0x100000
	v_and_b32_e32 v62, v62, v42
	v_cmp_eq_u32_e64 s16, v62, v63
	v_lshrrev_b32_e32 v62, v61, v42
	v_add_nc_u32_e32 v42, 0xffffff91, v60
	v_lshrrev_b32_e32 v60, 23, v62
	v_cndmask_b32_e64 v42, v42, 0xffffff92, vcc_lo
	v_xor_b32_e32 v60, 1, v60
	v_add_nc_u32_e32 v42, v61, v42
	v_bfe_u32 v61, v62, 21, 1
	v_add_nc_u32_e32 v61, -1, v61
	v_cndmask_b32_e64 v61, 0, v61, s16
	s_mov_b32 s16, exec_lo
	v_add_nc_u32_e32 v61, v61, v62
	v_and_b32_e32 v61, 0x1fffff, v61
	v_add_nc_u32_e32 v61, v61, v62
                                        ; implicit-def: $vgpr62
	v_cmpx_ne_u32_e64 v42, v60
	s_xor_b32 s16, exec_lo, s16
; %bb.9733:                             ;   in Loop: Header=BB6_7994 Depth=3
	v_cmp_lt_u32_e32 vcc_lo, 0xffffff, v61
	v_sub_nc_u32_e32 v42, v42, v60
	v_cndmask_b32_e64 v60, 0, 1, vcc_lo
	v_add_co_ci_u32_e64 v62, null, 0, v42, vcc_lo
	v_lshrrev_b32_e32 v61, v60, v61
; %bb.9734:                             ;   in Loop: Header=BB6_7994 Depth=3
	s_andn2_saveexec_b32 s16, s16
; %bb.9735:                             ;   in Loop: Header=BB6_7994 Depth=3
	v_bfe_u32 v62, v61, 23, 1
; %bb.9736:                             ;   in Loop: Header=BB6_7994 Depth=3
	s_or_b32 exec_lo, exec_lo, s16
	v_and_b32_sdwa v42, v57, v117 dst_sel:DWORD dst_unused:UNUSED_PAD src0_sel:BYTE_3 src1_sel:DWORD
	v_lshrrev_b32_e32 v57, 21, v61
	v_min_i32_e32 v60, 31, v62
	v_cmp_gt_i32_e32 vcc_lo, 32, v62
	v_lshlrev_b32_e32 v60, 2, v60
	v_cndmask_b32_e32 v57, 3, v57, vcc_lo
	v_and_b32_e32 v60, 0xfc, v60
	v_or_b32_e32 v61, v62, v57
	v_and_b32_e32 v57, 3, v57
	v_cmp_ne_u32_e32 vcc_lo, 0, v61
	v_or3_b32 v42, v42, v60, v57
	v_lshlrev_b32_e32 v42, 8, v42
	v_cndmask_b32_e32 v42, 0, v42, vcc_lo
.LBB6_9737:                             ;   in Loop: Header=BB6_7994 Depth=3
	s_or_b32 exec_lo, exec_lo, s72
.LBB6_9738:                             ;   in Loop: Header=BB6_7994 Depth=3
	s_or_b32 exec_lo, exec_lo, s23
	v_or_b32_e32 v57, v112, v108
	s_mov_b32 s23, 0
	v_cmp_gt_i16_sdwa s16, v57, v116 src0_sel:BYTE_0 src1_sel:DWORD
	s_and_saveexec_b32 s72, s16
	s_xor_b32 s16, exec_lo, s72
	s_cbranch_execz .LBB6_10472
; %bb.9739:                             ;   in Loop: Header=BB6_7994 Depth=3
	v_cmp_eq_u16_sdwa s73, v57, v117 src0_sel:BYTE_0 src1_sel:DWORD
	s_mov_b32 s23, -1
	s_and_saveexec_b32 s72, s73
; %bb.9740:                             ;   in Loop: Header=BB6_7994 Depth=3
	s_xor_b32 s23, exec_lo, -1
; %bb.9741:                             ;   in Loop: Header=BB6_7994 Depth=3
	s_or_b32 exec_lo, exec_lo, s72
	s_and_b32 s23, s23, exec_lo
	s_or_saveexec_b32 s16, s16
	v_mov_b32_e32 v112, 0x7f800001
	s_xor_b32 exec_lo, exec_lo, s16
	s_cbranch_execnz .LBB6_10473
.LBB6_9742:                             ;   in Loop: Header=BB6_7994 Depth=3
	s_or_b32 exec_lo, exec_lo, s16
	v_lshl_or_b32 v45, v57, 16, v45
	s_and_saveexec_b32 s16, s23
	s_cbranch_execz .LBB6_9744
.LBB6_9743:                             ;   in Loop: Header=BB6_7994 Depth=3
	v_bfe_u32 v112, v45, 16, 2
	v_bfe_u32 v57, v45, 18, 5
	v_ffbh_u32_e32 v60, v112
	v_cmp_eq_u32_e32 vcc_lo, 0, v57
	v_min_u32_e32 v60, 32, v60
	v_subrev_nc_u32_e32 v61, 29, v60
	v_sub_nc_u32_e32 v60, 30, v60
	v_lshlrev_b32_sdwa v61, v61, v45 dst_sel:DWORD dst_unused:UNUSED_PAD src0_sel:DWORD src1_sel:WORD_1
	v_cndmask_b32_e32 v57, v57, v60, vcc_lo
	v_lshlrev_b32_e32 v60, 8, v45
	v_and_b32_e32 v61, 3, v61
	v_lshl_add_u32 v57, v57, 23, 0x37800000
	v_and_b32_e32 v60, 0x80000000, v60
	v_cndmask_b32_e32 v112, v112, v61, vcc_lo
	v_lshlrev_b32_e32 v112, 21, v112
	v_or3_b32 v112, v60, v57, v112
.LBB6_9744:                             ;   in Loop: Header=BB6_7994 Depth=3
	s_or_b32 exec_lo, exec_lo, s16
	v_and_b32_sdwa v60, v14, v40 dst_sel:DWORD dst_unused:UNUSED_PAD src0_sel:WORD_1 src1_sel:DWORD
	s_mov_b32 s23, 0
	s_mov_b32 s16, exec_lo
	v_cmpx_lt_i16_e32 0x7f, v60
	s_xor_b32 s16, exec_lo, s16
	s_cbranch_execz .LBB6_10474
; %bb.9745:                             ;   in Loop: Header=BB6_7994 Depth=3
	s_mov_b32 s23, -1
	s_mov_b32 s72, exec_lo
	v_cmpx_eq_u16_e32 0x80, v60
; %bb.9746:                             ;   in Loop: Header=BB6_7994 Depth=3
	s_xor_b32 s23, exec_lo, -1
; %bb.9747:                             ;   in Loop: Header=BB6_7994 Depth=3
	s_or_b32 exec_lo, exec_lo, s72
	s_and_b32 s23, s23, exec_lo
                                        ; implicit-def: $vgpr60
	s_or_saveexec_b32 s16, s16
	v_mov_b32_e32 v57, 0x7f800001
	s_xor_b32 exec_lo, exec_lo, s16
	s_cbranch_execnz .LBB6_10475
.LBB6_9748:                             ;   in Loop: Header=BB6_7994 Depth=3
	s_or_b32 exec_lo, exec_lo, s16
	s_and_saveexec_b32 s16, s23
	s_cbranch_execz .LBB6_9750
.LBB6_9749:                             ;   in Loop: Header=BB6_7994 Depth=3
	v_bfe_u32 v57, v14, 16, 2
	v_bfe_u32 v60, v14, 18, 5
	v_ffbh_u32_e32 v61, v57
	v_cmp_eq_u32_e32 vcc_lo, 0, v60
	v_min_u32_e32 v61, 32, v61
	v_subrev_nc_u32_e32 v62, 29, v61
	v_sub_nc_u32_e32 v61, 30, v61
	v_lshlrev_b32_sdwa v62, v62, v14 dst_sel:DWORD dst_unused:UNUSED_PAD src0_sel:DWORD src1_sel:WORD_1
	v_cndmask_b32_e32 v60, v60, v61, vcc_lo
	v_lshlrev_b32_e32 v61, 8, v14
	v_and_b32_e32 v62, 3, v62
	v_lshl_add_u32 v60, v60, 23, 0x37800000
	v_and_b32_e32 v61, 0x80000000, v61
	v_cndmask_b32_e32 v57, v57, v62, vcc_lo
	v_lshlrev_b32_e32 v57, 21, v57
	v_or3_b32 v57, v61, v60, v57
.LBB6_9750:                             ;   in Loop: Header=BB6_7994 Depth=3
	s_or_b32 exec_lo, exec_lo, s16
	v_add_f32_e32 v57, v112, v57
	v_and_b32_e32 v112, 0x7f800000, v57
	v_cmp_ne_u32_e32 vcc_lo, 0x7f800000, v112
	v_mov_b32_e32 v112, 0x80
	s_and_saveexec_b32 s23, vcc_lo
	s_cbranch_execz .LBB6_9758
; %bb.9751:                             ;   in Loop: Header=BB6_7994 Depth=3
	v_mov_b32_e32 v112, 0
	s_mov_b32 s72, exec_lo
	v_cmpx_ne_u32_e32 0, v57
	s_cbranch_execz .LBB6_9757
; %bb.9752:                             ;   in Loop: Header=BB6_7994 Depth=3
	v_bfe_u32 v60, v57, 23, 8
	v_and_b32_e32 v112, 0x7fffff, v57
	v_cmp_gt_u32_e64 s16, 0x71, v60
	v_sub_nc_u32_e32 v61, 0x70, v60
	v_cmp_eq_u32_e32 vcc_lo, 0, v60
	v_or_b32_e32 v62, 0x800000, v112
	v_cndmask_b32_e64 v61, 0, v61, s16
	v_cndmask_b32_e32 v112, v62, v112, vcc_lo
	v_cndmask_b32_e64 v61, v61, 0x6f, vcc_lo
	v_lshl_add_u32 v62, 0x200000, v61, -1
	v_lshlrev_b32_e64 v63, v61, 0x100000
	v_and_b32_e32 v62, v62, v112
	v_cmp_eq_u32_e64 s16, v62, v63
	v_lshrrev_b32_e32 v62, v61, v112
	v_add_nc_u32_e32 v112, 0xffffff91, v60
	v_lshrrev_b32_e32 v60, 23, v62
	v_cndmask_b32_e64 v112, v112, 0xffffff92, vcc_lo
	v_xor_b32_e32 v60, 1, v60
	v_add_nc_u32_e32 v112, v61, v112
	v_bfe_u32 v61, v62, 21, 1
	v_add_nc_u32_e32 v61, -1, v61
	v_cndmask_b32_e64 v61, 0, v61, s16
	s_mov_b32 s16, exec_lo
	v_add_nc_u32_e32 v61, v61, v62
	v_and_b32_e32 v61, 0x1fffff, v61
	v_add_nc_u32_e32 v61, v61, v62
                                        ; implicit-def: $vgpr62
	v_cmpx_ne_u32_e64 v112, v60
	s_xor_b32 s16, exec_lo, s16
; %bb.9753:                             ;   in Loop: Header=BB6_7994 Depth=3
	v_cmp_lt_u32_e32 vcc_lo, 0xffffff, v61
	v_sub_nc_u32_e32 v112, v112, v60
	v_cndmask_b32_e64 v60, 0, 1, vcc_lo
	v_add_co_ci_u32_e64 v62, null, 0, v112, vcc_lo
	v_lshrrev_b32_e32 v61, v60, v61
; %bb.9754:                             ;   in Loop: Header=BB6_7994 Depth=3
	s_andn2_saveexec_b32 s16, s16
; %bb.9755:                             ;   in Loop: Header=BB6_7994 Depth=3
	v_bfe_u32 v62, v61, 23, 1
; %bb.9756:                             ;   in Loop: Header=BB6_7994 Depth=3
	s_or_b32 exec_lo, exec_lo, s16
	v_and_b32_sdwa v112, v57, v117 dst_sel:DWORD dst_unused:UNUSED_PAD src0_sel:BYTE_3 src1_sel:DWORD
	v_lshrrev_b32_e32 v57, 21, v61
	v_min_i32_e32 v60, 31, v62
	v_cmp_gt_i32_e32 vcc_lo, 32, v62
	v_lshlrev_b32_e32 v60, 2, v60
	v_cndmask_b32_e32 v57, 3, v57, vcc_lo
	v_and_b32_e32 v60, 0xfc, v60
	v_or_b32_e32 v61, v62, v57
	v_and_b32_e32 v57, 3, v57
	v_cmp_ne_u32_e32 vcc_lo, 0, v61
	v_or3_b32 v112, v60, v112, v57
	v_cndmask_b32_e32 v112, 0, v112, vcc_lo
.LBB6_9757:                             ;   in Loop: Header=BB6_7994 Depth=3
	s_or_b32 exec_lo, exec_lo, s72
.LBB6_9758:                             ;   in Loop: Header=BB6_7994 Depth=3
	s_or_b32 exec_lo, exec_lo, s23
	v_cmp_gt_i16_sdwa s23, v45, v116 src0_sel:BYTE_3 src1_sel:DWORD
	s_mov_b32 s16, 0
	s_and_saveexec_b32 s72, s23
	s_xor_b32 s23, exec_lo, s72
	s_cbranch_execz .LBB6_10476
; %bb.9759:                             ;   in Loop: Header=BB6_7994 Depth=3
	v_cmp_eq_u16_sdwa s73, v45, v117 src0_sel:BYTE_3 src1_sel:DWORD
	s_mov_b32 s16, -1
	s_and_saveexec_b32 s72, s73
; %bb.9760:                             ;   in Loop: Header=BB6_7994 Depth=3
	s_xor_b32 s16, exec_lo, -1
; %bb.9761:                             ;   in Loop: Header=BB6_7994 Depth=3
	s_or_b32 exec_lo, exec_lo, s72
	s_and_b32 s16, s16, exec_lo
	s_or_saveexec_b32 s23, s23
	v_mov_b32_e32 v57, 0x7f800001
	s_xor_b32 exec_lo, exec_lo, s23
	s_cbranch_execnz .LBB6_10477
.LBB6_9762:                             ;   in Loop: Header=BB6_7994 Depth=3
	s_or_b32 exec_lo, exec_lo, s23
	s_and_saveexec_b32 s23, s16
	s_cbranch_execz .LBB6_9764
.LBB6_9763:                             ;   in Loop: Header=BB6_7994 Depth=3
	v_bfe_u32 v57, v45, 24, 2
	v_bfe_u32 v62, v45, 26, 5
	v_ffbh_u32_e32 v60, v57
	v_cmp_eq_u32_e32 vcc_lo, 0, v62
	v_min_u32_e32 v60, 32, v60
	v_subrev_nc_u32_e32 v61, 29, v60
	v_sub_nc_u32_e32 v60, 30, v60
	v_lshlrev_b32_sdwa v61, v61, v45 dst_sel:DWORD dst_unused:UNUSED_PAD src0_sel:DWORD src1_sel:BYTE_3
	v_cndmask_b32_e32 v60, v62, v60, vcc_lo
	v_and_b32_e32 v45, 0x80000000, v45
	v_and_b32_e32 v61, 3, v61
	v_lshl_add_u32 v60, v60, 23, 0x37800000
	v_cndmask_b32_e32 v57, v57, v61, vcc_lo
	v_lshlrev_b32_e32 v57, 21, v57
	v_or3_b32 v57, v45, v60, v57
.LBB6_9764:                             ;   in Loop: Header=BB6_7994 Depth=3
	s_or_b32 exec_lo, exec_lo, s23
	v_cmp_gt_i16_sdwa s23, v14, v116 src0_sel:BYTE_3 src1_sel:DWORD
	s_mov_b32 s16, 0
	s_and_saveexec_b32 s72, s23
	s_xor_b32 s23, exec_lo, s72
	s_cbranch_execz .LBB6_10478
; %bb.9765:                             ;   in Loop: Header=BB6_7994 Depth=3
	v_cmp_eq_u16_sdwa s73, v14, v117 src0_sel:BYTE_3 src1_sel:DWORD
	s_mov_b32 s16, -1
	s_and_saveexec_b32 s72, s73
; %bb.9766:                             ;   in Loop: Header=BB6_7994 Depth=3
	s_xor_b32 s16, exec_lo, -1
; %bb.9767:                             ;   in Loop: Header=BB6_7994 Depth=3
	s_or_b32 exec_lo, exec_lo, s72
	s_and_b32 s16, s16, exec_lo
	s_or_saveexec_b32 s23, s23
	v_mov_b32_e32 v45, 0x7f800001
	s_xor_b32 exec_lo, exec_lo, s23
	s_cbranch_execnz .LBB6_10479
.LBB6_9768:                             ;   in Loop: Header=BB6_7994 Depth=3
	s_or_b32 exec_lo, exec_lo, s23
	s_and_saveexec_b32 s23, s16
	s_cbranch_execz .LBB6_9770
.LBB6_9769:                             ;   in Loop: Header=BB6_7994 Depth=3
	v_bfe_u32 v45, v14, 24, 2
	v_bfe_u32 v62, v14, 26, 5
	v_ffbh_u32_e32 v60, v45
	v_cmp_eq_u32_e32 vcc_lo, 0, v62
	v_min_u32_e32 v60, 32, v60
	v_subrev_nc_u32_e32 v61, 29, v60
	v_sub_nc_u32_e32 v60, 30, v60
	v_lshlrev_b32_sdwa v61, v61, v14 dst_sel:DWORD dst_unused:UNUSED_PAD src0_sel:DWORD src1_sel:BYTE_3
	v_cndmask_b32_e32 v60, v62, v60, vcc_lo
	v_and_b32_e32 v14, 0x80000000, v14
	v_and_b32_e32 v61, 3, v61
	v_lshl_add_u32 v60, v60, 23, 0x37800000
	v_cndmask_b32_e32 v45, v45, v61, vcc_lo
	v_lshlrev_b32_e32 v45, 21, v45
	v_or3_b32 v45, v14, v60, v45
.LBB6_9770:                             ;   in Loop: Header=BB6_7994 Depth=3
	s_or_b32 exec_lo, exec_lo, s23
	v_add_f32_e32 v45, v57, v45
	v_and_b32_e32 v14, 0x7f800000, v45
	v_cmp_ne_u32_e32 vcc_lo, 0x7f800000, v14
	v_mov_b32_e32 v14, 0x8000
	s_and_saveexec_b32 s23, vcc_lo
	s_cbranch_execz .LBB6_9778
; %bb.9771:                             ;   in Loop: Header=BB6_7994 Depth=3
	v_mov_b32_e32 v14, 0
	s_mov_b32 s72, exec_lo
	v_cmpx_ne_u32_e32 0, v45
	s_cbranch_execz .LBB6_9777
; %bb.9772:                             ;   in Loop: Header=BB6_7994 Depth=3
	v_bfe_u32 v57, v45, 23, 8
	v_and_b32_e32 v14, 0x7fffff, v45
	v_cmp_gt_u32_e64 s16, 0x71, v57
	v_sub_nc_u32_e32 v60, 0x70, v57
	v_cmp_eq_u32_e32 vcc_lo, 0, v57
	v_or_b32_e32 v61, 0x800000, v14
	v_cndmask_b32_e64 v60, 0, v60, s16
	v_cndmask_b32_e32 v14, v61, v14, vcc_lo
	v_cndmask_b32_e64 v60, v60, 0x6f, vcc_lo
	v_lshl_add_u32 v61, 0x200000, v60, -1
	v_lshlrev_b32_e64 v62, v60, 0x100000
	v_and_b32_e32 v61, v61, v14
	v_cmp_eq_u32_e64 s16, v61, v62
	v_lshrrev_b32_e32 v61, v60, v14
	v_add_nc_u32_e32 v14, 0xffffff91, v57
	v_lshrrev_b32_e32 v57, 23, v61
	v_cndmask_b32_e64 v14, v14, 0xffffff92, vcc_lo
	v_xor_b32_e32 v57, 1, v57
	v_add_nc_u32_e32 v14, v60, v14
	v_bfe_u32 v60, v61, 21, 1
	v_add_nc_u32_e32 v60, -1, v60
	v_cndmask_b32_e64 v60, 0, v60, s16
	s_mov_b32 s16, exec_lo
	v_add_nc_u32_e32 v60, v60, v61
	v_and_b32_e32 v60, 0x1fffff, v60
	v_add_nc_u32_e32 v60, v60, v61
                                        ; implicit-def: $vgpr61
	v_cmpx_ne_u32_e64 v14, v57
	s_xor_b32 s16, exec_lo, s16
; %bb.9773:                             ;   in Loop: Header=BB6_7994 Depth=3
	v_cmp_lt_u32_e32 vcc_lo, 0xffffff, v60
	v_sub_nc_u32_e32 v14, v14, v57
	v_cndmask_b32_e64 v57, 0, 1, vcc_lo
	v_add_co_ci_u32_e64 v61, null, 0, v14, vcc_lo
	v_lshrrev_b32_e32 v60, v57, v60
; %bb.9774:                             ;   in Loop: Header=BB6_7994 Depth=3
	s_andn2_saveexec_b32 s16, s16
; %bb.9775:                             ;   in Loop: Header=BB6_7994 Depth=3
	v_bfe_u32 v61, v60, 23, 1
; %bb.9776:                             ;   in Loop: Header=BB6_7994 Depth=3
	s_or_b32 exec_lo, exec_lo, s16
	v_and_b32_sdwa v14, v45, v117 dst_sel:DWORD dst_unused:UNUSED_PAD src0_sel:BYTE_3 src1_sel:DWORD
	v_lshrrev_b32_e32 v45, 21, v60
	v_min_i32_e32 v57, 31, v61
	v_cmp_gt_i32_e32 vcc_lo, 32, v61
	v_lshlrev_b32_e32 v57, 2, v57
	v_cndmask_b32_e32 v45, 3, v45, vcc_lo
	v_and_b32_e32 v57, 0xfc, v57
	v_or_b32_e32 v60, v61, v45
	v_and_b32_e32 v45, 3, v45
	v_cmp_ne_u32_e32 vcc_lo, 0, v60
	v_or3_b32 v14, v14, v57, v45
	v_lshlrev_b32_e32 v14, 8, v14
	v_cndmask_b32_e32 v14, 0, v14, vcc_lo
.LBB6_9777:                             ;   in Loop: Header=BB6_7994 Depth=3
	s_or_b32 exec_lo, exec_lo, s72
.LBB6_9778:                             ;   in Loop: Header=BB6_7994 Depth=3
	s_or_b32 exec_lo, exec_lo, s23
	v_or_b32_e32 v45, v109, v51
	s_mov_b32 s23, 0
	v_cmp_gt_i16_sdwa s16, v45, v116 src0_sel:BYTE_0 src1_sel:DWORD
	s_and_saveexec_b32 s72, s16
	s_xor_b32 s16, exec_lo, s72
	s_cbranch_execz .LBB6_10480
; %bb.9779:                             ;   in Loop: Header=BB6_7994 Depth=3
	v_cmp_eq_u16_sdwa s73, v45, v117 src0_sel:BYTE_0 src1_sel:DWORD
	s_mov_b32 s23, -1
	s_and_saveexec_b32 s72, s73
; %bb.9780:                             ;   in Loop: Header=BB6_7994 Depth=3
	s_xor_b32 s23, exec_lo, -1
; %bb.9781:                             ;   in Loop: Header=BB6_7994 Depth=3
	s_or_b32 exec_lo, exec_lo, s72
	s_and_b32 s23, s23, exec_lo
	s_or_saveexec_b32 s16, s16
	v_mov_b32_e32 v51, 0x7f800001
	s_xor_b32 exec_lo, exec_lo, s16
	s_cbranch_execnz .LBB6_10481
.LBB6_9782:                             ;   in Loop: Header=BB6_7994 Depth=3
	s_or_b32 exec_lo, exec_lo, s16
	s_and_saveexec_b32 s16, s23
	s_cbranch_execz .LBB6_9784
.LBB6_9783:                             ;   in Loop: Header=BB6_7994 Depth=3
	v_and_b32_e32 v51, 3, v45
	v_bfe_u32 v57, v45, 2, 5
	v_ffbh_u32_e32 v60, v51
	v_cmp_eq_u32_e32 vcc_lo, 0, v57
	v_min_u32_e32 v60, 32, v60
	v_subrev_nc_u32_e32 v61, 29, v60
	v_sub_nc_u32_e32 v60, 30, v60
	v_lshlrev_b32_e32 v61, v61, v45
	v_cndmask_b32_e32 v57, v57, v60, vcc_lo
	v_lshlrev_b32_e32 v60, 24, v45
	v_and_b32_e32 v61, 3, v61
	v_lshl_add_u32 v57, v57, 23, 0x37800000
	v_and_b32_e32 v60, 0x80000000, v60
	v_cndmask_b32_e32 v51, v51, v61, vcc_lo
	v_lshlrev_b32_e32 v51, 21, v51
	v_or3_b32 v51, v60, v57, v51
.LBB6_9784:                             ;   in Loop: Header=BB6_7994 Depth=3
	s_or_b32 exec_lo, exec_lo, s16
	v_cmp_gt_i16_sdwa s16, v15, v116 src0_sel:BYTE_0 src1_sel:DWORD
	s_mov_b32 s23, 0
	s_and_saveexec_b32 s72, s16
	s_xor_b32 s16, exec_lo, s72
	s_cbranch_execz .LBB6_10482
; %bb.9785:                             ;   in Loop: Header=BB6_7994 Depth=3
	v_cmp_eq_u16_sdwa s73, v15, v117 src0_sel:BYTE_0 src1_sel:DWORD
	s_mov_b32 s23, -1
	s_and_saveexec_b32 s72, s73
; %bb.9786:                             ;   in Loop: Header=BB6_7994 Depth=3
	s_xor_b32 s23, exec_lo, -1
; %bb.9787:                             ;   in Loop: Header=BB6_7994 Depth=3
	s_or_b32 exec_lo, exec_lo, s72
	s_and_b32 s23, s23, exec_lo
	s_or_saveexec_b32 s16, s16
	v_mov_b32_e32 v57, 0x7f800001
	s_xor_b32 exec_lo, exec_lo, s16
	s_cbranch_execnz .LBB6_10483
.LBB6_9788:                             ;   in Loop: Header=BB6_7994 Depth=3
	s_or_b32 exec_lo, exec_lo, s16
	s_and_saveexec_b32 s16, s23
	s_cbranch_execz .LBB6_9790
.LBB6_9789:                             ;   in Loop: Header=BB6_7994 Depth=3
	v_and_b32_e32 v57, 3, v15
	v_bfe_u32 v60, v15, 2, 5
	v_ffbh_u32_e32 v61, v57
	v_cmp_eq_u32_e32 vcc_lo, 0, v60
	v_min_u32_e32 v61, 32, v61
	v_subrev_nc_u32_e32 v62, 29, v61
	v_sub_nc_u32_e32 v61, 30, v61
	v_lshlrev_b32_e32 v62, v62, v15
	v_cndmask_b32_e32 v60, v60, v61, vcc_lo
	v_lshlrev_b32_e32 v61, 24, v15
	v_and_b32_e32 v62, 3, v62
	v_lshl_add_u32 v60, v60, 23, 0x37800000
	v_and_b32_e32 v61, 0x80000000, v61
	v_cndmask_b32_e32 v57, v57, v62, vcc_lo
	v_lshlrev_b32_e32 v57, 21, v57
	v_or3_b32 v57, v61, v60, v57
.LBB6_9790:                             ;   in Loop: Header=BB6_7994 Depth=3
	s_or_b32 exec_lo, exec_lo, s16
	v_add_f32_e32 v57, v51, v57
	v_and_b32_e32 v51, 0x7f800000, v57
	v_cmp_ne_u32_e32 vcc_lo, 0x7f800000, v51
	v_mov_b32_e32 v51, 0x80
	s_and_saveexec_b32 s23, vcc_lo
	s_cbranch_execz .LBB6_9798
; %bb.9791:                             ;   in Loop: Header=BB6_7994 Depth=3
	v_mov_b32_e32 v51, 0
	s_mov_b32 s72, exec_lo
	v_cmpx_ne_u32_e32 0, v57
	s_cbranch_execz .LBB6_9797
; %bb.9792:                             ;   in Loop: Header=BB6_7994 Depth=3
	v_bfe_u32 v60, v57, 23, 8
	v_and_b32_e32 v51, 0x7fffff, v57
	v_cmp_gt_u32_e64 s16, 0x71, v60
	v_sub_nc_u32_e32 v61, 0x70, v60
	v_cmp_eq_u32_e32 vcc_lo, 0, v60
	v_or_b32_e32 v62, 0x800000, v51
	v_cndmask_b32_e64 v61, 0, v61, s16
	v_cndmask_b32_e32 v51, v62, v51, vcc_lo
	v_cndmask_b32_e64 v61, v61, 0x6f, vcc_lo
	v_lshl_add_u32 v62, 0x200000, v61, -1
	v_lshlrev_b32_e64 v63, v61, 0x100000
	v_and_b32_e32 v62, v62, v51
	v_cmp_eq_u32_e64 s16, v62, v63
	v_lshrrev_b32_e32 v62, v61, v51
	v_add_nc_u32_e32 v51, 0xffffff91, v60
	v_lshrrev_b32_e32 v60, 23, v62
	v_cndmask_b32_e64 v51, v51, 0xffffff92, vcc_lo
	v_xor_b32_e32 v60, 1, v60
	v_add_nc_u32_e32 v51, v61, v51
	v_bfe_u32 v61, v62, 21, 1
	v_add_nc_u32_e32 v61, -1, v61
	v_cndmask_b32_e64 v61, 0, v61, s16
	s_mov_b32 s16, exec_lo
	v_add_nc_u32_e32 v61, v61, v62
	v_and_b32_e32 v61, 0x1fffff, v61
	v_add_nc_u32_e32 v61, v61, v62
                                        ; implicit-def: $vgpr62
	v_cmpx_ne_u32_e64 v51, v60
	s_xor_b32 s16, exec_lo, s16
; %bb.9793:                             ;   in Loop: Header=BB6_7994 Depth=3
	v_cmp_lt_u32_e32 vcc_lo, 0xffffff, v61
	v_sub_nc_u32_e32 v51, v51, v60
	v_cndmask_b32_e64 v60, 0, 1, vcc_lo
	v_add_co_ci_u32_e64 v62, null, 0, v51, vcc_lo
	v_lshrrev_b32_e32 v61, v60, v61
; %bb.9794:                             ;   in Loop: Header=BB6_7994 Depth=3
	s_andn2_saveexec_b32 s16, s16
; %bb.9795:                             ;   in Loop: Header=BB6_7994 Depth=3
	v_bfe_u32 v62, v61, 23, 1
; %bb.9796:                             ;   in Loop: Header=BB6_7994 Depth=3
	s_or_b32 exec_lo, exec_lo, s16
	v_and_b32_sdwa v51, v57, v117 dst_sel:DWORD dst_unused:UNUSED_PAD src0_sel:BYTE_3 src1_sel:DWORD
	v_lshrrev_b32_e32 v57, 21, v61
	v_min_i32_e32 v60, 31, v62
	v_cmp_gt_i32_e32 vcc_lo, 32, v62
	v_lshlrev_b32_e32 v60, 2, v60
	v_cndmask_b32_e32 v57, 3, v57, vcc_lo
	v_and_b32_e32 v60, 0xfc, v60
	v_or_b32_e32 v61, v62, v57
	v_and_b32_e32 v57, 3, v57
	v_cmp_ne_u32_e32 vcc_lo, 0, v61
	v_or3_b32 v51, v60, v51, v57
	v_cndmask_b32_e32 v51, 0, v51, vcc_lo
.LBB6_9797:                             ;   in Loop: Header=BB6_7994 Depth=3
	s_or_b32 exec_lo, exec_lo, s72
.LBB6_9798:                             ;   in Loop: Header=BB6_7994 Depth=3
	s_or_b32 exec_lo, exec_lo, s23
	v_cmp_gt_i16_sdwa s23, v45, v116 src0_sel:BYTE_1 src1_sel:DWORD
	s_mov_b32 s16, 0
	s_and_saveexec_b32 s72, s23
	s_xor_b32 s23, exec_lo, s72
	s_cbranch_execz .LBB6_10484
; %bb.9799:                             ;   in Loop: Header=BB6_7994 Depth=3
	v_cmp_eq_u16_sdwa s73, v45, v117 src0_sel:BYTE_1 src1_sel:DWORD
	s_mov_b32 s16, -1
	s_and_saveexec_b32 s72, s73
; %bb.9800:                             ;   in Loop: Header=BB6_7994 Depth=3
	s_xor_b32 s16, exec_lo, -1
; %bb.9801:                             ;   in Loop: Header=BB6_7994 Depth=3
	s_or_b32 exec_lo, exec_lo, s72
	s_and_b32 s16, s16, exec_lo
	s_or_saveexec_b32 s23, s23
	v_mov_b32_e32 v57, 0x7f800001
	s_xor_b32 exec_lo, exec_lo, s23
	s_cbranch_execnz .LBB6_10485
.LBB6_9802:                             ;   in Loop: Header=BB6_7994 Depth=3
	s_or_b32 exec_lo, exec_lo, s23
	s_and_saveexec_b32 s23, s16
	s_cbranch_execz .LBB6_9804
.LBB6_9803:                             ;   in Loop: Header=BB6_7994 Depth=3
	v_and_b32_sdwa v57, v118, v45 dst_sel:DWORD dst_unused:UNUSED_PAD src0_sel:DWORD src1_sel:BYTE_1
	v_and_b32_e32 v60, 3, v57
	v_bfe_u32 v63, v57, 2, 5
	v_ffbh_u32_e32 v61, v60
	v_cmp_eq_u32_e32 vcc_lo, 0, v63
	v_min_u32_e32 v61, 32, v61
	v_subrev_nc_u32_e32 v62, 29, v61
	v_sub_nc_u32_e32 v61, 30, v61
	v_lshlrev_b32_e32 v57, v62, v57
	v_lshlrev_b32_sdwa v62, v119, v45 dst_sel:DWORD dst_unused:UNUSED_PAD src0_sel:DWORD src1_sel:BYTE_1
	v_cndmask_b32_e32 v61, v63, v61, vcc_lo
	v_and_b32_e32 v57, 3, v57
	v_lshl_add_u32 v61, v61, 23, 0x37800000
	v_cndmask_b32_e32 v57, v60, v57, vcc_lo
	v_and_b32_e32 v60, 0x80000000, v62
	v_lshlrev_b32_e32 v57, 21, v57
	v_or3_b32 v57, v60, v61, v57
.LBB6_9804:                             ;   in Loop: Header=BB6_7994 Depth=3
	s_or_b32 exec_lo, exec_lo, s23
	v_cmp_gt_i16_sdwa s23, v15, v116 src0_sel:BYTE_1 src1_sel:DWORD
	s_mov_b32 s16, 0
	s_and_saveexec_b32 s72, s23
	s_xor_b32 s23, exec_lo, s72
	s_cbranch_execz .LBB6_10486
; %bb.9805:                             ;   in Loop: Header=BB6_7994 Depth=3
	v_cmp_eq_u16_sdwa s73, v15, v117 src0_sel:BYTE_1 src1_sel:DWORD
	s_mov_b32 s16, -1
	s_and_saveexec_b32 s72, s73
; %bb.9806:                             ;   in Loop: Header=BB6_7994 Depth=3
	s_xor_b32 s16, exec_lo, -1
; %bb.9807:                             ;   in Loop: Header=BB6_7994 Depth=3
	s_or_b32 exec_lo, exec_lo, s72
	s_and_b32 s16, s16, exec_lo
	s_or_saveexec_b32 s23, s23
	v_mov_b32_e32 v60, 0x7f800001
	s_xor_b32 exec_lo, exec_lo, s23
	s_cbranch_execnz .LBB6_10487
.LBB6_9808:                             ;   in Loop: Header=BB6_7994 Depth=3
	s_or_b32 exec_lo, exec_lo, s23
	s_and_saveexec_b32 s23, s16
	s_cbranch_execz .LBB6_9810
.LBB6_9809:                             ;   in Loop: Header=BB6_7994 Depth=3
	v_and_b32_sdwa v60, v118, v15 dst_sel:DWORD dst_unused:UNUSED_PAD src0_sel:DWORD src1_sel:BYTE_1
	v_and_b32_e32 v61, 3, v60
	v_bfe_u32 v72, v60, 2, 5
	v_ffbh_u32_e32 v62, v61
	v_cmp_eq_u32_e32 vcc_lo, 0, v72
	v_min_u32_e32 v62, 32, v62
	v_subrev_nc_u32_e32 v63, 29, v62
	v_sub_nc_u32_e32 v62, 30, v62
	v_lshlrev_b32_e32 v60, v63, v60
	v_lshlrev_b32_sdwa v63, v119, v15 dst_sel:DWORD dst_unused:UNUSED_PAD src0_sel:DWORD src1_sel:BYTE_1
	v_cndmask_b32_e32 v62, v72, v62, vcc_lo
	v_and_b32_e32 v60, 3, v60
	v_lshl_add_u32 v62, v62, 23, 0x37800000
	v_cndmask_b32_e32 v60, v61, v60, vcc_lo
	v_and_b32_e32 v61, 0x80000000, v63
	v_lshlrev_b32_e32 v60, 21, v60
	v_or3_b32 v60, v61, v62, v60
.LBB6_9810:                             ;   in Loop: Header=BB6_7994 Depth=3
	s_or_b32 exec_lo, exec_lo, s23
	v_add_f32_e32 v60, v57, v60
	v_and_b32_e32 v57, 0x7f800000, v60
	v_cmp_ne_u32_e32 vcc_lo, 0x7f800000, v57
	v_mov_b32_e32 v57, 0x8000
	s_and_saveexec_b32 s23, vcc_lo
	s_cbranch_execz .LBB6_9818
; %bb.9811:                             ;   in Loop: Header=BB6_7994 Depth=3
	v_mov_b32_e32 v57, 0
	s_mov_b32 s72, exec_lo
	v_cmpx_ne_u32_e32 0, v60
	s_cbranch_execz .LBB6_9817
; %bb.9812:                             ;   in Loop: Header=BB6_7994 Depth=3
	v_bfe_u32 v61, v60, 23, 8
	v_and_b32_e32 v57, 0x7fffff, v60
	v_cmp_gt_u32_e64 s16, 0x71, v61
	v_sub_nc_u32_e32 v62, 0x70, v61
	v_cmp_eq_u32_e32 vcc_lo, 0, v61
	v_or_b32_e32 v63, 0x800000, v57
	v_cndmask_b32_e64 v62, 0, v62, s16
	v_cndmask_b32_e32 v57, v63, v57, vcc_lo
	v_cndmask_b32_e64 v62, v62, 0x6f, vcc_lo
	v_lshl_add_u32 v63, 0x200000, v62, -1
	v_lshlrev_b32_e64 v72, v62, 0x100000
	v_and_b32_e32 v63, v63, v57
	v_cmp_eq_u32_e64 s16, v63, v72
	v_lshrrev_b32_e32 v63, v62, v57
	v_add_nc_u32_e32 v57, 0xffffff91, v61
	v_lshrrev_b32_e32 v61, 23, v63
	v_cndmask_b32_e64 v57, v57, 0xffffff92, vcc_lo
	v_xor_b32_e32 v61, 1, v61
	v_add_nc_u32_e32 v57, v62, v57
	v_bfe_u32 v62, v63, 21, 1
	v_add_nc_u32_e32 v62, -1, v62
	v_cndmask_b32_e64 v62, 0, v62, s16
	s_mov_b32 s16, exec_lo
	v_add_nc_u32_e32 v62, v62, v63
	v_and_b32_e32 v62, 0x1fffff, v62
	v_add_nc_u32_e32 v62, v62, v63
                                        ; implicit-def: $vgpr63
	v_cmpx_ne_u32_e64 v57, v61
	s_xor_b32 s16, exec_lo, s16
; %bb.9813:                             ;   in Loop: Header=BB6_7994 Depth=3
	v_cmp_lt_u32_e32 vcc_lo, 0xffffff, v62
	v_sub_nc_u32_e32 v57, v57, v61
	v_cndmask_b32_e64 v61, 0, 1, vcc_lo
	v_add_co_ci_u32_e64 v63, null, 0, v57, vcc_lo
	v_lshrrev_b32_e32 v62, v61, v62
; %bb.9814:                             ;   in Loop: Header=BB6_7994 Depth=3
	s_andn2_saveexec_b32 s16, s16
; %bb.9815:                             ;   in Loop: Header=BB6_7994 Depth=3
	v_bfe_u32 v63, v62, 23, 1
; %bb.9816:                             ;   in Loop: Header=BB6_7994 Depth=3
	s_or_b32 exec_lo, exec_lo, s16
	v_and_b32_sdwa v57, v60, v117 dst_sel:DWORD dst_unused:UNUSED_PAD src0_sel:BYTE_3 src1_sel:DWORD
	v_lshrrev_b32_e32 v60, 21, v62
	v_min_i32_e32 v61, 31, v63
	v_cmp_gt_i32_e32 vcc_lo, 32, v63
	v_lshlrev_b32_e32 v61, 2, v61
	v_cndmask_b32_e32 v60, 3, v60, vcc_lo
	v_and_b32_e32 v61, 0xfc, v61
	v_or_b32_e32 v62, v63, v60
	v_and_b32_e32 v60, 3, v60
	v_cmp_ne_u32_e32 vcc_lo, 0, v62
	v_or3_b32 v57, v57, v61, v60
	v_lshlrev_b32_e32 v57, 8, v57
	v_cndmask_b32_e32 v57, 0, v57, vcc_lo
.LBB6_9817:                             ;   in Loop: Header=BB6_7994 Depth=3
	s_or_b32 exec_lo, exec_lo, s72
.LBB6_9818:                             ;   in Loop: Header=BB6_7994 Depth=3
	s_or_b32 exec_lo, exec_lo, s23
	v_or_b32_e32 v61, v107, v105
	s_mov_b32 s23, 0
	v_cmp_gt_i16_sdwa s16, v61, v116 src0_sel:BYTE_0 src1_sel:DWORD
	s_and_saveexec_b32 s72, s16
	s_xor_b32 s16, exec_lo, s72
	s_cbranch_execz .LBB6_10488
; %bb.9819:                             ;   in Loop: Header=BB6_7994 Depth=3
	v_cmp_eq_u16_sdwa s73, v61, v117 src0_sel:BYTE_0 src1_sel:DWORD
	s_mov_b32 s23, -1
	s_and_saveexec_b32 s72, s73
; %bb.9820:                             ;   in Loop: Header=BB6_7994 Depth=3
	s_xor_b32 s23, exec_lo, -1
; %bb.9821:                             ;   in Loop: Header=BB6_7994 Depth=3
	s_or_b32 exec_lo, exec_lo, s72
	s_and_b32 s23, s23, exec_lo
	s_or_saveexec_b32 s16, s16
	v_mov_b32_e32 v60, 0x7f800001
	s_xor_b32 exec_lo, exec_lo, s16
	s_cbranch_execnz .LBB6_10489
.LBB6_9822:                             ;   in Loop: Header=BB6_7994 Depth=3
	s_or_b32 exec_lo, exec_lo, s16
	v_lshl_or_b32 v45, v61, 16, v45
	s_and_saveexec_b32 s16, s23
	s_cbranch_execz .LBB6_9824
.LBB6_9823:                             ;   in Loop: Header=BB6_7994 Depth=3
	v_bfe_u32 v60, v45, 16, 2
	v_bfe_u32 v61, v45, 18, 5
	v_ffbh_u32_e32 v62, v60
	v_cmp_eq_u32_e32 vcc_lo, 0, v61
	v_min_u32_e32 v62, 32, v62
	v_subrev_nc_u32_e32 v63, 29, v62
	v_sub_nc_u32_e32 v62, 30, v62
	v_lshlrev_b32_sdwa v63, v63, v45 dst_sel:DWORD dst_unused:UNUSED_PAD src0_sel:DWORD src1_sel:WORD_1
	v_cndmask_b32_e32 v61, v61, v62, vcc_lo
	v_lshlrev_b32_e32 v62, 8, v45
	v_and_b32_e32 v63, 3, v63
	v_lshl_add_u32 v61, v61, 23, 0x37800000
	v_and_b32_e32 v62, 0x80000000, v62
	v_cndmask_b32_e32 v60, v60, v63, vcc_lo
	v_lshlrev_b32_e32 v60, 21, v60
	v_or3_b32 v60, v62, v61, v60
.LBB6_9824:                             ;   in Loop: Header=BB6_7994 Depth=3
	s_or_b32 exec_lo, exec_lo, s16
	v_and_b32_sdwa v62, v15, v40 dst_sel:DWORD dst_unused:UNUSED_PAD src0_sel:WORD_1 src1_sel:DWORD
	s_mov_b32 s23, 0
	s_mov_b32 s16, exec_lo
	v_cmpx_lt_i16_e32 0x7f, v62
	s_xor_b32 s16, exec_lo, s16
	s_cbranch_execz .LBB6_10490
; %bb.9825:                             ;   in Loop: Header=BB6_7994 Depth=3
	s_mov_b32 s23, -1
	s_mov_b32 s72, exec_lo
	v_cmpx_eq_u16_e32 0x80, v62
; %bb.9826:                             ;   in Loop: Header=BB6_7994 Depth=3
	s_xor_b32 s23, exec_lo, -1
; %bb.9827:                             ;   in Loop: Header=BB6_7994 Depth=3
	s_or_b32 exec_lo, exec_lo, s72
	s_and_b32 s23, s23, exec_lo
                                        ; implicit-def: $vgpr62
	s_or_saveexec_b32 s16, s16
	v_mov_b32_e32 v61, 0x7f800001
	s_xor_b32 exec_lo, exec_lo, s16
	s_cbranch_execnz .LBB6_10491
.LBB6_9828:                             ;   in Loop: Header=BB6_7994 Depth=3
	s_or_b32 exec_lo, exec_lo, s16
	s_and_saveexec_b32 s16, s23
	s_cbranch_execz .LBB6_9830
.LBB6_9829:                             ;   in Loop: Header=BB6_7994 Depth=3
	v_bfe_u32 v61, v15, 16, 2
	v_bfe_u32 v62, v15, 18, 5
	v_ffbh_u32_e32 v63, v61
	v_cmp_eq_u32_e32 vcc_lo, 0, v62
	v_min_u32_e32 v63, 32, v63
	v_subrev_nc_u32_e32 v72, 29, v63
	v_sub_nc_u32_e32 v63, 30, v63
	v_lshlrev_b32_sdwa v72, v72, v15 dst_sel:DWORD dst_unused:UNUSED_PAD src0_sel:DWORD src1_sel:WORD_1
	v_cndmask_b32_e32 v62, v62, v63, vcc_lo
	v_lshlrev_b32_e32 v63, 8, v15
	v_and_b32_e32 v72, 3, v72
	v_lshl_add_u32 v62, v62, 23, 0x37800000
	v_and_b32_e32 v63, 0x80000000, v63
	v_cndmask_b32_e32 v61, v61, v72, vcc_lo
	v_lshlrev_b32_e32 v61, 21, v61
	v_or3_b32 v61, v63, v62, v61
.LBB6_9830:                             ;   in Loop: Header=BB6_7994 Depth=3
	s_or_b32 exec_lo, exec_lo, s16
	v_add_f32_e32 v61, v60, v61
	v_and_b32_e32 v60, 0x7f800000, v61
	v_cmp_ne_u32_e32 vcc_lo, 0x7f800000, v60
	v_mov_b32_e32 v60, 0x80
	s_and_saveexec_b32 s23, vcc_lo
	s_cbranch_execz .LBB6_9838
; %bb.9831:                             ;   in Loop: Header=BB6_7994 Depth=3
	v_mov_b32_e32 v60, 0
	s_mov_b32 s72, exec_lo
	v_cmpx_ne_u32_e32 0, v61
	s_cbranch_execz .LBB6_9837
; %bb.9832:                             ;   in Loop: Header=BB6_7994 Depth=3
	v_bfe_u32 v62, v61, 23, 8
	v_and_b32_e32 v60, 0x7fffff, v61
	v_cmp_gt_u32_e64 s16, 0x71, v62
	v_sub_nc_u32_e32 v63, 0x70, v62
	v_cmp_eq_u32_e32 vcc_lo, 0, v62
	v_or_b32_e32 v72, 0x800000, v60
	v_cndmask_b32_e64 v63, 0, v63, s16
	v_cndmask_b32_e32 v60, v72, v60, vcc_lo
	v_cndmask_b32_e64 v63, v63, 0x6f, vcc_lo
	v_lshl_add_u32 v72, 0x200000, v63, -1
	v_lshlrev_b32_e64 v73, v63, 0x100000
	v_and_b32_e32 v72, v72, v60
	v_cmp_eq_u32_e64 s16, v72, v73
	v_lshrrev_b32_e32 v72, v63, v60
	v_add_nc_u32_e32 v60, 0xffffff91, v62
	v_lshrrev_b32_e32 v62, 23, v72
	v_cndmask_b32_e64 v60, v60, 0xffffff92, vcc_lo
	v_xor_b32_e32 v62, 1, v62
	v_add_nc_u32_e32 v60, v63, v60
	v_bfe_u32 v63, v72, 21, 1
	v_add_nc_u32_e32 v63, -1, v63
	v_cndmask_b32_e64 v63, 0, v63, s16
	s_mov_b32 s16, exec_lo
	v_add_nc_u32_e32 v63, v63, v72
	v_and_b32_e32 v63, 0x1fffff, v63
	v_add_nc_u32_e32 v63, v63, v72
                                        ; implicit-def: $vgpr72
	v_cmpx_ne_u32_e64 v60, v62
	s_xor_b32 s16, exec_lo, s16
; %bb.9833:                             ;   in Loop: Header=BB6_7994 Depth=3
	v_cmp_lt_u32_e32 vcc_lo, 0xffffff, v63
	v_sub_nc_u32_e32 v60, v60, v62
	v_cndmask_b32_e64 v62, 0, 1, vcc_lo
	v_add_co_ci_u32_e64 v72, null, 0, v60, vcc_lo
	v_lshrrev_b32_e32 v63, v62, v63
; %bb.9834:                             ;   in Loop: Header=BB6_7994 Depth=3
	s_andn2_saveexec_b32 s16, s16
; %bb.9835:                             ;   in Loop: Header=BB6_7994 Depth=3
	v_bfe_u32 v72, v63, 23, 1
; %bb.9836:                             ;   in Loop: Header=BB6_7994 Depth=3
	s_or_b32 exec_lo, exec_lo, s16
	v_and_b32_sdwa v60, v61, v117 dst_sel:DWORD dst_unused:UNUSED_PAD src0_sel:BYTE_3 src1_sel:DWORD
	v_lshrrev_b32_e32 v61, 21, v63
	v_min_i32_e32 v62, 31, v72
	v_cmp_gt_i32_e32 vcc_lo, 32, v72
	v_lshlrev_b32_e32 v62, 2, v62
	v_cndmask_b32_e32 v61, 3, v61, vcc_lo
	v_and_b32_e32 v62, 0xfc, v62
	v_or_b32_e32 v63, v72, v61
	v_and_b32_e32 v61, 3, v61
	v_cmp_ne_u32_e32 vcc_lo, 0, v63
	v_or3_b32 v60, v62, v60, v61
	v_cndmask_b32_e32 v60, 0, v60, vcc_lo
.LBB6_9837:                             ;   in Loop: Header=BB6_7994 Depth=3
	s_or_b32 exec_lo, exec_lo, s72
.LBB6_9838:                             ;   in Loop: Header=BB6_7994 Depth=3
	s_or_b32 exec_lo, exec_lo, s23
	v_cmp_gt_i16_sdwa s23, v45, v116 src0_sel:BYTE_3 src1_sel:DWORD
	s_mov_b32 s16, 0
	s_and_saveexec_b32 s72, s23
	s_xor_b32 s23, exec_lo, s72
	s_cbranch_execz .LBB6_10492
; %bb.9839:                             ;   in Loop: Header=BB6_7994 Depth=3
	v_cmp_eq_u16_sdwa s73, v45, v117 src0_sel:BYTE_3 src1_sel:DWORD
	s_mov_b32 s16, -1
	s_and_saveexec_b32 s72, s73
; %bb.9840:                             ;   in Loop: Header=BB6_7994 Depth=3
	s_xor_b32 s16, exec_lo, -1
; %bb.9841:                             ;   in Loop: Header=BB6_7994 Depth=3
	s_or_b32 exec_lo, exec_lo, s72
	s_and_b32 s16, s16, exec_lo
	s_or_saveexec_b32 s23, s23
	v_mov_b32_e32 v61, 0x7f800001
	s_xor_b32 exec_lo, exec_lo, s23
	s_cbranch_execnz .LBB6_10493
.LBB6_9842:                             ;   in Loop: Header=BB6_7994 Depth=3
	s_or_b32 exec_lo, exec_lo, s23
	s_and_saveexec_b32 s23, s16
	s_cbranch_execz .LBB6_9844
.LBB6_9843:                             ;   in Loop: Header=BB6_7994 Depth=3
	v_bfe_u32 v61, v45, 24, 2
	v_bfe_u32 v72, v45, 26, 5
	v_ffbh_u32_e32 v62, v61
	v_cmp_eq_u32_e32 vcc_lo, 0, v72
	v_min_u32_e32 v62, 32, v62
	v_subrev_nc_u32_e32 v63, 29, v62
	v_sub_nc_u32_e32 v62, 30, v62
	v_lshlrev_b32_sdwa v63, v63, v45 dst_sel:DWORD dst_unused:UNUSED_PAD src0_sel:DWORD src1_sel:BYTE_3
	v_cndmask_b32_e32 v62, v72, v62, vcc_lo
	v_and_b32_e32 v45, 0x80000000, v45
	v_and_b32_e32 v63, 3, v63
	v_lshl_add_u32 v62, v62, 23, 0x37800000
	v_cndmask_b32_e32 v61, v61, v63, vcc_lo
	v_lshlrev_b32_e32 v61, 21, v61
	v_or3_b32 v61, v45, v62, v61
.LBB6_9844:                             ;   in Loop: Header=BB6_7994 Depth=3
	s_or_b32 exec_lo, exec_lo, s23
	v_cmp_gt_i16_sdwa s23, v15, v116 src0_sel:BYTE_3 src1_sel:DWORD
	s_mov_b32 s16, 0
	s_and_saveexec_b32 s72, s23
	s_xor_b32 s23, exec_lo, s72
	s_cbranch_execz .LBB6_10494
; %bb.9845:                             ;   in Loop: Header=BB6_7994 Depth=3
	v_cmp_eq_u16_sdwa s73, v15, v117 src0_sel:BYTE_3 src1_sel:DWORD
	s_mov_b32 s16, -1
	s_and_saveexec_b32 s72, s73
; %bb.9846:                             ;   in Loop: Header=BB6_7994 Depth=3
	s_xor_b32 s16, exec_lo, -1
; %bb.9847:                             ;   in Loop: Header=BB6_7994 Depth=3
	s_or_b32 exec_lo, exec_lo, s72
	s_and_b32 s16, s16, exec_lo
	s_or_saveexec_b32 s23, s23
	v_mov_b32_e32 v45, 0x7f800001
	s_xor_b32 exec_lo, exec_lo, s23
	s_cbranch_execnz .LBB6_10495
.LBB6_9848:                             ;   in Loop: Header=BB6_7994 Depth=3
	s_or_b32 exec_lo, exec_lo, s23
	s_and_saveexec_b32 s23, s16
	s_cbranch_execz .LBB6_9850
.LBB6_9849:                             ;   in Loop: Header=BB6_7994 Depth=3
	v_bfe_u32 v45, v15, 24, 2
	v_bfe_u32 v72, v15, 26, 5
	v_ffbh_u32_e32 v62, v45
	v_cmp_eq_u32_e32 vcc_lo, 0, v72
	v_min_u32_e32 v62, 32, v62
	v_subrev_nc_u32_e32 v63, 29, v62
	v_sub_nc_u32_e32 v62, 30, v62
	v_lshlrev_b32_sdwa v63, v63, v15 dst_sel:DWORD dst_unused:UNUSED_PAD src0_sel:DWORD src1_sel:BYTE_3
	v_cndmask_b32_e32 v62, v72, v62, vcc_lo
	v_and_b32_e32 v15, 0x80000000, v15
	v_and_b32_e32 v63, 3, v63
	v_lshl_add_u32 v62, v62, 23, 0x37800000
	v_cndmask_b32_e32 v45, v45, v63, vcc_lo
	v_lshlrev_b32_e32 v45, 21, v45
	v_or3_b32 v45, v15, v62, v45
.LBB6_9850:                             ;   in Loop: Header=BB6_7994 Depth=3
	s_or_b32 exec_lo, exec_lo, s23
	v_add_f32_e32 v45, v61, v45
	v_and_b32_e32 v15, 0x7f800000, v45
	v_cmp_ne_u32_e32 vcc_lo, 0x7f800000, v15
	v_mov_b32_e32 v15, 0x8000
	s_and_saveexec_b32 s23, vcc_lo
	s_cbranch_execz .LBB6_9858
; %bb.9851:                             ;   in Loop: Header=BB6_7994 Depth=3
	v_mov_b32_e32 v15, 0
	s_mov_b32 s72, exec_lo
	v_cmpx_ne_u32_e32 0, v45
	s_cbranch_execz .LBB6_9857
; %bb.9852:                             ;   in Loop: Header=BB6_7994 Depth=3
	v_bfe_u32 v61, v45, 23, 8
	v_and_b32_e32 v15, 0x7fffff, v45
	v_cmp_gt_u32_e64 s16, 0x71, v61
	v_sub_nc_u32_e32 v62, 0x70, v61
	v_cmp_eq_u32_e32 vcc_lo, 0, v61
	v_or_b32_e32 v63, 0x800000, v15
	v_cndmask_b32_e64 v62, 0, v62, s16
	v_cndmask_b32_e32 v15, v63, v15, vcc_lo
	v_cndmask_b32_e64 v62, v62, 0x6f, vcc_lo
	v_lshl_add_u32 v63, 0x200000, v62, -1
	v_lshlrev_b32_e64 v72, v62, 0x100000
	v_and_b32_e32 v63, v63, v15
	v_cmp_eq_u32_e64 s16, v63, v72
	v_lshrrev_b32_e32 v63, v62, v15
	v_add_nc_u32_e32 v15, 0xffffff91, v61
	v_lshrrev_b32_e32 v61, 23, v63
	v_cndmask_b32_e64 v15, v15, 0xffffff92, vcc_lo
	v_xor_b32_e32 v61, 1, v61
	v_add_nc_u32_e32 v15, v62, v15
	v_bfe_u32 v62, v63, 21, 1
	v_add_nc_u32_e32 v62, -1, v62
	v_cndmask_b32_e64 v62, 0, v62, s16
	s_mov_b32 s16, exec_lo
	v_add_nc_u32_e32 v62, v62, v63
	v_and_b32_e32 v62, 0x1fffff, v62
	v_add_nc_u32_e32 v62, v62, v63
                                        ; implicit-def: $vgpr63
	v_cmpx_ne_u32_e64 v15, v61
	s_xor_b32 s16, exec_lo, s16
; %bb.9853:                             ;   in Loop: Header=BB6_7994 Depth=3
	v_cmp_lt_u32_e32 vcc_lo, 0xffffff, v62
	v_sub_nc_u32_e32 v15, v15, v61
	v_cndmask_b32_e64 v61, 0, 1, vcc_lo
	v_add_co_ci_u32_e64 v63, null, 0, v15, vcc_lo
	v_lshrrev_b32_e32 v62, v61, v62
; %bb.9854:                             ;   in Loop: Header=BB6_7994 Depth=3
	s_andn2_saveexec_b32 s16, s16
; %bb.9855:                             ;   in Loop: Header=BB6_7994 Depth=3
	v_bfe_u32 v63, v62, 23, 1
; %bb.9856:                             ;   in Loop: Header=BB6_7994 Depth=3
	s_or_b32 exec_lo, exec_lo, s16
	v_and_b32_sdwa v15, v45, v117 dst_sel:DWORD dst_unused:UNUSED_PAD src0_sel:BYTE_3 src1_sel:DWORD
	v_lshrrev_b32_e32 v45, 21, v62
	v_min_i32_e32 v61, 31, v63
	v_cmp_gt_i32_e32 vcc_lo, 32, v63
	v_lshlrev_b32_e32 v61, 2, v61
	v_cndmask_b32_e32 v45, 3, v45, vcc_lo
	v_and_b32_e32 v61, 0xfc, v61
	v_or_b32_e32 v62, v63, v45
	v_and_b32_e32 v45, 3, v45
	v_cmp_ne_u32_e32 vcc_lo, 0, v62
	v_or3_b32 v15, v15, v61, v45
	v_lshlrev_b32_e32 v15, 8, v15
	v_cndmask_b32_e32 v15, 0, v15, vcc_lo
.LBB6_9857:                             ;   in Loop: Header=BB6_7994 Depth=3
	s_or_b32 exec_lo, exec_lo, s72
.LBB6_9858:                             ;   in Loop: Header=BB6_7994 Depth=3
	s_or_b32 exec_lo, exec_lo, s23
	v_or_b32_e32 v45, v50, v94
	s_mov_b32 s23, 0
	v_cmp_gt_i16_sdwa s16, v45, v116 src0_sel:BYTE_0 src1_sel:DWORD
	s_and_saveexec_b32 s72, s16
	s_xor_b32 s16, exec_lo, s72
	s_cbranch_execz .LBB6_10496
; %bb.9859:                             ;   in Loop: Header=BB6_7994 Depth=3
	v_cmp_eq_u16_sdwa s73, v45, v117 src0_sel:BYTE_0 src1_sel:DWORD
	s_mov_b32 s23, -1
	s_and_saveexec_b32 s72, s73
; %bb.9860:                             ;   in Loop: Header=BB6_7994 Depth=3
	s_xor_b32 s23, exec_lo, -1
; %bb.9861:                             ;   in Loop: Header=BB6_7994 Depth=3
	s_or_b32 exec_lo, exec_lo, s72
	s_and_b32 s23, s23, exec_lo
	s_or_saveexec_b32 s16, s16
	v_mov_b32_e32 v50, 0x7f800001
	s_xor_b32 exec_lo, exec_lo, s16
	s_cbranch_execnz .LBB6_10497
.LBB6_9862:                             ;   in Loop: Header=BB6_7994 Depth=3
	s_or_b32 exec_lo, exec_lo, s16
	s_and_saveexec_b32 s16, s23
	s_cbranch_execz .LBB6_9864
.LBB6_9863:                             ;   in Loop: Header=BB6_7994 Depth=3
	v_and_b32_e32 v50, 3, v45
	v_bfe_u32 v61, v45, 2, 5
	v_ffbh_u32_e32 v62, v50
	v_cmp_eq_u32_e32 vcc_lo, 0, v61
	v_min_u32_e32 v62, 32, v62
	v_subrev_nc_u32_e32 v63, 29, v62
	v_sub_nc_u32_e32 v62, 30, v62
	v_lshlrev_b32_e32 v63, v63, v45
	v_cndmask_b32_e32 v61, v61, v62, vcc_lo
	v_lshlrev_b32_e32 v62, 24, v45
	v_and_b32_e32 v63, 3, v63
	v_lshl_add_u32 v61, v61, 23, 0x37800000
	v_and_b32_e32 v62, 0x80000000, v62
	v_cndmask_b32_e32 v50, v50, v63, vcc_lo
	v_lshlrev_b32_e32 v50, 21, v50
	v_or3_b32 v50, v62, v61, v50
.LBB6_9864:                             ;   in Loop: Header=BB6_7994 Depth=3
	s_or_b32 exec_lo, exec_lo, s16
	s_waitcnt vmcnt(0)
	v_cmp_gt_i16_sdwa s16, v8, v116 src0_sel:BYTE_0 src1_sel:DWORD
	s_mov_b32 s23, 0
	s_and_saveexec_b32 s72, s16
	s_xor_b32 s16, exec_lo, s72
	s_cbranch_execz .LBB6_10498
; %bb.9865:                             ;   in Loop: Header=BB6_7994 Depth=3
	v_cmp_eq_u16_sdwa s73, v8, v117 src0_sel:BYTE_0 src1_sel:DWORD
	s_mov_b32 s23, -1
	s_and_saveexec_b32 s72, s73
; %bb.9866:                             ;   in Loop: Header=BB6_7994 Depth=3
	s_xor_b32 s23, exec_lo, -1
; %bb.9867:                             ;   in Loop: Header=BB6_7994 Depth=3
	s_or_b32 exec_lo, exec_lo, s72
	s_and_b32 s23, s23, exec_lo
	s_or_saveexec_b32 s16, s16
	v_mov_b32_e32 v61, 0x7f800001
	s_xor_b32 exec_lo, exec_lo, s16
	s_cbranch_execnz .LBB6_10499
.LBB6_9868:                             ;   in Loop: Header=BB6_7994 Depth=3
	s_or_b32 exec_lo, exec_lo, s16
	s_and_saveexec_b32 s16, s23
	s_cbranch_execz .LBB6_9870
.LBB6_9869:                             ;   in Loop: Header=BB6_7994 Depth=3
	v_and_b32_e32 v61, 3, v8
	v_bfe_u32 v62, v8, 2, 5
	v_ffbh_u32_e32 v63, v61
	v_cmp_eq_u32_e32 vcc_lo, 0, v62
	v_min_u32_e32 v63, 32, v63
	v_subrev_nc_u32_e32 v72, 29, v63
	v_sub_nc_u32_e32 v63, 30, v63
	v_lshlrev_b32_e32 v72, v72, v8
	v_cndmask_b32_e32 v62, v62, v63, vcc_lo
	v_lshlrev_b32_e32 v63, 24, v8
	v_and_b32_e32 v72, 3, v72
	v_lshl_add_u32 v62, v62, 23, 0x37800000
	v_and_b32_e32 v63, 0x80000000, v63
	v_cndmask_b32_e32 v61, v61, v72, vcc_lo
	v_lshlrev_b32_e32 v61, 21, v61
	v_or3_b32 v61, v63, v62, v61
.LBB6_9870:                             ;   in Loop: Header=BB6_7994 Depth=3
	s_or_b32 exec_lo, exec_lo, s16
	v_add_f32_e32 v61, v50, v61
	v_and_b32_e32 v50, 0x7f800000, v61
	v_cmp_ne_u32_e32 vcc_lo, 0x7f800000, v50
	v_mov_b32_e32 v50, 0x80
	s_and_saveexec_b32 s23, vcc_lo
	s_cbranch_execz .LBB6_9878
; %bb.9871:                             ;   in Loop: Header=BB6_7994 Depth=3
	v_mov_b32_e32 v50, 0
	s_mov_b32 s72, exec_lo
	v_cmpx_ne_u32_e32 0, v61
	s_cbranch_execz .LBB6_9877
; %bb.9872:                             ;   in Loop: Header=BB6_7994 Depth=3
	v_bfe_u32 v62, v61, 23, 8
	v_and_b32_e32 v50, 0x7fffff, v61
	v_cmp_gt_u32_e64 s16, 0x71, v62
	v_sub_nc_u32_e32 v63, 0x70, v62
	v_cmp_eq_u32_e32 vcc_lo, 0, v62
	v_or_b32_e32 v72, 0x800000, v50
	v_cndmask_b32_e64 v63, 0, v63, s16
	v_cndmask_b32_e32 v50, v72, v50, vcc_lo
	v_cndmask_b32_e64 v63, v63, 0x6f, vcc_lo
	v_lshl_add_u32 v72, 0x200000, v63, -1
	v_lshlrev_b32_e64 v73, v63, 0x100000
	v_and_b32_e32 v72, v72, v50
	v_cmp_eq_u32_e64 s16, v72, v73
	v_lshrrev_b32_e32 v72, v63, v50
	v_add_nc_u32_e32 v50, 0xffffff91, v62
	v_lshrrev_b32_e32 v62, 23, v72
	v_cndmask_b32_e64 v50, v50, 0xffffff92, vcc_lo
	v_xor_b32_e32 v62, 1, v62
	v_add_nc_u32_e32 v50, v63, v50
	v_bfe_u32 v63, v72, 21, 1
	v_add_nc_u32_e32 v63, -1, v63
	v_cndmask_b32_e64 v63, 0, v63, s16
	s_mov_b32 s16, exec_lo
	v_add_nc_u32_e32 v63, v63, v72
	v_and_b32_e32 v63, 0x1fffff, v63
	v_add_nc_u32_e32 v63, v63, v72
                                        ; implicit-def: $vgpr72
	v_cmpx_ne_u32_e64 v50, v62
	s_xor_b32 s16, exec_lo, s16
; %bb.9873:                             ;   in Loop: Header=BB6_7994 Depth=3
	v_cmp_lt_u32_e32 vcc_lo, 0xffffff, v63
	v_sub_nc_u32_e32 v50, v50, v62
	v_cndmask_b32_e64 v62, 0, 1, vcc_lo
	v_add_co_ci_u32_e64 v72, null, 0, v50, vcc_lo
	v_lshrrev_b32_e32 v63, v62, v63
; %bb.9874:                             ;   in Loop: Header=BB6_7994 Depth=3
	s_andn2_saveexec_b32 s16, s16
; %bb.9875:                             ;   in Loop: Header=BB6_7994 Depth=3
	v_bfe_u32 v72, v63, 23, 1
; %bb.9876:                             ;   in Loop: Header=BB6_7994 Depth=3
	s_or_b32 exec_lo, exec_lo, s16
	v_and_b32_sdwa v50, v61, v117 dst_sel:DWORD dst_unused:UNUSED_PAD src0_sel:BYTE_3 src1_sel:DWORD
	v_lshrrev_b32_e32 v61, 21, v63
	v_min_i32_e32 v62, 31, v72
	v_cmp_gt_i32_e32 vcc_lo, 32, v72
	v_lshlrev_b32_e32 v62, 2, v62
	v_cndmask_b32_e32 v61, 3, v61, vcc_lo
	v_and_b32_e32 v62, 0xfc, v62
	v_or_b32_e32 v63, v72, v61
	v_and_b32_e32 v61, 3, v61
	v_cmp_ne_u32_e32 vcc_lo, 0, v63
	v_or3_b32 v50, v62, v50, v61
	v_cndmask_b32_e32 v50, 0, v50, vcc_lo
.LBB6_9877:                             ;   in Loop: Header=BB6_7994 Depth=3
	s_or_b32 exec_lo, exec_lo, s72
.LBB6_9878:                             ;   in Loop: Header=BB6_7994 Depth=3
	s_or_b32 exec_lo, exec_lo, s23
	v_cmp_gt_i16_sdwa s23, v45, v116 src0_sel:BYTE_1 src1_sel:DWORD
	s_mov_b32 s16, 0
	s_and_saveexec_b32 s72, s23
	s_xor_b32 s23, exec_lo, s72
	s_cbranch_execz .LBB6_10500
; %bb.9879:                             ;   in Loop: Header=BB6_7994 Depth=3
	v_cmp_eq_u16_sdwa s73, v45, v117 src0_sel:BYTE_1 src1_sel:DWORD
	s_mov_b32 s16, -1
	s_and_saveexec_b32 s72, s73
; %bb.9880:                             ;   in Loop: Header=BB6_7994 Depth=3
	s_xor_b32 s16, exec_lo, -1
; %bb.9881:                             ;   in Loop: Header=BB6_7994 Depth=3
	s_or_b32 exec_lo, exec_lo, s72
	s_and_b32 s16, s16, exec_lo
	s_or_saveexec_b32 s23, s23
	v_mov_b32_e32 v61, 0x7f800001
	s_xor_b32 exec_lo, exec_lo, s23
	s_cbranch_execnz .LBB6_10501
.LBB6_9882:                             ;   in Loop: Header=BB6_7994 Depth=3
	s_or_b32 exec_lo, exec_lo, s23
	s_and_saveexec_b32 s23, s16
	s_cbranch_execz .LBB6_9884
.LBB6_9883:                             ;   in Loop: Header=BB6_7994 Depth=3
	v_and_b32_sdwa v61, v118, v45 dst_sel:DWORD dst_unused:UNUSED_PAD src0_sel:DWORD src1_sel:BYTE_1
	v_and_b32_e32 v62, 3, v61
	v_bfe_u32 v73, v61, 2, 5
	v_ffbh_u32_e32 v63, v62
	v_cmp_eq_u32_e32 vcc_lo, 0, v73
	v_min_u32_e32 v63, 32, v63
	v_subrev_nc_u32_e32 v72, 29, v63
	v_sub_nc_u32_e32 v63, 30, v63
	v_lshlrev_b32_e32 v61, v72, v61
	v_lshlrev_b32_sdwa v72, v119, v45 dst_sel:DWORD dst_unused:UNUSED_PAD src0_sel:DWORD src1_sel:BYTE_1
	v_cndmask_b32_e32 v63, v73, v63, vcc_lo
	v_and_b32_e32 v61, 3, v61
	v_lshl_add_u32 v63, v63, 23, 0x37800000
	v_cndmask_b32_e32 v61, v62, v61, vcc_lo
	v_and_b32_e32 v62, 0x80000000, v72
	v_lshlrev_b32_e32 v61, 21, v61
	v_or3_b32 v61, v62, v63, v61
.LBB6_9884:                             ;   in Loop: Header=BB6_7994 Depth=3
	s_or_b32 exec_lo, exec_lo, s23
	v_cmp_gt_i16_sdwa s23, v8, v116 src0_sel:BYTE_1 src1_sel:DWORD
	s_mov_b32 s16, 0
	s_and_saveexec_b32 s72, s23
	s_xor_b32 s23, exec_lo, s72
	s_cbranch_execz .LBB6_10502
; %bb.9885:                             ;   in Loop: Header=BB6_7994 Depth=3
	v_cmp_eq_u16_sdwa s73, v8, v117 src0_sel:BYTE_1 src1_sel:DWORD
	s_mov_b32 s16, -1
	s_and_saveexec_b32 s72, s73
; %bb.9886:                             ;   in Loop: Header=BB6_7994 Depth=3
	s_xor_b32 s16, exec_lo, -1
; %bb.9887:                             ;   in Loop: Header=BB6_7994 Depth=3
	s_or_b32 exec_lo, exec_lo, s72
	s_and_b32 s16, s16, exec_lo
	s_or_saveexec_b32 s23, s23
	v_mov_b32_e32 v62, 0x7f800001
	s_xor_b32 exec_lo, exec_lo, s23
	s_cbranch_execnz .LBB6_10503
.LBB6_9888:                             ;   in Loop: Header=BB6_7994 Depth=3
	s_or_b32 exec_lo, exec_lo, s23
	s_and_saveexec_b32 s23, s16
	s_cbranch_execz .LBB6_9890
.LBB6_9889:                             ;   in Loop: Header=BB6_7994 Depth=3
	v_and_b32_sdwa v62, v118, v8 dst_sel:DWORD dst_unused:UNUSED_PAD src0_sel:DWORD src1_sel:BYTE_1
	v_and_b32_e32 v63, 3, v62
	v_bfe_u32 v74, v62, 2, 5
	v_ffbh_u32_e32 v72, v63
	v_cmp_eq_u32_e32 vcc_lo, 0, v74
	v_min_u32_e32 v72, 32, v72
	v_subrev_nc_u32_e32 v73, 29, v72
	v_sub_nc_u32_e32 v72, 30, v72
	v_lshlrev_b32_e32 v62, v73, v62
	v_lshlrev_b32_sdwa v73, v119, v8 dst_sel:DWORD dst_unused:UNUSED_PAD src0_sel:DWORD src1_sel:BYTE_1
	v_cndmask_b32_e32 v72, v74, v72, vcc_lo
	v_and_b32_e32 v62, 3, v62
	v_lshl_add_u32 v72, v72, 23, 0x37800000
	v_cndmask_b32_e32 v62, v63, v62, vcc_lo
	v_and_b32_e32 v63, 0x80000000, v73
	v_lshlrev_b32_e32 v62, 21, v62
	v_or3_b32 v62, v63, v72, v62
.LBB6_9890:                             ;   in Loop: Header=BB6_7994 Depth=3
	s_or_b32 exec_lo, exec_lo, s23
	v_add_f32_e32 v62, v61, v62
	v_and_b32_e32 v61, 0x7f800000, v62
	v_cmp_ne_u32_e32 vcc_lo, 0x7f800000, v61
	v_mov_b32_e32 v61, 0x8000
	s_and_saveexec_b32 s23, vcc_lo
	s_cbranch_execz .LBB6_9898
; %bb.9891:                             ;   in Loop: Header=BB6_7994 Depth=3
	v_mov_b32_e32 v61, 0
	s_mov_b32 s72, exec_lo
	v_cmpx_ne_u32_e32 0, v62
	s_cbranch_execz .LBB6_9897
; %bb.9892:                             ;   in Loop: Header=BB6_7994 Depth=3
	v_bfe_u32 v63, v62, 23, 8
	v_and_b32_e32 v61, 0x7fffff, v62
	v_cmp_gt_u32_e64 s16, 0x71, v63
	v_sub_nc_u32_e32 v72, 0x70, v63
	v_cmp_eq_u32_e32 vcc_lo, 0, v63
	v_or_b32_e32 v73, 0x800000, v61
	v_cndmask_b32_e64 v72, 0, v72, s16
	v_cndmask_b32_e32 v61, v73, v61, vcc_lo
	v_cndmask_b32_e64 v72, v72, 0x6f, vcc_lo
	v_lshl_add_u32 v73, 0x200000, v72, -1
	v_lshlrev_b32_e64 v74, v72, 0x100000
	v_and_b32_e32 v73, v73, v61
	v_cmp_eq_u32_e64 s16, v73, v74
	v_lshrrev_b32_e32 v73, v72, v61
	v_add_nc_u32_e32 v61, 0xffffff91, v63
	v_lshrrev_b32_e32 v63, 23, v73
	v_cndmask_b32_e64 v61, v61, 0xffffff92, vcc_lo
	v_xor_b32_e32 v63, 1, v63
	v_add_nc_u32_e32 v61, v72, v61
	v_bfe_u32 v72, v73, 21, 1
	v_add_nc_u32_e32 v72, -1, v72
	v_cndmask_b32_e64 v72, 0, v72, s16
	s_mov_b32 s16, exec_lo
	v_add_nc_u32_e32 v72, v72, v73
	v_and_b32_e32 v72, 0x1fffff, v72
	v_add_nc_u32_e32 v72, v72, v73
                                        ; implicit-def: $vgpr73
	v_cmpx_ne_u32_e64 v61, v63
	s_xor_b32 s16, exec_lo, s16
; %bb.9893:                             ;   in Loop: Header=BB6_7994 Depth=3
	v_cmp_lt_u32_e32 vcc_lo, 0xffffff, v72
	v_sub_nc_u32_e32 v61, v61, v63
	v_cndmask_b32_e64 v63, 0, 1, vcc_lo
	v_add_co_ci_u32_e64 v73, null, 0, v61, vcc_lo
	v_lshrrev_b32_e32 v72, v63, v72
; %bb.9894:                             ;   in Loop: Header=BB6_7994 Depth=3
	s_andn2_saveexec_b32 s16, s16
; %bb.9895:                             ;   in Loop: Header=BB6_7994 Depth=3
	v_bfe_u32 v73, v72, 23, 1
; %bb.9896:                             ;   in Loop: Header=BB6_7994 Depth=3
	s_or_b32 exec_lo, exec_lo, s16
	v_and_b32_sdwa v61, v62, v117 dst_sel:DWORD dst_unused:UNUSED_PAD src0_sel:BYTE_3 src1_sel:DWORD
	v_lshrrev_b32_e32 v62, 21, v72
	v_min_i32_e32 v63, 31, v73
	v_cmp_gt_i32_e32 vcc_lo, 32, v73
	v_lshlrev_b32_e32 v63, 2, v63
	v_cndmask_b32_e32 v62, 3, v62, vcc_lo
	v_and_b32_e32 v63, 0xfc, v63
	v_or_b32_e32 v72, v73, v62
	v_and_b32_e32 v62, 3, v62
	v_cmp_ne_u32_e32 vcc_lo, 0, v72
	v_or3_b32 v61, v61, v63, v62
	v_lshlrev_b32_e32 v61, 8, v61
	v_cndmask_b32_e32 v61, 0, v61, vcc_lo
.LBB6_9897:                             ;   in Loop: Header=BB6_7994 Depth=3
	s_or_b32 exec_lo, exec_lo, s72
.LBB6_9898:                             ;   in Loop: Header=BB6_7994 Depth=3
	s_or_b32 exec_lo, exec_lo, s23
	v_or_b32_e32 v62, v104, v5
	s_mov_b32 s23, 0
	v_cmp_gt_i16_sdwa s16, v62, v116 src0_sel:BYTE_0 src1_sel:DWORD
	s_and_saveexec_b32 s72, s16
	s_xor_b32 s16, exec_lo, s72
	s_cbranch_execz .LBB6_10504
; %bb.9899:                             ;   in Loop: Header=BB6_7994 Depth=3
	v_cmp_eq_u16_sdwa s73, v62, v117 src0_sel:BYTE_0 src1_sel:DWORD
	s_mov_b32 s23, -1
	s_and_saveexec_b32 s72, s73
; %bb.9900:                             ;   in Loop: Header=BB6_7994 Depth=3
	s_xor_b32 s23, exec_lo, -1
; %bb.9901:                             ;   in Loop: Header=BB6_7994 Depth=3
	s_or_b32 exec_lo, exec_lo, s72
	s_and_b32 s23, s23, exec_lo
	s_or_saveexec_b32 s16, s16
	v_mov_b32_e32 v5, 0x7f800001
	s_xor_b32 exec_lo, exec_lo, s16
	s_cbranch_execnz .LBB6_10505
.LBB6_9902:                             ;   in Loop: Header=BB6_7994 Depth=3
	s_or_b32 exec_lo, exec_lo, s16
	v_lshl_or_b32 v45, v62, 16, v45
	s_and_saveexec_b32 s16, s23
	s_cbranch_execz .LBB6_9904
.LBB6_9903:                             ;   in Loop: Header=BB6_7994 Depth=3
	v_bfe_u32 v5, v45, 16, 2
	v_bfe_u32 v62, v45, 18, 5
	v_ffbh_u32_e32 v63, v5
	v_cmp_eq_u32_e32 vcc_lo, 0, v62
	v_min_u32_e32 v63, 32, v63
	v_subrev_nc_u32_e32 v72, 29, v63
	v_sub_nc_u32_e32 v63, 30, v63
	v_lshlrev_b32_sdwa v72, v72, v45 dst_sel:DWORD dst_unused:UNUSED_PAD src0_sel:DWORD src1_sel:WORD_1
	v_cndmask_b32_e32 v62, v62, v63, vcc_lo
	v_lshlrev_b32_e32 v63, 8, v45
	v_and_b32_e32 v72, 3, v72
	v_lshl_add_u32 v62, v62, 23, 0x37800000
	v_and_b32_e32 v63, 0x80000000, v63
	v_cndmask_b32_e32 v5, v5, v72, vcc_lo
	v_lshlrev_b32_e32 v5, 21, v5
	v_or3_b32 v5, v63, v62, v5
.LBB6_9904:                             ;   in Loop: Header=BB6_7994 Depth=3
	s_or_b32 exec_lo, exec_lo, s16
	v_and_b32_sdwa v63, v8, v40 dst_sel:DWORD dst_unused:UNUSED_PAD src0_sel:WORD_1 src1_sel:DWORD
	s_mov_b32 s23, 0
	s_mov_b32 s16, exec_lo
	v_cmpx_lt_i16_e32 0x7f, v63
	s_xor_b32 s16, exec_lo, s16
	s_cbranch_execz .LBB6_10506
; %bb.9905:                             ;   in Loop: Header=BB6_7994 Depth=3
	s_mov_b32 s23, -1
	s_mov_b32 s72, exec_lo
	v_cmpx_eq_u16_e32 0x80, v63
; %bb.9906:                             ;   in Loop: Header=BB6_7994 Depth=3
	s_xor_b32 s23, exec_lo, -1
; %bb.9907:                             ;   in Loop: Header=BB6_7994 Depth=3
	s_or_b32 exec_lo, exec_lo, s72
	s_and_b32 s23, s23, exec_lo
                                        ; implicit-def: $vgpr63
	s_or_saveexec_b32 s16, s16
	v_mov_b32_e32 v62, 0x7f800001
	s_xor_b32 exec_lo, exec_lo, s16
	s_cbranch_execnz .LBB6_10507
.LBB6_9908:                             ;   in Loop: Header=BB6_7994 Depth=3
	s_or_b32 exec_lo, exec_lo, s16
	s_and_saveexec_b32 s16, s23
	s_cbranch_execz .LBB6_9910
.LBB6_9909:                             ;   in Loop: Header=BB6_7994 Depth=3
	v_bfe_u32 v62, v8, 16, 2
	v_bfe_u32 v63, v8, 18, 5
	v_ffbh_u32_e32 v72, v62
	v_cmp_eq_u32_e32 vcc_lo, 0, v63
	v_min_u32_e32 v72, 32, v72
	v_subrev_nc_u32_e32 v73, 29, v72
	v_sub_nc_u32_e32 v72, 30, v72
	v_lshlrev_b32_sdwa v73, v73, v8 dst_sel:DWORD dst_unused:UNUSED_PAD src0_sel:DWORD src1_sel:WORD_1
	v_cndmask_b32_e32 v63, v63, v72, vcc_lo
	v_lshlrev_b32_e32 v72, 8, v8
	v_and_b32_e32 v73, 3, v73
	v_lshl_add_u32 v63, v63, 23, 0x37800000
	v_and_b32_e32 v72, 0x80000000, v72
	v_cndmask_b32_e32 v62, v62, v73, vcc_lo
	v_lshlrev_b32_e32 v62, 21, v62
	v_or3_b32 v62, v72, v63, v62
.LBB6_9910:                             ;   in Loop: Header=BB6_7994 Depth=3
	s_or_b32 exec_lo, exec_lo, s16
	v_add_f32_e32 v62, v5, v62
	v_and_b32_e32 v5, 0x7f800000, v62
	v_cmp_ne_u32_e32 vcc_lo, 0x7f800000, v5
	v_mov_b32_e32 v5, 0x80
	s_and_saveexec_b32 s23, vcc_lo
	s_cbranch_execz .LBB6_9918
; %bb.9911:                             ;   in Loop: Header=BB6_7994 Depth=3
	v_mov_b32_e32 v5, 0
	s_mov_b32 s72, exec_lo
	v_cmpx_ne_u32_e32 0, v62
	s_cbranch_execz .LBB6_9917
; %bb.9912:                             ;   in Loop: Header=BB6_7994 Depth=3
	v_bfe_u32 v63, v62, 23, 8
	v_and_b32_e32 v5, 0x7fffff, v62
	v_cmp_gt_u32_e64 s16, 0x71, v63
	v_sub_nc_u32_e32 v72, 0x70, v63
	v_cmp_eq_u32_e32 vcc_lo, 0, v63
	v_or_b32_e32 v73, 0x800000, v5
	v_cndmask_b32_e64 v72, 0, v72, s16
	v_cndmask_b32_e32 v5, v73, v5, vcc_lo
	v_cndmask_b32_e64 v72, v72, 0x6f, vcc_lo
	v_lshl_add_u32 v73, 0x200000, v72, -1
	v_lshlrev_b32_e64 v74, v72, 0x100000
	v_and_b32_e32 v73, v73, v5
	v_cmp_eq_u32_e64 s16, v73, v74
	v_lshrrev_b32_e32 v73, v72, v5
	v_add_nc_u32_e32 v5, 0xffffff91, v63
	v_lshrrev_b32_e32 v63, 23, v73
	v_cndmask_b32_e64 v5, v5, 0xffffff92, vcc_lo
	v_xor_b32_e32 v63, 1, v63
	v_add_nc_u32_e32 v5, v72, v5
	v_bfe_u32 v72, v73, 21, 1
	v_add_nc_u32_e32 v72, -1, v72
	v_cndmask_b32_e64 v72, 0, v72, s16
	s_mov_b32 s16, exec_lo
	v_add_nc_u32_e32 v72, v72, v73
	v_and_b32_e32 v72, 0x1fffff, v72
	v_add_nc_u32_e32 v72, v72, v73
                                        ; implicit-def: $vgpr73
	v_cmpx_ne_u32_e64 v5, v63
	s_xor_b32 s16, exec_lo, s16
; %bb.9913:                             ;   in Loop: Header=BB6_7994 Depth=3
	v_cmp_lt_u32_e32 vcc_lo, 0xffffff, v72
	v_sub_nc_u32_e32 v5, v5, v63
	v_cndmask_b32_e64 v63, 0, 1, vcc_lo
	v_add_co_ci_u32_e64 v73, null, 0, v5, vcc_lo
	v_lshrrev_b32_e32 v72, v63, v72
; %bb.9914:                             ;   in Loop: Header=BB6_7994 Depth=3
	s_andn2_saveexec_b32 s16, s16
; %bb.9915:                             ;   in Loop: Header=BB6_7994 Depth=3
	v_bfe_u32 v73, v72, 23, 1
; %bb.9916:                             ;   in Loop: Header=BB6_7994 Depth=3
	s_or_b32 exec_lo, exec_lo, s16
	v_and_b32_sdwa v5, v62, v117 dst_sel:DWORD dst_unused:UNUSED_PAD src0_sel:BYTE_3 src1_sel:DWORD
	v_lshrrev_b32_e32 v62, 21, v72
	v_min_i32_e32 v63, 31, v73
	v_cmp_gt_i32_e32 vcc_lo, 32, v73
	v_lshlrev_b32_e32 v63, 2, v63
	v_cndmask_b32_e32 v62, 3, v62, vcc_lo
	v_and_b32_e32 v63, 0xfc, v63
	v_or_b32_e32 v72, v73, v62
	v_and_b32_e32 v62, 3, v62
	v_cmp_ne_u32_e32 vcc_lo, 0, v72
	v_or3_b32 v5, v63, v5, v62
	v_cndmask_b32_e32 v5, 0, v5, vcc_lo
.LBB6_9917:                             ;   in Loop: Header=BB6_7994 Depth=3
	s_or_b32 exec_lo, exec_lo, s72
.LBB6_9918:                             ;   in Loop: Header=BB6_7994 Depth=3
	s_or_b32 exec_lo, exec_lo, s23
	v_cmp_gt_i16_sdwa s23, v45, v116 src0_sel:BYTE_3 src1_sel:DWORD
	s_mov_b32 s16, 0
	s_and_saveexec_b32 s72, s23
	s_xor_b32 s23, exec_lo, s72
	s_cbranch_execz .LBB6_10508
; %bb.9919:                             ;   in Loop: Header=BB6_7994 Depth=3
	v_cmp_eq_u16_sdwa s73, v45, v117 src0_sel:BYTE_3 src1_sel:DWORD
	s_mov_b32 s16, -1
	s_and_saveexec_b32 s72, s73
; %bb.9920:                             ;   in Loop: Header=BB6_7994 Depth=3
	s_xor_b32 s16, exec_lo, -1
; %bb.9921:                             ;   in Loop: Header=BB6_7994 Depth=3
	s_or_b32 exec_lo, exec_lo, s72
	s_and_b32 s16, s16, exec_lo
	s_or_saveexec_b32 s23, s23
	v_mov_b32_e32 v62, 0x7f800001
	s_xor_b32 exec_lo, exec_lo, s23
	s_cbranch_execnz .LBB6_10509
.LBB6_9922:                             ;   in Loop: Header=BB6_7994 Depth=3
	s_or_b32 exec_lo, exec_lo, s23
	s_and_saveexec_b32 s23, s16
	s_cbranch_execz .LBB6_9924
.LBB6_9923:                             ;   in Loop: Header=BB6_7994 Depth=3
	v_bfe_u32 v62, v45, 24, 2
	v_bfe_u32 v73, v45, 26, 5
	v_ffbh_u32_e32 v63, v62
	v_cmp_eq_u32_e32 vcc_lo, 0, v73
	v_min_u32_e32 v63, 32, v63
	v_subrev_nc_u32_e32 v72, 29, v63
	v_sub_nc_u32_e32 v63, 30, v63
	v_lshlrev_b32_sdwa v72, v72, v45 dst_sel:DWORD dst_unused:UNUSED_PAD src0_sel:DWORD src1_sel:BYTE_3
	v_cndmask_b32_e32 v63, v73, v63, vcc_lo
	v_and_b32_e32 v45, 0x80000000, v45
	v_and_b32_e32 v72, 3, v72
	v_lshl_add_u32 v63, v63, 23, 0x37800000
	v_cndmask_b32_e32 v62, v62, v72, vcc_lo
	v_lshlrev_b32_e32 v62, 21, v62
	v_or3_b32 v62, v45, v63, v62
.LBB6_9924:                             ;   in Loop: Header=BB6_7994 Depth=3
	s_or_b32 exec_lo, exec_lo, s23
	v_cmp_gt_i16_sdwa s23, v8, v116 src0_sel:BYTE_3 src1_sel:DWORD
	s_mov_b32 s16, 0
	s_and_saveexec_b32 s72, s23
	s_xor_b32 s23, exec_lo, s72
	s_cbranch_execz .LBB6_10510
; %bb.9925:                             ;   in Loop: Header=BB6_7994 Depth=3
	v_cmp_eq_u16_sdwa s73, v8, v117 src0_sel:BYTE_3 src1_sel:DWORD
	s_mov_b32 s16, -1
	s_and_saveexec_b32 s72, s73
; %bb.9926:                             ;   in Loop: Header=BB6_7994 Depth=3
	s_xor_b32 s16, exec_lo, -1
; %bb.9927:                             ;   in Loop: Header=BB6_7994 Depth=3
	s_or_b32 exec_lo, exec_lo, s72
	s_and_b32 s16, s16, exec_lo
	s_or_saveexec_b32 s23, s23
	v_mov_b32_e32 v45, 0x7f800001
	s_xor_b32 exec_lo, exec_lo, s23
	s_cbranch_execnz .LBB6_10511
.LBB6_9928:                             ;   in Loop: Header=BB6_7994 Depth=3
	s_or_b32 exec_lo, exec_lo, s23
	s_and_saveexec_b32 s23, s16
	s_cbranch_execz .LBB6_9930
.LBB6_9929:                             ;   in Loop: Header=BB6_7994 Depth=3
	v_bfe_u32 v45, v8, 24, 2
	v_bfe_u32 v73, v8, 26, 5
	v_ffbh_u32_e32 v63, v45
	v_cmp_eq_u32_e32 vcc_lo, 0, v73
	v_min_u32_e32 v63, 32, v63
	v_subrev_nc_u32_e32 v72, 29, v63
	v_sub_nc_u32_e32 v63, 30, v63
	v_lshlrev_b32_sdwa v72, v72, v8 dst_sel:DWORD dst_unused:UNUSED_PAD src0_sel:DWORD src1_sel:BYTE_3
	v_cndmask_b32_e32 v63, v73, v63, vcc_lo
	v_and_b32_e32 v8, 0x80000000, v8
	v_and_b32_e32 v72, 3, v72
	v_lshl_add_u32 v63, v63, 23, 0x37800000
	v_cndmask_b32_e32 v45, v45, v72, vcc_lo
	v_lshlrev_b32_e32 v45, 21, v45
	v_or3_b32 v45, v8, v63, v45
.LBB6_9930:                             ;   in Loop: Header=BB6_7994 Depth=3
	s_or_b32 exec_lo, exec_lo, s23
	v_add_f32_e32 v45, v62, v45
	v_and_b32_e32 v8, 0x7f800000, v45
	v_cmp_ne_u32_e32 vcc_lo, 0x7f800000, v8
	v_mov_b32_e32 v8, 0x8000
	s_and_saveexec_b32 s23, vcc_lo
	s_cbranch_execz .LBB6_9938
; %bb.9931:                             ;   in Loop: Header=BB6_7994 Depth=3
	v_mov_b32_e32 v8, 0
	s_mov_b32 s72, exec_lo
	v_cmpx_ne_u32_e32 0, v45
	s_cbranch_execz .LBB6_9937
; %bb.9932:                             ;   in Loop: Header=BB6_7994 Depth=3
	v_bfe_u32 v62, v45, 23, 8
	v_and_b32_e32 v8, 0x7fffff, v45
	v_cmp_gt_u32_e64 s16, 0x71, v62
	v_sub_nc_u32_e32 v63, 0x70, v62
	v_cmp_eq_u32_e32 vcc_lo, 0, v62
	v_or_b32_e32 v72, 0x800000, v8
	v_cndmask_b32_e64 v63, 0, v63, s16
	v_cndmask_b32_e32 v8, v72, v8, vcc_lo
	v_cndmask_b32_e64 v63, v63, 0x6f, vcc_lo
	v_lshl_add_u32 v72, 0x200000, v63, -1
	v_lshlrev_b32_e64 v73, v63, 0x100000
	v_and_b32_e32 v72, v72, v8
	v_cmp_eq_u32_e64 s16, v72, v73
	v_lshrrev_b32_e32 v72, v63, v8
	v_add_nc_u32_e32 v8, 0xffffff91, v62
	v_lshrrev_b32_e32 v62, 23, v72
	v_cndmask_b32_e64 v8, v8, 0xffffff92, vcc_lo
	v_xor_b32_e32 v62, 1, v62
	v_add_nc_u32_e32 v8, v63, v8
	v_bfe_u32 v63, v72, 21, 1
	v_add_nc_u32_e32 v63, -1, v63
	v_cndmask_b32_e64 v63, 0, v63, s16
	s_mov_b32 s16, exec_lo
	v_add_nc_u32_e32 v63, v63, v72
	v_and_b32_e32 v63, 0x1fffff, v63
	v_add_nc_u32_e32 v63, v63, v72
                                        ; implicit-def: $vgpr72
	v_cmpx_ne_u32_e64 v8, v62
	s_xor_b32 s16, exec_lo, s16
; %bb.9933:                             ;   in Loop: Header=BB6_7994 Depth=3
	v_cmp_lt_u32_e32 vcc_lo, 0xffffff, v63
	v_sub_nc_u32_e32 v8, v8, v62
	v_cndmask_b32_e64 v62, 0, 1, vcc_lo
	v_add_co_ci_u32_e64 v72, null, 0, v8, vcc_lo
	v_lshrrev_b32_e32 v63, v62, v63
; %bb.9934:                             ;   in Loop: Header=BB6_7994 Depth=3
	s_andn2_saveexec_b32 s16, s16
; %bb.9935:                             ;   in Loop: Header=BB6_7994 Depth=3
	v_bfe_u32 v72, v63, 23, 1
; %bb.9936:                             ;   in Loop: Header=BB6_7994 Depth=3
	s_or_b32 exec_lo, exec_lo, s16
	v_and_b32_sdwa v8, v45, v117 dst_sel:DWORD dst_unused:UNUSED_PAD src0_sel:BYTE_3 src1_sel:DWORD
	v_lshrrev_b32_e32 v45, 21, v63
	v_min_i32_e32 v62, 31, v72
	v_cmp_gt_i32_e32 vcc_lo, 32, v72
	v_lshlrev_b32_e32 v62, 2, v62
	v_cndmask_b32_e32 v45, 3, v45, vcc_lo
	v_and_b32_e32 v62, 0xfc, v62
	v_or_b32_e32 v63, v72, v45
	v_and_b32_e32 v45, 3, v45
	v_cmp_ne_u32_e32 vcc_lo, 0, v63
	v_or3_b32 v8, v8, v62, v45
	v_lshlrev_b32_e32 v8, 8, v8
	v_cndmask_b32_e32 v8, 0, v8, vcc_lo
.LBB6_9937:                             ;   in Loop: Header=BB6_7994 Depth=3
	s_or_b32 exec_lo, exec_lo, s72
.LBB6_9938:                             ;   in Loop: Header=BB6_7994 Depth=3
	s_or_b32 exec_lo, exec_lo, s23
	v_or_b32_e32 v63, v93, v92
	s_mov_b32 s23, 0
	v_cmp_gt_i16_sdwa s16, v63, v116 src0_sel:BYTE_0 src1_sel:DWORD
	s_and_saveexec_b32 s72, s16
	s_xor_b32 s16, exec_lo, s72
	s_cbranch_execz .LBB6_10512
; %bb.9939:                             ;   in Loop: Header=BB6_7994 Depth=3
	v_cmp_eq_u16_sdwa s73, v63, v117 src0_sel:BYTE_0 src1_sel:DWORD
	s_mov_b32 s23, -1
	s_and_saveexec_b32 s72, s73
; %bb.9940:                             ;   in Loop: Header=BB6_7994 Depth=3
	s_xor_b32 s23, exec_lo, -1
; %bb.9941:                             ;   in Loop: Header=BB6_7994 Depth=3
	s_or_b32 exec_lo, exec_lo, s72
	s_and_b32 s23, s23, exec_lo
	s_or_saveexec_b32 s16, s16
	v_mov_b32_e32 v45, 0x7f800001
	s_xor_b32 exec_lo, exec_lo, s16
	s_cbranch_execnz .LBB6_10513
.LBB6_9942:                             ;   in Loop: Header=BB6_7994 Depth=3
	s_or_b32 exec_lo, exec_lo, s16
	s_and_saveexec_b32 s16, s23
	s_cbranch_execz .LBB6_9944
.LBB6_9943:                             ;   in Loop: Header=BB6_7994 Depth=3
	v_and_b32_e32 v45, 3, v63
	v_bfe_u32 v62, v63, 2, 5
	v_ffbh_u32_e32 v72, v45
	v_cmp_eq_u32_e32 vcc_lo, 0, v62
	v_min_u32_e32 v72, 32, v72
	v_subrev_nc_u32_e32 v73, 29, v72
	v_sub_nc_u32_e32 v72, 30, v72
	v_lshlrev_b32_e32 v73, v73, v63
	v_cndmask_b32_e32 v62, v62, v72, vcc_lo
	v_lshlrev_b32_e32 v72, 24, v63
	v_and_b32_e32 v73, 3, v73
	v_lshl_add_u32 v62, v62, 23, 0x37800000
	v_and_b32_e32 v72, 0x80000000, v72
	v_cndmask_b32_e32 v45, v45, v73, vcc_lo
	v_lshlrev_b32_e32 v45, 21, v45
	v_or3_b32 v45, v72, v62, v45
.LBB6_9944:                             ;   in Loop: Header=BB6_7994 Depth=3
	s_or_b32 exec_lo, exec_lo, s16
	v_cmp_gt_i16_sdwa s16, v9, v116 src0_sel:BYTE_0 src1_sel:DWORD
	s_mov_b32 s23, 0
	s_and_saveexec_b32 s72, s16
	s_xor_b32 s16, exec_lo, s72
	s_cbranch_execz .LBB6_10514
; %bb.9945:                             ;   in Loop: Header=BB6_7994 Depth=3
	v_cmp_eq_u16_sdwa s73, v9, v117 src0_sel:BYTE_0 src1_sel:DWORD
	s_mov_b32 s23, -1
	s_and_saveexec_b32 s72, s73
; %bb.9946:                             ;   in Loop: Header=BB6_7994 Depth=3
	s_xor_b32 s23, exec_lo, -1
; %bb.9947:                             ;   in Loop: Header=BB6_7994 Depth=3
	s_or_b32 exec_lo, exec_lo, s72
	s_and_b32 s23, s23, exec_lo
	s_or_saveexec_b32 s16, s16
	v_mov_b32_e32 v62, 0x7f800001
	s_xor_b32 exec_lo, exec_lo, s16
	s_cbranch_execnz .LBB6_10515
.LBB6_9948:                             ;   in Loop: Header=BB6_7994 Depth=3
	s_or_b32 exec_lo, exec_lo, s16
	s_and_saveexec_b32 s16, s23
	s_cbranch_execz .LBB6_9950
.LBB6_9949:                             ;   in Loop: Header=BB6_7994 Depth=3
	v_and_b32_e32 v62, 3, v9
	v_bfe_u32 v72, v9, 2, 5
	v_ffbh_u32_e32 v73, v62
	v_cmp_eq_u32_e32 vcc_lo, 0, v72
	v_min_u32_e32 v73, 32, v73
	v_subrev_nc_u32_e32 v74, 29, v73
	v_sub_nc_u32_e32 v73, 30, v73
	v_lshlrev_b32_e32 v74, v74, v9
	v_cndmask_b32_e32 v72, v72, v73, vcc_lo
	v_lshlrev_b32_e32 v73, 24, v9
	v_and_b32_e32 v74, 3, v74
	v_lshl_add_u32 v72, v72, 23, 0x37800000
	v_and_b32_e32 v73, 0x80000000, v73
	v_cndmask_b32_e32 v62, v62, v74, vcc_lo
	v_lshlrev_b32_e32 v62, 21, v62
	v_or3_b32 v62, v73, v72, v62
.LBB6_9950:                             ;   in Loop: Header=BB6_7994 Depth=3
	s_or_b32 exec_lo, exec_lo, s16
	v_add_f32_e32 v62, v45, v62
	v_and_b32_e32 v45, 0x7f800000, v62
	v_cmp_ne_u32_e32 vcc_lo, 0x7f800000, v45
	v_mov_b32_e32 v45, 0x80
	s_and_saveexec_b32 s23, vcc_lo
	s_cbranch_execz .LBB6_9958
; %bb.9951:                             ;   in Loop: Header=BB6_7994 Depth=3
	v_mov_b32_e32 v45, 0
	s_mov_b32 s72, exec_lo
	v_cmpx_ne_u32_e32 0, v62
	s_cbranch_execz .LBB6_9957
; %bb.9952:                             ;   in Loop: Header=BB6_7994 Depth=3
	v_bfe_u32 v72, v62, 23, 8
	v_and_b32_e32 v45, 0x7fffff, v62
	v_cmp_gt_u32_e64 s16, 0x71, v72
	v_sub_nc_u32_e32 v73, 0x70, v72
	v_cmp_eq_u32_e32 vcc_lo, 0, v72
	v_or_b32_e32 v74, 0x800000, v45
	v_cndmask_b32_e64 v73, 0, v73, s16
	v_cndmask_b32_e32 v45, v74, v45, vcc_lo
	v_cndmask_b32_e64 v73, v73, 0x6f, vcc_lo
	v_lshl_add_u32 v74, 0x200000, v73, -1
	v_lshlrev_b32_e64 v75, v73, 0x100000
	v_and_b32_e32 v74, v74, v45
	v_cmp_eq_u32_e64 s16, v74, v75
	v_lshrrev_b32_e32 v74, v73, v45
	v_add_nc_u32_e32 v45, 0xffffff91, v72
	v_lshrrev_b32_e32 v72, 23, v74
	v_cndmask_b32_e64 v45, v45, 0xffffff92, vcc_lo
	v_xor_b32_e32 v72, 1, v72
	v_add_nc_u32_e32 v45, v73, v45
	v_bfe_u32 v73, v74, 21, 1
	v_add_nc_u32_e32 v73, -1, v73
	v_cndmask_b32_e64 v73, 0, v73, s16
	s_mov_b32 s16, exec_lo
	v_add_nc_u32_e32 v73, v73, v74
	v_and_b32_e32 v73, 0x1fffff, v73
	v_add_nc_u32_e32 v73, v73, v74
                                        ; implicit-def: $vgpr74
	v_cmpx_ne_u32_e64 v45, v72
	s_xor_b32 s16, exec_lo, s16
; %bb.9953:                             ;   in Loop: Header=BB6_7994 Depth=3
	v_cmp_lt_u32_e32 vcc_lo, 0xffffff, v73
	v_sub_nc_u32_e32 v45, v45, v72
	v_cndmask_b32_e64 v72, 0, 1, vcc_lo
	v_add_co_ci_u32_e64 v74, null, 0, v45, vcc_lo
	v_lshrrev_b32_e32 v73, v72, v73
; %bb.9954:                             ;   in Loop: Header=BB6_7994 Depth=3
	s_andn2_saveexec_b32 s16, s16
; %bb.9955:                             ;   in Loop: Header=BB6_7994 Depth=3
	v_bfe_u32 v74, v73, 23, 1
; %bb.9956:                             ;   in Loop: Header=BB6_7994 Depth=3
	s_or_b32 exec_lo, exec_lo, s16
	v_and_b32_sdwa v45, v62, v117 dst_sel:DWORD dst_unused:UNUSED_PAD src0_sel:BYTE_3 src1_sel:DWORD
	v_lshrrev_b32_e32 v62, 21, v73
	v_min_i32_e32 v72, 31, v74
	v_cmp_gt_i32_e32 vcc_lo, 32, v74
	v_lshlrev_b32_e32 v72, 2, v72
	v_cndmask_b32_e32 v62, 3, v62, vcc_lo
	v_and_b32_e32 v72, 0xfc, v72
	v_or_b32_e32 v73, v74, v62
	v_and_b32_e32 v62, 3, v62
	v_cmp_ne_u32_e32 vcc_lo, 0, v73
	v_or3_b32 v45, v72, v45, v62
	v_cndmask_b32_e32 v45, 0, v45, vcc_lo
.LBB6_9957:                             ;   in Loop: Header=BB6_7994 Depth=3
	s_or_b32 exec_lo, exec_lo, s72
.LBB6_9958:                             ;   in Loop: Header=BB6_7994 Depth=3
	s_or_b32 exec_lo, exec_lo, s23
	v_cmp_gt_i16_sdwa s23, v63, v116 src0_sel:BYTE_1 src1_sel:DWORD
	s_mov_b32 s16, 0
	s_and_saveexec_b32 s72, s23
	s_xor_b32 s23, exec_lo, s72
	s_cbranch_execz .LBB6_10516
; %bb.9959:                             ;   in Loop: Header=BB6_7994 Depth=3
	v_cmp_eq_u16_sdwa s73, v63, v117 src0_sel:BYTE_1 src1_sel:DWORD
	s_mov_b32 s16, -1
	s_and_saveexec_b32 s72, s73
; %bb.9960:                             ;   in Loop: Header=BB6_7994 Depth=3
	s_xor_b32 s16, exec_lo, -1
; %bb.9961:                             ;   in Loop: Header=BB6_7994 Depth=3
	s_or_b32 exec_lo, exec_lo, s72
	s_and_b32 s16, s16, exec_lo
	s_or_saveexec_b32 s23, s23
	v_mov_b32_e32 v62, 0x7f800001
	s_xor_b32 exec_lo, exec_lo, s23
	s_cbranch_execnz .LBB6_10517
.LBB6_9962:                             ;   in Loop: Header=BB6_7994 Depth=3
	s_or_b32 exec_lo, exec_lo, s23
	s_and_saveexec_b32 s23, s16
	s_cbranch_execz .LBB6_9964
.LBB6_9963:                             ;   in Loop: Header=BB6_7994 Depth=3
	v_and_b32_sdwa v62, v118, v63 dst_sel:DWORD dst_unused:UNUSED_PAD src0_sel:DWORD src1_sel:BYTE_1
	v_and_b32_e32 v72, 3, v62
	v_bfe_u32 v75, v62, 2, 5
	v_ffbh_u32_e32 v73, v72
	v_cmp_eq_u32_e32 vcc_lo, 0, v75
	v_min_u32_e32 v73, 32, v73
	v_subrev_nc_u32_e32 v74, 29, v73
	v_sub_nc_u32_e32 v73, 30, v73
	v_lshlrev_b32_e32 v62, v74, v62
	v_lshlrev_b32_sdwa v74, v119, v63 dst_sel:DWORD dst_unused:UNUSED_PAD src0_sel:DWORD src1_sel:BYTE_1
	v_cndmask_b32_e32 v73, v75, v73, vcc_lo
	v_and_b32_e32 v62, 3, v62
	v_lshl_add_u32 v73, v73, 23, 0x37800000
	v_cndmask_b32_e32 v62, v72, v62, vcc_lo
	v_and_b32_e32 v72, 0x80000000, v74
	v_lshlrev_b32_e32 v62, 21, v62
	v_or3_b32 v62, v72, v73, v62
.LBB6_9964:                             ;   in Loop: Header=BB6_7994 Depth=3
	s_or_b32 exec_lo, exec_lo, s23
	v_cmp_gt_i16_sdwa s23, v9, v116 src0_sel:BYTE_1 src1_sel:DWORD
	s_mov_b32 s16, 0
	s_and_saveexec_b32 s72, s23
	s_xor_b32 s23, exec_lo, s72
	s_cbranch_execz .LBB6_10518
; %bb.9965:                             ;   in Loop: Header=BB6_7994 Depth=3
	v_cmp_eq_u16_sdwa s73, v9, v117 src0_sel:BYTE_1 src1_sel:DWORD
	s_mov_b32 s16, -1
	s_and_saveexec_b32 s72, s73
; %bb.9966:                             ;   in Loop: Header=BB6_7994 Depth=3
	s_xor_b32 s16, exec_lo, -1
; %bb.9967:                             ;   in Loop: Header=BB6_7994 Depth=3
	s_or_b32 exec_lo, exec_lo, s72
	s_and_b32 s16, s16, exec_lo
	s_or_saveexec_b32 s23, s23
	v_mov_b32_e32 v72, 0x7f800001
	s_xor_b32 exec_lo, exec_lo, s23
	s_cbranch_execnz .LBB6_10519
.LBB6_9968:                             ;   in Loop: Header=BB6_7994 Depth=3
	s_or_b32 exec_lo, exec_lo, s23
	s_and_saveexec_b32 s23, s16
	s_cbranch_execz .LBB6_9970
.LBB6_9969:                             ;   in Loop: Header=BB6_7994 Depth=3
	v_and_b32_sdwa v72, v118, v9 dst_sel:DWORD dst_unused:UNUSED_PAD src0_sel:DWORD src1_sel:BYTE_1
	v_and_b32_e32 v73, 3, v72
	v_bfe_u32 v77, v72, 2, 5
	v_ffbh_u32_e32 v74, v73
	v_cmp_eq_u32_e32 vcc_lo, 0, v77
	v_min_u32_e32 v74, 32, v74
	v_subrev_nc_u32_e32 v75, 29, v74
	v_sub_nc_u32_e32 v74, 30, v74
	v_lshlrev_b32_e32 v72, v75, v72
	v_lshlrev_b32_sdwa v75, v119, v9 dst_sel:DWORD dst_unused:UNUSED_PAD src0_sel:DWORD src1_sel:BYTE_1
	v_cndmask_b32_e32 v74, v77, v74, vcc_lo
	v_and_b32_e32 v72, 3, v72
	v_lshl_add_u32 v74, v74, 23, 0x37800000
	v_cndmask_b32_e32 v72, v73, v72, vcc_lo
	v_and_b32_e32 v73, 0x80000000, v75
	v_lshlrev_b32_e32 v72, 21, v72
	v_or3_b32 v72, v73, v74, v72
.LBB6_9970:                             ;   in Loop: Header=BB6_7994 Depth=3
	s_or_b32 exec_lo, exec_lo, s23
	v_add_f32_e32 v72, v62, v72
	v_and_b32_e32 v62, 0x7f800000, v72
	v_cmp_ne_u32_e32 vcc_lo, 0x7f800000, v62
	v_mov_b32_e32 v62, 0x8000
	s_and_saveexec_b32 s23, vcc_lo
	s_cbranch_execz .LBB6_9978
; %bb.9971:                             ;   in Loop: Header=BB6_7994 Depth=3
	v_mov_b32_e32 v62, 0
	s_mov_b32 s72, exec_lo
	v_cmpx_ne_u32_e32 0, v72
	s_cbranch_execz .LBB6_9977
; %bb.9972:                             ;   in Loop: Header=BB6_7994 Depth=3
	v_bfe_u32 v73, v72, 23, 8
	v_and_b32_e32 v62, 0x7fffff, v72
	v_cmp_gt_u32_e64 s16, 0x71, v73
	v_sub_nc_u32_e32 v74, 0x70, v73
	v_cmp_eq_u32_e32 vcc_lo, 0, v73
	v_or_b32_e32 v75, 0x800000, v62
	v_cndmask_b32_e64 v74, 0, v74, s16
	v_cndmask_b32_e32 v62, v75, v62, vcc_lo
	v_cndmask_b32_e64 v74, v74, 0x6f, vcc_lo
	v_lshl_add_u32 v75, 0x200000, v74, -1
	v_lshlrev_b32_e64 v77, v74, 0x100000
	v_and_b32_e32 v75, v75, v62
	v_cmp_eq_u32_e64 s16, v75, v77
	v_lshrrev_b32_e32 v75, v74, v62
	v_add_nc_u32_e32 v62, 0xffffff91, v73
	v_lshrrev_b32_e32 v73, 23, v75
	v_cndmask_b32_e64 v62, v62, 0xffffff92, vcc_lo
	v_xor_b32_e32 v73, 1, v73
	v_add_nc_u32_e32 v62, v74, v62
	v_bfe_u32 v74, v75, 21, 1
	v_add_nc_u32_e32 v74, -1, v74
	v_cndmask_b32_e64 v74, 0, v74, s16
	s_mov_b32 s16, exec_lo
	v_add_nc_u32_e32 v74, v74, v75
	v_and_b32_e32 v74, 0x1fffff, v74
	v_add_nc_u32_e32 v74, v74, v75
                                        ; implicit-def: $vgpr75
	v_cmpx_ne_u32_e64 v62, v73
	s_xor_b32 s16, exec_lo, s16
; %bb.9973:                             ;   in Loop: Header=BB6_7994 Depth=3
	v_cmp_lt_u32_e32 vcc_lo, 0xffffff, v74
	v_sub_nc_u32_e32 v62, v62, v73
	v_cndmask_b32_e64 v73, 0, 1, vcc_lo
	v_add_co_ci_u32_e64 v75, null, 0, v62, vcc_lo
	v_lshrrev_b32_e32 v74, v73, v74
; %bb.9974:                             ;   in Loop: Header=BB6_7994 Depth=3
	s_andn2_saveexec_b32 s16, s16
; %bb.9975:                             ;   in Loop: Header=BB6_7994 Depth=3
	v_bfe_u32 v75, v74, 23, 1
; %bb.9976:                             ;   in Loop: Header=BB6_7994 Depth=3
	s_or_b32 exec_lo, exec_lo, s16
	v_and_b32_sdwa v62, v72, v117 dst_sel:DWORD dst_unused:UNUSED_PAD src0_sel:BYTE_3 src1_sel:DWORD
	v_lshrrev_b32_e32 v72, 21, v74
	v_min_i32_e32 v73, 31, v75
	v_cmp_gt_i32_e32 vcc_lo, 32, v75
	v_lshlrev_b32_e32 v73, 2, v73
	v_cndmask_b32_e32 v72, 3, v72, vcc_lo
	v_and_b32_e32 v73, 0xfc, v73
	v_or_b32_e32 v74, v75, v72
	v_and_b32_e32 v72, 3, v72
	v_cmp_ne_u32_e32 vcc_lo, 0, v74
	v_or3_b32 v62, v62, v73, v72
	v_lshlrev_b32_e32 v62, 8, v62
	v_cndmask_b32_e32 v62, 0, v62, vcc_lo
.LBB6_9977:                             ;   in Loop: Header=BB6_7994 Depth=3
	s_or_b32 exec_lo, exec_lo, s72
.LBB6_9978:                             ;   in Loop: Header=BB6_7994 Depth=3
	s_or_b32 exec_lo, exec_lo, s23
	v_or_b32_e32 v72, v4, v90
	s_mov_b32 s23, 0
	v_cmp_gt_i16_sdwa s16, v72, v116 src0_sel:BYTE_0 src1_sel:DWORD
	s_and_saveexec_b32 s72, s16
	s_xor_b32 s16, exec_lo, s72
	s_cbranch_execz .LBB6_10520
; %bb.9979:                             ;   in Loop: Header=BB6_7994 Depth=3
	v_cmp_eq_u16_sdwa s73, v72, v117 src0_sel:BYTE_0 src1_sel:DWORD
	s_mov_b32 s23, -1
	s_and_saveexec_b32 s72, s73
; %bb.9980:                             ;   in Loop: Header=BB6_7994 Depth=3
	s_xor_b32 s23, exec_lo, -1
; %bb.9981:                             ;   in Loop: Header=BB6_7994 Depth=3
	s_or_b32 exec_lo, exec_lo, s72
	s_and_b32 s23, s23, exec_lo
	s_or_saveexec_b32 s16, s16
	v_mov_b32_e32 v4, 0x7f800001
	s_xor_b32 exec_lo, exec_lo, s16
	s_cbranch_execnz .LBB6_10521
.LBB6_9982:                             ;   in Loop: Header=BB6_7994 Depth=3
	s_or_b32 exec_lo, exec_lo, s16
	v_lshl_or_b32 v63, v72, 16, v63
	s_and_saveexec_b32 s16, s23
	s_cbranch_execz .LBB6_9984
.LBB6_9983:                             ;   in Loop: Header=BB6_7994 Depth=3
	v_bfe_u32 v4, v63, 16, 2
	v_bfe_u32 v72, v63, 18, 5
	v_ffbh_u32_e32 v73, v4
	v_cmp_eq_u32_e32 vcc_lo, 0, v72
	v_min_u32_e32 v73, 32, v73
	v_subrev_nc_u32_e32 v74, 29, v73
	v_sub_nc_u32_e32 v73, 30, v73
	v_lshlrev_b32_sdwa v74, v74, v63 dst_sel:DWORD dst_unused:UNUSED_PAD src0_sel:DWORD src1_sel:WORD_1
	v_cndmask_b32_e32 v72, v72, v73, vcc_lo
	v_lshlrev_b32_e32 v73, 8, v63
	v_and_b32_e32 v74, 3, v74
	v_lshl_add_u32 v72, v72, 23, 0x37800000
	v_and_b32_e32 v73, 0x80000000, v73
	v_cndmask_b32_e32 v4, v4, v74, vcc_lo
	v_lshlrev_b32_e32 v4, 21, v4
	v_or3_b32 v4, v73, v72, v4
.LBB6_9984:                             ;   in Loop: Header=BB6_7994 Depth=3
	s_or_b32 exec_lo, exec_lo, s16
	v_and_b32_sdwa v73, v9, v40 dst_sel:DWORD dst_unused:UNUSED_PAD src0_sel:WORD_1 src1_sel:DWORD
	s_mov_b32 s23, 0
	s_mov_b32 s16, exec_lo
	v_cmpx_lt_i16_e32 0x7f, v73
	s_xor_b32 s16, exec_lo, s16
	s_cbranch_execz .LBB6_10522
; %bb.9985:                             ;   in Loop: Header=BB6_7994 Depth=3
	s_mov_b32 s23, -1
	s_mov_b32 s72, exec_lo
	v_cmpx_eq_u16_e32 0x80, v73
; %bb.9986:                             ;   in Loop: Header=BB6_7994 Depth=3
	s_xor_b32 s23, exec_lo, -1
; %bb.9987:                             ;   in Loop: Header=BB6_7994 Depth=3
	s_or_b32 exec_lo, exec_lo, s72
	s_and_b32 s23, s23, exec_lo
                                        ; implicit-def: $vgpr73
	s_or_saveexec_b32 s16, s16
	v_mov_b32_e32 v72, 0x7f800001
	s_xor_b32 exec_lo, exec_lo, s16
	s_cbranch_execnz .LBB6_10523
.LBB6_9988:                             ;   in Loop: Header=BB6_7994 Depth=3
	s_or_b32 exec_lo, exec_lo, s16
	s_and_saveexec_b32 s16, s23
	s_cbranch_execz .LBB6_9990
.LBB6_9989:                             ;   in Loop: Header=BB6_7994 Depth=3
	v_bfe_u32 v72, v9, 16, 2
	v_bfe_u32 v73, v9, 18, 5
	v_ffbh_u32_e32 v74, v72
	v_cmp_eq_u32_e32 vcc_lo, 0, v73
	v_min_u32_e32 v74, 32, v74
	v_subrev_nc_u32_e32 v75, 29, v74
	v_sub_nc_u32_e32 v74, 30, v74
	v_lshlrev_b32_sdwa v75, v75, v9 dst_sel:DWORD dst_unused:UNUSED_PAD src0_sel:DWORD src1_sel:WORD_1
	v_cndmask_b32_e32 v73, v73, v74, vcc_lo
	v_lshlrev_b32_e32 v74, 8, v9
	v_and_b32_e32 v75, 3, v75
	v_lshl_add_u32 v73, v73, 23, 0x37800000
	v_and_b32_e32 v74, 0x80000000, v74
	v_cndmask_b32_e32 v72, v72, v75, vcc_lo
	v_lshlrev_b32_e32 v72, 21, v72
	v_or3_b32 v72, v74, v73, v72
.LBB6_9990:                             ;   in Loop: Header=BB6_7994 Depth=3
	s_or_b32 exec_lo, exec_lo, s16
	v_add_f32_e32 v72, v4, v72
	v_and_b32_e32 v4, 0x7f800000, v72
	v_cmp_ne_u32_e32 vcc_lo, 0x7f800000, v4
	v_mov_b32_e32 v4, 0x80
	s_and_saveexec_b32 s23, vcc_lo
	s_cbranch_execz .LBB6_9998
; %bb.9991:                             ;   in Loop: Header=BB6_7994 Depth=3
	v_mov_b32_e32 v4, 0
	s_mov_b32 s72, exec_lo
	v_cmpx_ne_u32_e32 0, v72
	s_cbranch_execz .LBB6_9997
; %bb.9992:                             ;   in Loop: Header=BB6_7994 Depth=3
	v_bfe_u32 v73, v72, 23, 8
	v_and_b32_e32 v4, 0x7fffff, v72
	v_cmp_gt_u32_e64 s16, 0x71, v73
	v_sub_nc_u32_e32 v74, 0x70, v73
	v_cmp_eq_u32_e32 vcc_lo, 0, v73
	v_or_b32_e32 v75, 0x800000, v4
	v_cndmask_b32_e64 v74, 0, v74, s16
	v_cndmask_b32_e32 v4, v75, v4, vcc_lo
	v_cndmask_b32_e64 v74, v74, 0x6f, vcc_lo
	v_lshl_add_u32 v75, 0x200000, v74, -1
	v_lshlrev_b32_e64 v77, v74, 0x100000
	v_and_b32_e32 v75, v75, v4
	v_cmp_eq_u32_e64 s16, v75, v77
	v_lshrrev_b32_e32 v75, v74, v4
	v_add_nc_u32_e32 v4, 0xffffff91, v73
	v_lshrrev_b32_e32 v73, 23, v75
	v_cndmask_b32_e64 v4, v4, 0xffffff92, vcc_lo
	v_xor_b32_e32 v73, 1, v73
	v_add_nc_u32_e32 v4, v74, v4
	v_bfe_u32 v74, v75, 21, 1
	v_add_nc_u32_e32 v74, -1, v74
	v_cndmask_b32_e64 v74, 0, v74, s16
	s_mov_b32 s16, exec_lo
	v_add_nc_u32_e32 v74, v74, v75
	v_and_b32_e32 v74, 0x1fffff, v74
	v_add_nc_u32_e32 v74, v74, v75
                                        ; implicit-def: $vgpr75
	v_cmpx_ne_u32_e64 v4, v73
	s_xor_b32 s16, exec_lo, s16
; %bb.9993:                             ;   in Loop: Header=BB6_7994 Depth=3
	v_cmp_lt_u32_e32 vcc_lo, 0xffffff, v74
	v_sub_nc_u32_e32 v4, v4, v73
	v_cndmask_b32_e64 v73, 0, 1, vcc_lo
	v_add_co_ci_u32_e64 v75, null, 0, v4, vcc_lo
	v_lshrrev_b32_e32 v74, v73, v74
; %bb.9994:                             ;   in Loop: Header=BB6_7994 Depth=3
	s_andn2_saveexec_b32 s16, s16
; %bb.9995:                             ;   in Loop: Header=BB6_7994 Depth=3
	v_bfe_u32 v75, v74, 23, 1
; %bb.9996:                             ;   in Loop: Header=BB6_7994 Depth=3
	s_or_b32 exec_lo, exec_lo, s16
	v_and_b32_sdwa v4, v72, v117 dst_sel:DWORD dst_unused:UNUSED_PAD src0_sel:BYTE_3 src1_sel:DWORD
	v_lshrrev_b32_e32 v72, 21, v74
	v_min_i32_e32 v73, 31, v75
	v_cmp_gt_i32_e32 vcc_lo, 32, v75
	v_lshlrev_b32_e32 v73, 2, v73
	v_cndmask_b32_e32 v72, 3, v72, vcc_lo
	v_and_b32_e32 v73, 0xfc, v73
	v_or_b32_e32 v74, v75, v72
	v_and_b32_e32 v72, 3, v72
	v_cmp_ne_u32_e32 vcc_lo, 0, v74
	v_or3_b32 v4, v73, v4, v72
	v_cndmask_b32_e32 v4, 0, v4, vcc_lo
.LBB6_9997:                             ;   in Loop: Header=BB6_7994 Depth=3
	s_or_b32 exec_lo, exec_lo, s72
.LBB6_9998:                             ;   in Loop: Header=BB6_7994 Depth=3
	s_or_b32 exec_lo, exec_lo, s23
	v_cmp_gt_i16_sdwa s23, v63, v116 src0_sel:BYTE_3 src1_sel:DWORD
	s_mov_b32 s16, 0
	s_and_saveexec_b32 s72, s23
	s_xor_b32 s23, exec_lo, s72
	s_cbranch_execz .LBB6_10524
; %bb.9999:                             ;   in Loop: Header=BB6_7994 Depth=3
	v_cmp_eq_u16_sdwa s73, v63, v117 src0_sel:BYTE_3 src1_sel:DWORD
	s_mov_b32 s16, -1
	s_and_saveexec_b32 s72, s73
; %bb.10000:                            ;   in Loop: Header=BB6_7994 Depth=3
	s_xor_b32 s16, exec_lo, -1
; %bb.10001:                            ;   in Loop: Header=BB6_7994 Depth=3
	s_or_b32 exec_lo, exec_lo, s72
	s_and_b32 s16, s16, exec_lo
	s_or_saveexec_b32 s23, s23
	v_mov_b32_e32 v72, 0x7f800001
	s_xor_b32 exec_lo, exec_lo, s23
	s_cbranch_execnz .LBB6_10525
.LBB6_10002:                            ;   in Loop: Header=BB6_7994 Depth=3
	s_or_b32 exec_lo, exec_lo, s23
	s_and_saveexec_b32 s23, s16
	s_cbranch_execz .LBB6_10004
.LBB6_10003:                            ;   in Loop: Header=BB6_7994 Depth=3
	v_bfe_u32 v72, v63, 24, 2
	v_bfe_u32 v75, v63, 26, 5
	v_ffbh_u32_e32 v73, v72
	v_cmp_eq_u32_e32 vcc_lo, 0, v75
	v_min_u32_e32 v73, 32, v73
	v_subrev_nc_u32_e32 v74, 29, v73
	v_sub_nc_u32_e32 v73, 30, v73
	v_lshlrev_b32_sdwa v74, v74, v63 dst_sel:DWORD dst_unused:UNUSED_PAD src0_sel:DWORD src1_sel:BYTE_3
	v_cndmask_b32_e32 v73, v75, v73, vcc_lo
	v_and_b32_e32 v63, 0x80000000, v63
	v_and_b32_e32 v74, 3, v74
	v_lshl_add_u32 v73, v73, 23, 0x37800000
	v_cndmask_b32_e32 v72, v72, v74, vcc_lo
	v_lshlrev_b32_e32 v72, 21, v72
	v_or3_b32 v72, v63, v73, v72
.LBB6_10004:                            ;   in Loop: Header=BB6_7994 Depth=3
	s_or_b32 exec_lo, exec_lo, s23
	v_cmp_gt_i16_sdwa s23, v9, v116 src0_sel:BYTE_3 src1_sel:DWORD
	s_mov_b32 s16, 0
	s_and_saveexec_b32 s72, s23
	s_xor_b32 s23, exec_lo, s72
	s_cbranch_execz .LBB6_10526
; %bb.10005:                            ;   in Loop: Header=BB6_7994 Depth=3
	v_cmp_eq_u16_sdwa s73, v9, v117 src0_sel:BYTE_3 src1_sel:DWORD
	s_mov_b32 s16, -1
	s_and_saveexec_b32 s72, s73
; %bb.10006:                            ;   in Loop: Header=BB6_7994 Depth=3
	s_xor_b32 s16, exec_lo, -1
; %bb.10007:                            ;   in Loop: Header=BB6_7994 Depth=3
	s_or_b32 exec_lo, exec_lo, s72
	s_and_b32 s16, s16, exec_lo
	s_or_saveexec_b32 s23, s23
	v_mov_b32_e32 v63, 0x7f800001
	s_xor_b32 exec_lo, exec_lo, s23
	s_cbranch_execnz .LBB6_10527
.LBB6_10008:                            ;   in Loop: Header=BB6_7994 Depth=3
	s_or_b32 exec_lo, exec_lo, s23
	s_and_saveexec_b32 s23, s16
	s_cbranch_execz .LBB6_10010
.LBB6_10009:                            ;   in Loop: Header=BB6_7994 Depth=3
	v_bfe_u32 v63, v9, 24, 2
	v_bfe_u32 v75, v9, 26, 5
	v_ffbh_u32_e32 v73, v63
	v_cmp_eq_u32_e32 vcc_lo, 0, v75
	v_min_u32_e32 v73, 32, v73
	v_subrev_nc_u32_e32 v74, 29, v73
	v_sub_nc_u32_e32 v73, 30, v73
	v_lshlrev_b32_sdwa v74, v74, v9 dst_sel:DWORD dst_unused:UNUSED_PAD src0_sel:DWORD src1_sel:BYTE_3
	v_cndmask_b32_e32 v73, v75, v73, vcc_lo
	v_and_b32_e32 v9, 0x80000000, v9
	v_and_b32_e32 v74, 3, v74
	v_lshl_add_u32 v73, v73, 23, 0x37800000
	v_cndmask_b32_e32 v63, v63, v74, vcc_lo
	v_lshlrev_b32_e32 v63, 21, v63
	v_or3_b32 v63, v9, v73, v63
.LBB6_10010:                            ;   in Loop: Header=BB6_7994 Depth=3
	s_or_b32 exec_lo, exec_lo, s23
	v_add_f32_e32 v63, v72, v63
	v_and_b32_e32 v9, 0x7f800000, v63
	v_cmp_ne_u32_e32 vcc_lo, 0x7f800000, v9
	v_mov_b32_e32 v9, 0x8000
	s_and_saveexec_b32 s23, vcc_lo
	s_cbranch_execz .LBB6_10018
; %bb.10011:                            ;   in Loop: Header=BB6_7994 Depth=3
	v_mov_b32_e32 v9, 0
	s_mov_b32 s72, exec_lo
	v_cmpx_ne_u32_e32 0, v63
	s_cbranch_execz .LBB6_10017
; %bb.10012:                            ;   in Loop: Header=BB6_7994 Depth=3
	v_bfe_u32 v72, v63, 23, 8
	v_and_b32_e32 v9, 0x7fffff, v63
	v_cmp_gt_u32_e64 s16, 0x71, v72
	v_sub_nc_u32_e32 v73, 0x70, v72
	v_cmp_eq_u32_e32 vcc_lo, 0, v72
	v_or_b32_e32 v74, 0x800000, v9
	v_cndmask_b32_e64 v73, 0, v73, s16
	v_cndmask_b32_e32 v9, v74, v9, vcc_lo
	v_cndmask_b32_e64 v73, v73, 0x6f, vcc_lo
	v_lshl_add_u32 v74, 0x200000, v73, -1
	v_lshlrev_b32_e64 v75, v73, 0x100000
	v_and_b32_e32 v74, v74, v9
	v_cmp_eq_u32_e64 s16, v74, v75
	v_lshrrev_b32_e32 v74, v73, v9
	v_add_nc_u32_e32 v9, 0xffffff91, v72
	v_lshrrev_b32_e32 v72, 23, v74
	v_cndmask_b32_e64 v9, v9, 0xffffff92, vcc_lo
	v_xor_b32_e32 v72, 1, v72
	v_add_nc_u32_e32 v9, v73, v9
	v_bfe_u32 v73, v74, 21, 1
	v_add_nc_u32_e32 v73, -1, v73
	v_cndmask_b32_e64 v73, 0, v73, s16
	s_mov_b32 s16, exec_lo
	v_add_nc_u32_e32 v73, v73, v74
	v_and_b32_e32 v73, 0x1fffff, v73
	v_add_nc_u32_e32 v73, v73, v74
                                        ; implicit-def: $vgpr74
	v_cmpx_ne_u32_e64 v9, v72
	s_xor_b32 s16, exec_lo, s16
; %bb.10013:                            ;   in Loop: Header=BB6_7994 Depth=3
	v_cmp_lt_u32_e32 vcc_lo, 0xffffff, v73
	v_sub_nc_u32_e32 v9, v9, v72
	v_cndmask_b32_e64 v72, 0, 1, vcc_lo
	v_add_co_ci_u32_e64 v74, null, 0, v9, vcc_lo
	v_lshrrev_b32_e32 v73, v72, v73
; %bb.10014:                            ;   in Loop: Header=BB6_7994 Depth=3
	s_andn2_saveexec_b32 s16, s16
; %bb.10015:                            ;   in Loop: Header=BB6_7994 Depth=3
	v_bfe_u32 v74, v73, 23, 1
; %bb.10016:                            ;   in Loop: Header=BB6_7994 Depth=3
	s_or_b32 exec_lo, exec_lo, s16
	v_and_b32_sdwa v9, v63, v117 dst_sel:DWORD dst_unused:UNUSED_PAD src0_sel:BYTE_3 src1_sel:DWORD
	v_lshrrev_b32_e32 v63, 21, v73
	v_min_i32_e32 v72, 31, v74
	v_cmp_gt_i32_e32 vcc_lo, 32, v74
	v_lshlrev_b32_e32 v72, 2, v72
	v_cndmask_b32_e32 v63, 3, v63, vcc_lo
	v_and_b32_e32 v72, 0xfc, v72
	v_or_b32_e32 v73, v74, v63
	v_and_b32_e32 v63, 3, v63
	v_cmp_ne_u32_e32 vcc_lo, 0, v73
	v_or3_b32 v9, v9, v72, v63
	v_lshlrev_b32_e32 v9, 8, v9
	v_cndmask_b32_e32 v9, 0, v9, vcc_lo
.LBB6_10017:                            ;   in Loop: Header=BB6_7994 Depth=3
	s_or_b32 exec_lo, exec_lo, s72
.LBB6_10018:                            ;   in Loop: Header=BB6_7994 Depth=3
	s_or_b32 exec_lo, exec_lo, s23
	v_or_b32_e32 v72, v91, v52
	s_mov_b32 s23, 0
	v_cmp_gt_i16_sdwa s16, v72, v116 src0_sel:BYTE_0 src1_sel:DWORD
	s_and_saveexec_b32 s72, s16
	s_xor_b32 s16, exec_lo, s72
	s_cbranch_execz .LBB6_10528
; %bb.10019:                            ;   in Loop: Header=BB6_7994 Depth=3
	v_cmp_eq_u16_sdwa s73, v72, v117 src0_sel:BYTE_0 src1_sel:DWORD
	s_mov_b32 s23, -1
	s_and_saveexec_b32 s72, s73
; %bb.10020:                            ;   in Loop: Header=BB6_7994 Depth=3
	s_xor_b32 s23, exec_lo, -1
; %bb.10021:                            ;   in Loop: Header=BB6_7994 Depth=3
	s_or_b32 exec_lo, exec_lo, s72
	s_and_b32 s23, s23, exec_lo
	s_or_saveexec_b32 s16, s16
	v_mov_b32_e32 v52, 0x7f800001
	s_xor_b32 exec_lo, exec_lo, s16
	s_cbranch_execnz .LBB6_10529
.LBB6_10022:                            ;   in Loop: Header=BB6_7994 Depth=3
	s_or_b32 exec_lo, exec_lo, s16
	s_and_saveexec_b32 s16, s23
	s_cbranch_execz .LBB6_10024
.LBB6_10023:                            ;   in Loop: Header=BB6_7994 Depth=3
	v_and_b32_e32 v52, 3, v72
	v_bfe_u32 v63, v72, 2, 5
	v_ffbh_u32_e32 v73, v52
	v_cmp_eq_u32_e32 vcc_lo, 0, v63
	v_min_u32_e32 v73, 32, v73
	v_subrev_nc_u32_e32 v74, 29, v73
	v_sub_nc_u32_e32 v73, 30, v73
	v_lshlrev_b32_e32 v74, v74, v72
	v_cndmask_b32_e32 v63, v63, v73, vcc_lo
	v_lshlrev_b32_e32 v73, 24, v72
	v_and_b32_e32 v74, 3, v74
	v_lshl_add_u32 v63, v63, 23, 0x37800000
	v_and_b32_e32 v73, 0x80000000, v73
	v_cndmask_b32_e32 v52, v52, v74, vcc_lo
	v_lshlrev_b32_e32 v52, 21, v52
	v_or3_b32 v52, v73, v63, v52
.LBB6_10024:                            ;   in Loop: Header=BB6_7994 Depth=3
	s_or_b32 exec_lo, exec_lo, s16
	v_cmp_gt_i16_sdwa s16, v10, v116 src0_sel:BYTE_0 src1_sel:DWORD
	s_mov_b32 s23, 0
	s_and_saveexec_b32 s72, s16
	s_xor_b32 s16, exec_lo, s72
	s_cbranch_execz .LBB6_10530
; %bb.10025:                            ;   in Loop: Header=BB6_7994 Depth=3
	v_cmp_eq_u16_sdwa s73, v10, v117 src0_sel:BYTE_0 src1_sel:DWORD
	s_mov_b32 s23, -1
	s_and_saveexec_b32 s72, s73
; %bb.10026:                            ;   in Loop: Header=BB6_7994 Depth=3
	s_xor_b32 s23, exec_lo, -1
; %bb.10027:                            ;   in Loop: Header=BB6_7994 Depth=3
	s_or_b32 exec_lo, exec_lo, s72
	s_and_b32 s23, s23, exec_lo
	s_or_saveexec_b32 s16, s16
	v_mov_b32_e32 v63, 0x7f800001
	s_xor_b32 exec_lo, exec_lo, s16
	s_cbranch_execnz .LBB6_10531
.LBB6_10028:                            ;   in Loop: Header=BB6_7994 Depth=3
	s_or_b32 exec_lo, exec_lo, s16
	s_and_saveexec_b32 s16, s23
	s_cbranch_execz .LBB6_10030
.LBB6_10029:                            ;   in Loop: Header=BB6_7994 Depth=3
	v_and_b32_e32 v63, 3, v10
	v_bfe_u32 v73, v10, 2, 5
	v_ffbh_u32_e32 v74, v63
	v_cmp_eq_u32_e32 vcc_lo, 0, v73
	v_min_u32_e32 v74, 32, v74
	v_subrev_nc_u32_e32 v75, 29, v74
	v_sub_nc_u32_e32 v74, 30, v74
	v_lshlrev_b32_e32 v75, v75, v10
	v_cndmask_b32_e32 v73, v73, v74, vcc_lo
	v_lshlrev_b32_e32 v74, 24, v10
	v_and_b32_e32 v75, 3, v75
	v_lshl_add_u32 v73, v73, 23, 0x37800000
	v_and_b32_e32 v74, 0x80000000, v74
	v_cndmask_b32_e32 v63, v63, v75, vcc_lo
	v_lshlrev_b32_e32 v63, 21, v63
	v_or3_b32 v63, v74, v73, v63
.LBB6_10030:                            ;   in Loop: Header=BB6_7994 Depth=3
	s_or_b32 exec_lo, exec_lo, s16
	v_add_f32_e32 v63, v52, v63
	v_and_b32_e32 v52, 0x7f800000, v63
	v_cmp_ne_u32_e32 vcc_lo, 0x7f800000, v52
	v_mov_b32_e32 v52, 0x80
	s_and_saveexec_b32 s23, vcc_lo
	s_cbranch_execz .LBB6_10038
; %bb.10031:                            ;   in Loop: Header=BB6_7994 Depth=3
	v_mov_b32_e32 v52, 0
	s_mov_b32 s72, exec_lo
	v_cmpx_ne_u32_e32 0, v63
	s_cbranch_execz .LBB6_10037
; %bb.10032:                            ;   in Loop: Header=BB6_7994 Depth=3
	v_bfe_u32 v73, v63, 23, 8
	v_and_b32_e32 v52, 0x7fffff, v63
	v_cmp_gt_u32_e64 s16, 0x71, v73
	v_sub_nc_u32_e32 v74, 0x70, v73
	v_cmp_eq_u32_e32 vcc_lo, 0, v73
	v_or_b32_e32 v75, 0x800000, v52
	v_cndmask_b32_e64 v74, 0, v74, s16
	v_cndmask_b32_e32 v52, v75, v52, vcc_lo
	v_cndmask_b32_e64 v74, v74, 0x6f, vcc_lo
	v_lshl_add_u32 v75, 0x200000, v74, -1
	v_lshlrev_b32_e64 v77, v74, 0x100000
	v_and_b32_e32 v75, v75, v52
	v_cmp_eq_u32_e64 s16, v75, v77
	v_lshrrev_b32_e32 v75, v74, v52
	v_add_nc_u32_e32 v52, 0xffffff91, v73
	v_lshrrev_b32_e32 v73, 23, v75
	v_cndmask_b32_e64 v52, v52, 0xffffff92, vcc_lo
	v_xor_b32_e32 v73, 1, v73
	v_add_nc_u32_e32 v52, v74, v52
	v_bfe_u32 v74, v75, 21, 1
	v_add_nc_u32_e32 v74, -1, v74
	v_cndmask_b32_e64 v74, 0, v74, s16
	s_mov_b32 s16, exec_lo
	v_add_nc_u32_e32 v74, v74, v75
	v_and_b32_e32 v74, 0x1fffff, v74
	v_add_nc_u32_e32 v74, v74, v75
                                        ; implicit-def: $vgpr75
	v_cmpx_ne_u32_e64 v52, v73
	s_xor_b32 s16, exec_lo, s16
; %bb.10033:                            ;   in Loop: Header=BB6_7994 Depth=3
	v_cmp_lt_u32_e32 vcc_lo, 0xffffff, v74
	v_sub_nc_u32_e32 v52, v52, v73
	v_cndmask_b32_e64 v73, 0, 1, vcc_lo
	v_add_co_ci_u32_e64 v75, null, 0, v52, vcc_lo
	v_lshrrev_b32_e32 v74, v73, v74
; %bb.10034:                            ;   in Loop: Header=BB6_7994 Depth=3
	s_andn2_saveexec_b32 s16, s16
; %bb.10035:                            ;   in Loop: Header=BB6_7994 Depth=3
	v_bfe_u32 v75, v74, 23, 1
; %bb.10036:                            ;   in Loop: Header=BB6_7994 Depth=3
	s_or_b32 exec_lo, exec_lo, s16
	v_and_b32_sdwa v52, v63, v117 dst_sel:DWORD dst_unused:UNUSED_PAD src0_sel:BYTE_3 src1_sel:DWORD
	v_lshrrev_b32_e32 v63, 21, v74
	v_min_i32_e32 v73, 31, v75
	v_cmp_gt_i32_e32 vcc_lo, 32, v75
	v_lshlrev_b32_e32 v73, 2, v73
	v_cndmask_b32_e32 v63, 3, v63, vcc_lo
	v_and_b32_e32 v73, 0xfc, v73
	v_or_b32_e32 v74, v75, v63
	v_and_b32_e32 v63, 3, v63
	v_cmp_ne_u32_e32 vcc_lo, 0, v74
	v_or3_b32 v52, v73, v52, v63
	v_cndmask_b32_e32 v52, 0, v52, vcc_lo
.LBB6_10037:                            ;   in Loop: Header=BB6_7994 Depth=3
	s_or_b32 exec_lo, exec_lo, s72
.LBB6_10038:                            ;   in Loop: Header=BB6_7994 Depth=3
	s_or_b32 exec_lo, exec_lo, s23
	v_cmp_gt_i16_sdwa s23, v72, v116 src0_sel:BYTE_1 src1_sel:DWORD
	s_mov_b32 s16, 0
	s_and_saveexec_b32 s72, s23
	s_xor_b32 s23, exec_lo, s72
	s_cbranch_execz .LBB6_10532
; %bb.10039:                            ;   in Loop: Header=BB6_7994 Depth=3
	v_cmp_eq_u16_sdwa s73, v72, v117 src0_sel:BYTE_1 src1_sel:DWORD
	s_mov_b32 s16, -1
	s_and_saveexec_b32 s72, s73
; %bb.10040:                            ;   in Loop: Header=BB6_7994 Depth=3
	s_xor_b32 s16, exec_lo, -1
; %bb.10041:                            ;   in Loop: Header=BB6_7994 Depth=3
	s_or_b32 exec_lo, exec_lo, s72
	s_and_b32 s16, s16, exec_lo
	s_or_saveexec_b32 s23, s23
	v_mov_b32_e32 v63, 0x7f800001
	s_xor_b32 exec_lo, exec_lo, s23
	s_cbranch_execnz .LBB6_10533
.LBB6_10042:                            ;   in Loop: Header=BB6_7994 Depth=3
	s_or_b32 exec_lo, exec_lo, s23
	s_and_saveexec_b32 s23, s16
	s_cbranch_execz .LBB6_10044
.LBB6_10043:                            ;   in Loop: Header=BB6_7994 Depth=3
	v_and_b32_sdwa v63, v118, v72 dst_sel:DWORD dst_unused:UNUSED_PAD src0_sel:DWORD src1_sel:BYTE_1
	v_and_b32_e32 v73, 3, v63
	v_bfe_u32 v77, v63, 2, 5
	v_ffbh_u32_e32 v74, v73
	v_cmp_eq_u32_e32 vcc_lo, 0, v77
	v_min_u32_e32 v74, 32, v74
	v_subrev_nc_u32_e32 v75, 29, v74
	v_sub_nc_u32_e32 v74, 30, v74
	v_lshlrev_b32_e32 v63, v75, v63
	v_lshlrev_b32_sdwa v75, v119, v72 dst_sel:DWORD dst_unused:UNUSED_PAD src0_sel:DWORD src1_sel:BYTE_1
	v_cndmask_b32_e32 v74, v77, v74, vcc_lo
	v_and_b32_e32 v63, 3, v63
	v_lshl_add_u32 v74, v74, 23, 0x37800000
	v_cndmask_b32_e32 v63, v73, v63, vcc_lo
	v_and_b32_e32 v73, 0x80000000, v75
	v_lshlrev_b32_e32 v63, 21, v63
	v_or3_b32 v63, v73, v74, v63
.LBB6_10044:                            ;   in Loop: Header=BB6_7994 Depth=3
	s_or_b32 exec_lo, exec_lo, s23
	v_cmp_gt_i16_sdwa s23, v10, v116 src0_sel:BYTE_1 src1_sel:DWORD
	s_mov_b32 s16, 0
	s_and_saveexec_b32 s72, s23
	s_xor_b32 s23, exec_lo, s72
	s_cbranch_execz .LBB6_10534
; %bb.10045:                            ;   in Loop: Header=BB6_7994 Depth=3
	v_cmp_eq_u16_sdwa s73, v10, v117 src0_sel:BYTE_1 src1_sel:DWORD
	s_mov_b32 s16, -1
	s_and_saveexec_b32 s72, s73
; %bb.10046:                            ;   in Loop: Header=BB6_7994 Depth=3
	s_xor_b32 s16, exec_lo, -1
; %bb.10047:                            ;   in Loop: Header=BB6_7994 Depth=3
	s_or_b32 exec_lo, exec_lo, s72
	s_and_b32 s16, s16, exec_lo
	s_or_saveexec_b32 s23, s23
	v_mov_b32_e32 v73, 0x7f800001
	s_xor_b32 exec_lo, exec_lo, s23
	s_cbranch_execnz .LBB6_10535
.LBB6_10048:                            ;   in Loop: Header=BB6_7994 Depth=3
	s_or_b32 exec_lo, exec_lo, s23
	s_and_saveexec_b32 s23, s16
	s_cbranch_execz .LBB6_10050
.LBB6_10049:                            ;   in Loop: Header=BB6_7994 Depth=3
	v_and_b32_sdwa v73, v118, v10 dst_sel:DWORD dst_unused:UNUSED_PAD src0_sel:DWORD src1_sel:BYTE_1
	v_and_b32_e32 v74, 3, v73
	v_bfe_u32 v78, v73, 2, 5
	v_ffbh_u32_e32 v75, v74
	v_cmp_eq_u32_e32 vcc_lo, 0, v78
	v_min_u32_e32 v75, 32, v75
	v_subrev_nc_u32_e32 v77, 29, v75
	v_sub_nc_u32_e32 v75, 30, v75
	v_lshlrev_b32_e32 v73, v77, v73
	v_lshlrev_b32_sdwa v77, v119, v10 dst_sel:DWORD dst_unused:UNUSED_PAD src0_sel:DWORD src1_sel:BYTE_1
	v_cndmask_b32_e32 v75, v78, v75, vcc_lo
	v_and_b32_e32 v73, 3, v73
	v_lshl_add_u32 v75, v75, 23, 0x37800000
	v_cndmask_b32_e32 v73, v74, v73, vcc_lo
	v_and_b32_e32 v74, 0x80000000, v77
	v_lshlrev_b32_e32 v73, 21, v73
	v_or3_b32 v73, v74, v75, v73
.LBB6_10050:                            ;   in Loop: Header=BB6_7994 Depth=3
	s_or_b32 exec_lo, exec_lo, s23
	v_add_f32_e32 v73, v63, v73
	v_and_b32_e32 v63, 0x7f800000, v73
	v_cmp_ne_u32_e32 vcc_lo, 0x7f800000, v63
	v_mov_b32_e32 v63, 0x8000
	s_and_saveexec_b32 s23, vcc_lo
	s_cbranch_execz .LBB6_10058
; %bb.10051:                            ;   in Loop: Header=BB6_7994 Depth=3
	v_mov_b32_e32 v63, 0
	s_mov_b32 s72, exec_lo
	v_cmpx_ne_u32_e32 0, v73
	s_cbranch_execz .LBB6_10057
; %bb.10052:                            ;   in Loop: Header=BB6_7994 Depth=3
	v_bfe_u32 v74, v73, 23, 8
	v_and_b32_e32 v63, 0x7fffff, v73
	v_cmp_gt_u32_e64 s16, 0x71, v74
	v_sub_nc_u32_e32 v75, 0x70, v74
	v_cmp_eq_u32_e32 vcc_lo, 0, v74
	v_or_b32_e32 v77, 0x800000, v63
	v_cndmask_b32_e64 v75, 0, v75, s16
	v_cndmask_b32_e32 v63, v77, v63, vcc_lo
	v_cndmask_b32_e64 v75, v75, 0x6f, vcc_lo
	v_lshl_add_u32 v77, 0x200000, v75, -1
	v_lshlrev_b32_e64 v78, v75, 0x100000
	v_and_b32_e32 v77, v77, v63
	v_cmp_eq_u32_e64 s16, v77, v78
	v_lshrrev_b32_e32 v77, v75, v63
	v_add_nc_u32_e32 v63, 0xffffff91, v74
	v_lshrrev_b32_e32 v74, 23, v77
	v_cndmask_b32_e64 v63, v63, 0xffffff92, vcc_lo
	v_xor_b32_e32 v74, 1, v74
	v_add_nc_u32_e32 v63, v75, v63
	v_bfe_u32 v75, v77, 21, 1
	v_add_nc_u32_e32 v75, -1, v75
	v_cndmask_b32_e64 v75, 0, v75, s16
	s_mov_b32 s16, exec_lo
	v_add_nc_u32_e32 v75, v75, v77
	v_and_b32_e32 v75, 0x1fffff, v75
	v_add_nc_u32_e32 v75, v75, v77
                                        ; implicit-def: $vgpr77
	v_cmpx_ne_u32_e64 v63, v74
	s_xor_b32 s16, exec_lo, s16
; %bb.10053:                            ;   in Loop: Header=BB6_7994 Depth=3
	v_cmp_lt_u32_e32 vcc_lo, 0xffffff, v75
	v_sub_nc_u32_e32 v63, v63, v74
	v_cndmask_b32_e64 v74, 0, 1, vcc_lo
	v_add_co_ci_u32_e64 v77, null, 0, v63, vcc_lo
	v_lshrrev_b32_e32 v75, v74, v75
; %bb.10054:                            ;   in Loop: Header=BB6_7994 Depth=3
	s_andn2_saveexec_b32 s16, s16
; %bb.10055:                            ;   in Loop: Header=BB6_7994 Depth=3
	v_bfe_u32 v77, v75, 23, 1
; %bb.10056:                            ;   in Loop: Header=BB6_7994 Depth=3
	s_or_b32 exec_lo, exec_lo, s16
	v_and_b32_sdwa v63, v73, v117 dst_sel:DWORD dst_unused:UNUSED_PAD src0_sel:BYTE_3 src1_sel:DWORD
	v_lshrrev_b32_e32 v73, 21, v75
	v_min_i32_e32 v74, 31, v77
	v_cmp_gt_i32_e32 vcc_lo, 32, v77
	v_lshlrev_b32_e32 v74, 2, v74
	v_cndmask_b32_e32 v73, 3, v73, vcc_lo
	v_and_b32_e32 v74, 0xfc, v74
	v_or_b32_e32 v75, v77, v73
	v_and_b32_e32 v73, 3, v73
	v_cmp_ne_u32_e32 vcc_lo, 0, v75
	v_or3_b32 v63, v63, v74, v73
	v_lshlrev_b32_e32 v63, 8, v63
	v_cndmask_b32_e32 v63, 0, v63, vcc_lo
.LBB6_10057:                            ;   in Loop: Header=BB6_7994 Depth=3
	s_or_b32 exec_lo, exec_lo, s72
.LBB6_10058:                            ;   in Loop: Header=BB6_7994 Depth=3
	s_or_b32 exec_lo, exec_lo, s23
	v_or_b32_e32 v73, v89, v29
	s_mov_b32 s23, 0
	v_cmp_gt_i16_sdwa s16, v73, v116 src0_sel:BYTE_0 src1_sel:DWORD
	s_and_saveexec_b32 s72, s16
	s_xor_b32 s16, exec_lo, s72
	s_cbranch_execz .LBB6_10536
; %bb.10059:                            ;   in Loop: Header=BB6_7994 Depth=3
	v_cmp_eq_u16_sdwa s73, v73, v117 src0_sel:BYTE_0 src1_sel:DWORD
	s_mov_b32 s23, -1
	s_and_saveexec_b32 s72, s73
; %bb.10060:                            ;   in Loop: Header=BB6_7994 Depth=3
	s_xor_b32 s23, exec_lo, -1
; %bb.10061:                            ;   in Loop: Header=BB6_7994 Depth=3
	s_or_b32 exec_lo, exec_lo, s72
	s_and_b32 s23, s23, exec_lo
	s_or_saveexec_b32 s16, s16
	v_mov_b32_e32 v29, 0x7f800001
	s_xor_b32 exec_lo, exec_lo, s16
	s_cbranch_execnz .LBB6_10537
.LBB6_10062:                            ;   in Loop: Header=BB6_7994 Depth=3
	s_or_b32 exec_lo, exec_lo, s16
	v_lshl_or_b32 v72, v73, 16, v72
	s_and_saveexec_b32 s16, s23
	s_cbranch_execz .LBB6_10064
.LBB6_10063:                            ;   in Loop: Header=BB6_7994 Depth=3
	v_bfe_u32 v29, v72, 16, 2
	v_bfe_u32 v73, v72, 18, 5
	v_ffbh_u32_e32 v74, v29
	v_cmp_eq_u32_e32 vcc_lo, 0, v73
	v_min_u32_e32 v74, 32, v74
	v_subrev_nc_u32_e32 v75, 29, v74
	v_sub_nc_u32_e32 v74, 30, v74
	v_lshlrev_b32_sdwa v75, v75, v72 dst_sel:DWORD dst_unused:UNUSED_PAD src0_sel:DWORD src1_sel:WORD_1
	v_cndmask_b32_e32 v73, v73, v74, vcc_lo
	v_lshlrev_b32_e32 v74, 8, v72
	v_and_b32_e32 v75, 3, v75
	v_lshl_add_u32 v73, v73, 23, 0x37800000
	v_and_b32_e32 v74, 0x80000000, v74
	v_cndmask_b32_e32 v29, v29, v75, vcc_lo
	v_lshlrev_b32_e32 v29, 21, v29
	v_or3_b32 v29, v74, v73, v29
.LBB6_10064:                            ;   in Loop: Header=BB6_7994 Depth=3
	s_or_b32 exec_lo, exec_lo, s16
	v_and_b32_sdwa v74, v10, v40 dst_sel:DWORD dst_unused:UNUSED_PAD src0_sel:WORD_1 src1_sel:DWORD
	s_mov_b32 s23, 0
	s_mov_b32 s16, exec_lo
	v_cmpx_lt_i16_e32 0x7f, v74
	s_xor_b32 s16, exec_lo, s16
	s_cbranch_execz .LBB6_10538
; %bb.10065:                            ;   in Loop: Header=BB6_7994 Depth=3
	s_mov_b32 s23, -1
	s_mov_b32 s72, exec_lo
	v_cmpx_eq_u16_e32 0x80, v74
; %bb.10066:                            ;   in Loop: Header=BB6_7994 Depth=3
	s_xor_b32 s23, exec_lo, -1
; %bb.10067:                            ;   in Loop: Header=BB6_7994 Depth=3
	s_or_b32 exec_lo, exec_lo, s72
	s_and_b32 s23, s23, exec_lo
                                        ; implicit-def: $vgpr74
	s_or_saveexec_b32 s16, s16
	v_mov_b32_e32 v73, 0x7f800001
	s_xor_b32 exec_lo, exec_lo, s16
	s_cbranch_execnz .LBB6_10539
.LBB6_10068:                            ;   in Loop: Header=BB6_7994 Depth=3
	s_or_b32 exec_lo, exec_lo, s16
	s_and_saveexec_b32 s16, s23
	s_cbranch_execz .LBB6_10070
.LBB6_10069:                            ;   in Loop: Header=BB6_7994 Depth=3
	v_bfe_u32 v73, v10, 16, 2
	v_bfe_u32 v74, v10, 18, 5
	v_ffbh_u32_e32 v75, v73
	v_cmp_eq_u32_e32 vcc_lo, 0, v74
	v_min_u32_e32 v75, 32, v75
	v_subrev_nc_u32_e32 v77, 29, v75
	v_sub_nc_u32_e32 v75, 30, v75
	v_lshlrev_b32_sdwa v77, v77, v10 dst_sel:DWORD dst_unused:UNUSED_PAD src0_sel:DWORD src1_sel:WORD_1
	v_cndmask_b32_e32 v74, v74, v75, vcc_lo
	v_lshlrev_b32_e32 v75, 8, v10
	v_and_b32_e32 v77, 3, v77
	v_lshl_add_u32 v74, v74, 23, 0x37800000
	v_and_b32_e32 v75, 0x80000000, v75
	v_cndmask_b32_e32 v73, v73, v77, vcc_lo
	v_lshlrev_b32_e32 v73, 21, v73
	v_or3_b32 v73, v75, v74, v73
.LBB6_10070:                            ;   in Loop: Header=BB6_7994 Depth=3
	s_or_b32 exec_lo, exec_lo, s16
	v_add_f32_e32 v73, v29, v73
	v_and_b32_e32 v29, 0x7f800000, v73
	v_cmp_ne_u32_e32 vcc_lo, 0x7f800000, v29
	v_mov_b32_e32 v29, 0x80
	s_and_saveexec_b32 s23, vcc_lo
	s_cbranch_execz .LBB6_10078
; %bb.10071:                            ;   in Loop: Header=BB6_7994 Depth=3
	v_mov_b32_e32 v29, 0
	s_mov_b32 s72, exec_lo
	v_cmpx_ne_u32_e32 0, v73
	s_cbranch_execz .LBB6_10077
; %bb.10072:                            ;   in Loop: Header=BB6_7994 Depth=3
	v_bfe_u32 v74, v73, 23, 8
	v_and_b32_e32 v29, 0x7fffff, v73
	v_cmp_gt_u32_e64 s16, 0x71, v74
	v_sub_nc_u32_e32 v75, 0x70, v74
	v_cmp_eq_u32_e32 vcc_lo, 0, v74
	v_or_b32_e32 v77, 0x800000, v29
	v_cndmask_b32_e64 v75, 0, v75, s16
	v_cndmask_b32_e32 v29, v77, v29, vcc_lo
	v_cndmask_b32_e64 v75, v75, 0x6f, vcc_lo
	v_lshl_add_u32 v77, 0x200000, v75, -1
	v_lshlrev_b32_e64 v78, v75, 0x100000
	v_and_b32_e32 v77, v77, v29
	v_cmp_eq_u32_e64 s16, v77, v78
	v_lshrrev_b32_e32 v77, v75, v29
	v_add_nc_u32_e32 v29, 0xffffff91, v74
	v_lshrrev_b32_e32 v74, 23, v77
	v_cndmask_b32_e64 v29, v29, 0xffffff92, vcc_lo
	v_xor_b32_e32 v74, 1, v74
	v_add_nc_u32_e32 v29, v75, v29
	v_bfe_u32 v75, v77, 21, 1
	v_add_nc_u32_e32 v75, -1, v75
	v_cndmask_b32_e64 v75, 0, v75, s16
	s_mov_b32 s16, exec_lo
	v_add_nc_u32_e32 v75, v75, v77
	v_and_b32_e32 v75, 0x1fffff, v75
	v_add_nc_u32_e32 v75, v75, v77
                                        ; implicit-def: $vgpr77
	v_cmpx_ne_u32_e64 v29, v74
	s_xor_b32 s16, exec_lo, s16
; %bb.10073:                            ;   in Loop: Header=BB6_7994 Depth=3
	v_cmp_lt_u32_e32 vcc_lo, 0xffffff, v75
	v_sub_nc_u32_e32 v29, v29, v74
	v_cndmask_b32_e64 v74, 0, 1, vcc_lo
	v_add_co_ci_u32_e64 v77, null, 0, v29, vcc_lo
	v_lshrrev_b32_e32 v75, v74, v75
; %bb.10074:                            ;   in Loop: Header=BB6_7994 Depth=3
	s_andn2_saveexec_b32 s16, s16
; %bb.10075:                            ;   in Loop: Header=BB6_7994 Depth=3
	v_bfe_u32 v77, v75, 23, 1
; %bb.10076:                            ;   in Loop: Header=BB6_7994 Depth=3
	s_or_b32 exec_lo, exec_lo, s16
	v_and_b32_sdwa v29, v73, v117 dst_sel:DWORD dst_unused:UNUSED_PAD src0_sel:BYTE_3 src1_sel:DWORD
	v_lshrrev_b32_e32 v73, 21, v75
	v_min_i32_e32 v74, 31, v77
	v_cmp_gt_i32_e32 vcc_lo, 32, v77
	v_lshlrev_b32_e32 v74, 2, v74
	v_cndmask_b32_e32 v73, 3, v73, vcc_lo
	v_and_b32_e32 v74, 0xfc, v74
	v_or_b32_e32 v75, v77, v73
	v_and_b32_e32 v73, 3, v73
	v_cmp_ne_u32_e32 vcc_lo, 0, v75
	v_or3_b32 v29, v74, v29, v73
	v_cndmask_b32_e32 v29, 0, v29, vcc_lo
.LBB6_10077:                            ;   in Loop: Header=BB6_7994 Depth=3
	s_or_b32 exec_lo, exec_lo, s72
.LBB6_10078:                            ;   in Loop: Header=BB6_7994 Depth=3
	s_or_b32 exec_lo, exec_lo, s23
	v_cmp_gt_i16_sdwa s23, v72, v116 src0_sel:BYTE_3 src1_sel:DWORD
	s_mov_b32 s16, 0
	s_and_saveexec_b32 s72, s23
	s_xor_b32 s23, exec_lo, s72
	s_cbranch_execz .LBB6_10540
; %bb.10079:                            ;   in Loop: Header=BB6_7994 Depth=3
	v_cmp_eq_u16_sdwa s73, v72, v117 src0_sel:BYTE_3 src1_sel:DWORD
	s_mov_b32 s16, -1
	s_and_saveexec_b32 s72, s73
; %bb.10080:                            ;   in Loop: Header=BB6_7994 Depth=3
	s_xor_b32 s16, exec_lo, -1
; %bb.10081:                            ;   in Loop: Header=BB6_7994 Depth=3
	s_or_b32 exec_lo, exec_lo, s72
	s_and_b32 s16, s16, exec_lo
	s_or_saveexec_b32 s23, s23
	v_mov_b32_e32 v73, 0x7f800001
	s_xor_b32 exec_lo, exec_lo, s23
	s_cbranch_execnz .LBB6_10541
.LBB6_10082:                            ;   in Loop: Header=BB6_7994 Depth=3
	s_or_b32 exec_lo, exec_lo, s23
	s_and_saveexec_b32 s23, s16
	s_cbranch_execz .LBB6_10084
.LBB6_10083:                            ;   in Loop: Header=BB6_7994 Depth=3
	v_bfe_u32 v73, v72, 24, 2
	v_bfe_u32 v77, v72, 26, 5
	v_ffbh_u32_e32 v74, v73
	v_cmp_eq_u32_e32 vcc_lo, 0, v77
	v_min_u32_e32 v74, 32, v74
	v_subrev_nc_u32_e32 v75, 29, v74
	v_sub_nc_u32_e32 v74, 30, v74
	v_lshlrev_b32_sdwa v75, v75, v72 dst_sel:DWORD dst_unused:UNUSED_PAD src0_sel:DWORD src1_sel:BYTE_3
	v_cndmask_b32_e32 v74, v77, v74, vcc_lo
	v_and_b32_e32 v72, 0x80000000, v72
	v_and_b32_e32 v75, 3, v75
	v_lshl_add_u32 v74, v74, 23, 0x37800000
	v_cndmask_b32_e32 v73, v73, v75, vcc_lo
	v_lshlrev_b32_e32 v73, 21, v73
	v_or3_b32 v73, v72, v74, v73
.LBB6_10084:                            ;   in Loop: Header=BB6_7994 Depth=3
	s_or_b32 exec_lo, exec_lo, s23
	v_cmp_gt_i16_sdwa s23, v10, v116 src0_sel:BYTE_3 src1_sel:DWORD
	s_mov_b32 s16, 0
	s_and_saveexec_b32 s72, s23
	s_xor_b32 s23, exec_lo, s72
	s_cbranch_execz .LBB6_10542
; %bb.10085:                            ;   in Loop: Header=BB6_7994 Depth=3
	v_cmp_eq_u16_sdwa s73, v10, v117 src0_sel:BYTE_3 src1_sel:DWORD
	s_mov_b32 s16, -1
	s_and_saveexec_b32 s72, s73
; %bb.10086:                            ;   in Loop: Header=BB6_7994 Depth=3
	s_xor_b32 s16, exec_lo, -1
; %bb.10087:                            ;   in Loop: Header=BB6_7994 Depth=3
	s_or_b32 exec_lo, exec_lo, s72
	s_and_b32 s16, s16, exec_lo
	s_or_saveexec_b32 s23, s23
	v_mov_b32_e32 v72, 0x7f800001
	s_xor_b32 exec_lo, exec_lo, s23
	s_cbranch_execnz .LBB6_10543
.LBB6_10088:                            ;   in Loop: Header=BB6_7994 Depth=3
	s_or_b32 exec_lo, exec_lo, s23
	s_and_saveexec_b32 s23, s16
	s_cbranch_execz .LBB6_10090
.LBB6_10089:                            ;   in Loop: Header=BB6_7994 Depth=3
	v_bfe_u32 v72, v10, 24, 2
	v_bfe_u32 v77, v10, 26, 5
	v_ffbh_u32_e32 v74, v72
	v_cmp_eq_u32_e32 vcc_lo, 0, v77
	v_min_u32_e32 v74, 32, v74
	v_subrev_nc_u32_e32 v75, 29, v74
	v_sub_nc_u32_e32 v74, 30, v74
	v_lshlrev_b32_sdwa v75, v75, v10 dst_sel:DWORD dst_unused:UNUSED_PAD src0_sel:DWORD src1_sel:BYTE_3
	v_cndmask_b32_e32 v74, v77, v74, vcc_lo
	v_and_b32_e32 v10, 0x80000000, v10
	v_and_b32_e32 v75, 3, v75
	v_lshl_add_u32 v74, v74, 23, 0x37800000
	v_cndmask_b32_e32 v72, v72, v75, vcc_lo
	v_lshlrev_b32_e32 v72, 21, v72
	v_or3_b32 v72, v10, v74, v72
.LBB6_10090:                            ;   in Loop: Header=BB6_7994 Depth=3
	s_or_b32 exec_lo, exec_lo, s23
	v_add_f32_e32 v72, v73, v72
	v_and_b32_e32 v10, 0x7f800000, v72
	v_cmp_ne_u32_e32 vcc_lo, 0x7f800000, v10
	v_mov_b32_e32 v10, 0x8000
	s_and_saveexec_b32 s23, vcc_lo
	s_cbranch_execz .LBB6_10098
; %bb.10091:                            ;   in Loop: Header=BB6_7994 Depth=3
	v_mov_b32_e32 v10, 0
	s_mov_b32 s72, exec_lo
	v_cmpx_ne_u32_e32 0, v72
	s_cbranch_execz .LBB6_10097
; %bb.10092:                            ;   in Loop: Header=BB6_7994 Depth=3
	v_bfe_u32 v73, v72, 23, 8
	v_and_b32_e32 v10, 0x7fffff, v72
	v_cmp_gt_u32_e64 s16, 0x71, v73
	v_sub_nc_u32_e32 v74, 0x70, v73
	v_cmp_eq_u32_e32 vcc_lo, 0, v73
	v_or_b32_e32 v75, 0x800000, v10
	v_cndmask_b32_e64 v74, 0, v74, s16
	v_cndmask_b32_e32 v10, v75, v10, vcc_lo
	v_cndmask_b32_e64 v74, v74, 0x6f, vcc_lo
	v_lshl_add_u32 v75, 0x200000, v74, -1
	v_lshlrev_b32_e64 v77, v74, 0x100000
	v_and_b32_e32 v75, v75, v10
	v_cmp_eq_u32_e64 s16, v75, v77
	v_lshrrev_b32_e32 v75, v74, v10
	v_add_nc_u32_e32 v10, 0xffffff91, v73
	v_lshrrev_b32_e32 v73, 23, v75
	v_cndmask_b32_e64 v10, v10, 0xffffff92, vcc_lo
	v_xor_b32_e32 v73, 1, v73
	v_add_nc_u32_e32 v10, v74, v10
	v_bfe_u32 v74, v75, 21, 1
	v_add_nc_u32_e32 v74, -1, v74
	v_cndmask_b32_e64 v74, 0, v74, s16
	s_mov_b32 s16, exec_lo
	v_add_nc_u32_e32 v74, v74, v75
	v_and_b32_e32 v74, 0x1fffff, v74
	v_add_nc_u32_e32 v74, v74, v75
                                        ; implicit-def: $vgpr75
	v_cmpx_ne_u32_e64 v10, v73
	s_xor_b32 s16, exec_lo, s16
; %bb.10093:                            ;   in Loop: Header=BB6_7994 Depth=3
	v_cmp_lt_u32_e32 vcc_lo, 0xffffff, v74
	v_sub_nc_u32_e32 v10, v10, v73
	v_cndmask_b32_e64 v73, 0, 1, vcc_lo
	v_add_co_ci_u32_e64 v75, null, 0, v10, vcc_lo
	v_lshrrev_b32_e32 v74, v73, v74
; %bb.10094:                            ;   in Loop: Header=BB6_7994 Depth=3
	s_andn2_saveexec_b32 s16, s16
; %bb.10095:                            ;   in Loop: Header=BB6_7994 Depth=3
	v_bfe_u32 v75, v74, 23, 1
; %bb.10096:                            ;   in Loop: Header=BB6_7994 Depth=3
	s_or_b32 exec_lo, exec_lo, s16
	v_and_b32_sdwa v10, v72, v117 dst_sel:DWORD dst_unused:UNUSED_PAD src0_sel:BYTE_3 src1_sel:DWORD
	v_lshrrev_b32_e32 v72, 21, v74
	v_min_i32_e32 v73, 31, v75
	v_cmp_gt_i32_e32 vcc_lo, 32, v75
	v_lshlrev_b32_e32 v73, 2, v73
	v_cndmask_b32_e32 v72, 3, v72, vcc_lo
	v_and_b32_e32 v73, 0xfc, v73
	v_or_b32_e32 v74, v75, v72
	v_and_b32_e32 v72, 3, v72
	v_cmp_ne_u32_e32 vcc_lo, 0, v74
	v_or3_b32 v10, v10, v73, v72
	v_lshlrev_b32_e32 v10, 8, v10
	v_cndmask_b32_e32 v10, 0, v10, vcc_lo
.LBB6_10097:                            ;   in Loop: Header=BB6_7994 Depth=3
	s_or_b32 exec_lo, exec_lo, s72
.LBB6_10098:                            ;   in Loop: Header=BB6_7994 Depth=3
	s_or_b32 exec_lo, exec_lo, s23
	v_or_b32_e32 v72, v30, v26
	s_mov_b32 s23, 0
	v_cmp_gt_i16_sdwa s16, v72, v116 src0_sel:BYTE_0 src1_sel:DWORD
	s_and_saveexec_b32 s72, s16
	s_xor_b32 s16, exec_lo, s72
	s_cbranch_execz .LBB6_10544
; %bb.10099:                            ;   in Loop: Header=BB6_7994 Depth=3
	v_cmp_eq_u16_sdwa s73, v72, v117 src0_sel:BYTE_0 src1_sel:DWORD
	s_mov_b32 s23, -1
	s_and_saveexec_b32 s72, s73
; %bb.10100:                            ;   in Loop: Header=BB6_7994 Depth=3
	s_xor_b32 s23, exec_lo, -1
; %bb.10101:                            ;   in Loop: Header=BB6_7994 Depth=3
	s_or_b32 exec_lo, exec_lo, s72
	s_and_b32 s23, s23, exec_lo
	s_or_saveexec_b32 s16, s16
	v_mov_b32_e32 v26, 0x7f800001
	s_xor_b32 exec_lo, exec_lo, s16
	s_cbranch_execnz .LBB6_10545
.LBB6_10102:                            ;   in Loop: Header=BB6_7994 Depth=3
	s_or_b32 exec_lo, exec_lo, s16
	s_and_saveexec_b32 s16, s23
	s_cbranch_execz .LBB6_10104
.LBB6_10103:                            ;   in Loop: Header=BB6_7994 Depth=3
	v_and_b32_e32 v26, 3, v72
	v_bfe_u32 v30, v72, 2, 5
	v_ffbh_u32_e32 v73, v26
	v_cmp_eq_u32_e32 vcc_lo, 0, v30
	v_min_u32_e32 v73, 32, v73
	v_subrev_nc_u32_e32 v74, 29, v73
	v_sub_nc_u32_e32 v73, 30, v73
	v_lshlrev_b32_e32 v74, v74, v72
	v_cndmask_b32_e32 v30, v30, v73, vcc_lo
	v_lshlrev_b32_e32 v73, 24, v72
	v_and_b32_e32 v74, 3, v74
	v_lshl_add_u32 v30, v30, 23, 0x37800000
	v_and_b32_e32 v73, 0x80000000, v73
	v_cndmask_b32_e32 v26, v26, v74, vcc_lo
	v_lshlrev_b32_e32 v26, 21, v26
	v_or3_b32 v26, v73, v30, v26
.LBB6_10104:                            ;   in Loop: Header=BB6_7994 Depth=3
	s_or_b32 exec_lo, exec_lo, s16
	v_cmp_gt_i16_sdwa s16, v11, v116 src0_sel:BYTE_0 src1_sel:DWORD
	s_mov_b32 s23, 0
	s_and_saveexec_b32 s72, s16
	s_xor_b32 s16, exec_lo, s72
	s_cbranch_execz .LBB6_10546
; %bb.10105:                            ;   in Loop: Header=BB6_7994 Depth=3
	v_cmp_eq_u16_sdwa s73, v11, v117 src0_sel:BYTE_0 src1_sel:DWORD
	s_mov_b32 s23, -1
	s_and_saveexec_b32 s72, s73
; %bb.10106:                            ;   in Loop: Header=BB6_7994 Depth=3
	s_xor_b32 s23, exec_lo, -1
; %bb.10107:                            ;   in Loop: Header=BB6_7994 Depth=3
	s_or_b32 exec_lo, exec_lo, s72
	s_and_b32 s23, s23, exec_lo
	s_or_saveexec_b32 s16, s16
	v_mov_b32_e32 v30, 0x7f800001
	s_xor_b32 exec_lo, exec_lo, s16
	s_cbranch_execnz .LBB6_10547
.LBB6_10108:                            ;   in Loop: Header=BB6_7994 Depth=3
	s_or_b32 exec_lo, exec_lo, s16
	s_and_saveexec_b32 s16, s23
	s_cbranch_execz .LBB6_10110
.LBB6_10109:                            ;   in Loop: Header=BB6_7994 Depth=3
	v_and_b32_e32 v30, 3, v11
	v_bfe_u32 v73, v11, 2, 5
	v_ffbh_u32_e32 v74, v30
	v_cmp_eq_u32_e32 vcc_lo, 0, v73
	v_min_u32_e32 v74, 32, v74
	v_subrev_nc_u32_e32 v75, 29, v74
	v_sub_nc_u32_e32 v74, 30, v74
	v_lshlrev_b32_e32 v75, v75, v11
	v_cndmask_b32_e32 v73, v73, v74, vcc_lo
	v_lshlrev_b32_e32 v74, 24, v11
	v_and_b32_e32 v75, 3, v75
	v_lshl_add_u32 v73, v73, 23, 0x37800000
	v_and_b32_e32 v74, 0x80000000, v74
	v_cndmask_b32_e32 v30, v30, v75, vcc_lo
	v_lshlrev_b32_e32 v30, 21, v30
	v_or3_b32 v30, v74, v73, v30
.LBB6_10110:                            ;   in Loop: Header=BB6_7994 Depth=3
	s_or_b32 exec_lo, exec_lo, s16
	v_add_f32_e32 v30, v26, v30
	v_and_b32_e32 v26, 0x7f800000, v30
	v_cmp_ne_u32_e32 vcc_lo, 0x7f800000, v26
	v_mov_b32_e32 v26, 0x80
	s_and_saveexec_b32 s23, vcc_lo
	s_cbranch_execz .LBB6_10118
; %bb.10111:                            ;   in Loop: Header=BB6_7994 Depth=3
	v_mov_b32_e32 v26, 0
	s_mov_b32 s72, exec_lo
	v_cmpx_ne_u32_e32 0, v30
	s_cbranch_execz .LBB6_10117
; %bb.10112:                            ;   in Loop: Header=BB6_7994 Depth=3
	v_bfe_u32 v73, v30, 23, 8
	v_and_b32_e32 v26, 0x7fffff, v30
	v_cmp_gt_u32_e64 s16, 0x71, v73
	v_sub_nc_u32_e32 v74, 0x70, v73
	v_cmp_eq_u32_e32 vcc_lo, 0, v73
	v_or_b32_e32 v75, 0x800000, v26
	v_cndmask_b32_e64 v74, 0, v74, s16
	v_cndmask_b32_e32 v26, v75, v26, vcc_lo
	v_cndmask_b32_e64 v74, v74, 0x6f, vcc_lo
	v_lshl_add_u32 v75, 0x200000, v74, -1
	v_lshlrev_b32_e64 v77, v74, 0x100000
	v_and_b32_e32 v75, v75, v26
	v_cmp_eq_u32_e64 s16, v75, v77
	v_lshrrev_b32_e32 v75, v74, v26
	v_add_nc_u32_e32 v26, 0xffffff91, v73
	v_lshrrev_b32_e32 v73, 23, v75
	v_cndmask_b32_e64 v26, v26, 0xffffff92, vcc_lo
	v_xor_b32_e32 v73, 1, v73
	v_add_nc_u32_e32 v26, v74, v26
	v_bfe_u32 v74, v75, 21, 1
	v_add_nc_u32_e32 v74, -1, v74
	v_cndmask_b32_e64 v74, 0, v74, s16
	s_mov_b32 s16, exec_lo
	v_add_nc_u32_e32 v74, v74, v75
	v_and_b32_e32 v74, 0x1fffff, v74
	v_add_nc_u32_e32 v74, v74, v75
                                        ; implicit-def: $vgpr75
	v_cmpx_ne_u32_e64 v26, v73
	s_xor_b32 s16, exec_lo, s16
; %bb.10113:                            ;   in Loop: Header=BB6_7994 Depth=3
	v_cmp_lt_u32_e32 vcc_lo, 0xffffff, v74
	v_sub_nc_u32_e32 v26, v26, v73
	v_cndmask_b32_e64 v73, 0, 1, vcc_lo
	v_add_co_ci_u32_e64 v75, null, 0, v26, vcc_lo
	v_lshrrev_b32_e32 v74, v73, v74
; %bb.10114:                            ;   in Loop: Header=BB6_7994 Depth=3
	s_andn2_saveexec_b32 s16, s16
; %bb.10115:                            ;   in Loop: Header=BB6_7994 Depth=3
	v_bfe_u32 v75, v74, 23, 1
; %bb.10116:                            ;   in Loop: Header=BB6_7994 Depth=3
	s_or_b32 exec_lo, exec_lo, s16
	v_and_b32_sdwa v26, v30, v117 dst_sel:DWORD dst_unused:UNUSED_PAD src0_sel:BYTE_3 src1_sel:DWORD
	v_lshrrev_b32_e32 v30, 21, v74
	v_min_i32_e32 v73, 31, v75
	v_cmp_gt_i32_e32 vcc_lo, 32, v75
	v_lshlrev_b32_e32 v73, 2, v73
	v_cndmask_b32_e32 v30, 3, v30, vcc_lo
	v_and_b32_e32 v73, 0xfc, v73
	v_or_b32_e32 v74, v75, v30
	v_and_b32_e32 v30, 3, v30
	v_cmp_ne_u32_e32 vcc_lo, 0, v74
	v_or3_b32 v26, v73, v26, v30
	v_cndmask_b32_e32 v26, 0, v26, vcc_lo
.LBB6_10117:                            ;   in Loop: Header=BB6_7994 Depth=3
	s_or_b32 exec_lo, exec_lo, s72
.LBB6_10118:                            ;   in Loop: Header=BB6_7994 Depth=3
	s_or_b32 exec_lo, exec_lo, s23
	v_cmp_gt_i16_sdwa s23, v72, v116 src0_sel:BYTE_1 src1_sel:DWORD
	s_mov_b32 s16, 0
	s_and_saveexec_b32 s72, s23
	s_xor_b32 s23, exec_lo, s72
	s_cbranch_execz .LBB6_10548
; %bb.10119:                            ;   in Loop: Header=BB6_7994 Depth=3
	v_cmp_eq_u16_sdwa s73, v72, v117 src0_sel:BYTE_1 src1_sel:DWORD
	s_mov_b32 s16, -1
	s_and_saveexec_b32 s72, s73
; %bb.10120:                            ;   in Loop: Header=BB6_7994 Depth=3
	s_xor_b32 s16, exec_lo, -1
; %bb.10121:                            ;   in Loop: Header=BB6_7994 Depth=3
	s_or_b32 exec_lo, exec_lo, s72
	s_and_b32 s16, s16, exec_lo
	s_or_saveexec_b32 s23, s23
	v_mov_b32_e32 v30, 0x7f800001
	s_xor_b32 exec_lo, exec_lo, s23
	s_cbranch_execnz .LBB6_10549
.LBB6_10122:                            ;   in Loop: Header=BB6_7994 Depth=3
	s_or_b32 exec_lo, exec_lo, s23
	s_and_saveexec_b32 s23, s16
	s_cbranch_execz .LBB6_10124
.LBB6_10123:                            ;   in Loop: Header=BB6_7994 Depth=3
	v_and_b32_sdwa v30, v118, v72 dst_sel:DWORD dst_unused:UNUSED_PAD src0_sel:DWORD src1_sel:BYTE_1
	v_and_b32_e32 v73, 3, v30
	v_bfe_u32 v77, v30, 2, 5
	v_ffbh_u32_e32 v74, v73
	v_cmp_eq_u32_e32 vcc_lo, 0, v77
	v_min_u32_e32 v74, 32, v74
	v_subrev_nc_u32_e32 v75, 29, v74
	v_sub_nc_u32_e32 v74, 30, v74
	v_lshlrev_b32_e32 v30, v75, v30
	v_lshlrev_b32_sdwa v75, v119, v72 dst_sel:DWORD dst_unused:UNUSED_PAD src0_sel:DWORD src1_sel:BYTE_1
	v_cndmask_b32_e32 v74, v77, v74, vcc_lo
	v_and_b32_e32 v30, 3, v30
	v_lshl_add_u32 v74, v74, 23, 0x37800000
	v_cndmask_b32_e32 v30, v73, v30, vcc_lo
	v_and_b32_e32 v73, 0x80000000, v75
	v_lshlrev_b32_e32 v30, 21, v30
	v_or3_b32 v30, v73, v74, v30
.LBB6_10124:                            ;   in Loop: Header=BB6_7994 Depth=3
	s_or_b32 exec_lo, exec_lo, s23
	v_cmp_gt_i16_sdwa s23, v11, v116 src0_sel:BYTE_1 src1_sel:DWORD
	s_mov_b32 s16, 0
	s_and_saveexec_b32 s72, s23
	s_xor_b32 s23, exec_lo, s72
	s_cbranch_execz .LBB6_10550
; %bb.10125:                            ;   in Loop: Header=BB6_7994 Depth=3
	v_cmp_eq_u16_sdwa s73, v11, v117 src0_sel:BYTE_1 src1_sel:DWORD
	s_mov_b32 s16, -1
	s_and_saveexec_b32 s72, s73
; %bb.10126:                            ;   in Loop: Header=BB6_7994 Depth=3
	s_xor_b32 s16, exec_lo, -1
; %bb.10127:                            ;   in Loop: Header=BB6_7994 Depth=3
	s_or_b32 exec_lo, exec_lo, s72
	s_and_b32 s16, s16, exec_lo
	s_or_saveexec_b32 s23, s23
	v_mov_b32_e32 v73, 0x7f800001
	s_xor_b32 exec_lo, exec_lo, s23
	s_cbranch_execnz .LBB6_10551
.LBB6_10128:                            ;   in Loop: Header=BB6_7994 Depth=3
	s_or_b32 exec_lo, exec_lo, s23
	s_and_saveexec_b32 s23, s16
	s_cbranch_execz .LBB6_10130
.LBB6_10129:                            ;   in Loop: Header=BB6_7994 Depth=3
	v_and_b32_sdwa v73, v118, v11 dst_sel:DWORD dst_unused:UNUSED_PAD src0_sel:DWORD src1_sel:BYTE_1
	v_and_b32_e32 v74, 3, v73
	v_bfe_u32 v78, v73, 2, 5
	v_ffbh_u32_e32 v75, v74
	v_cmp_eq_u32_e32 vcc_lo, 0, v78
	v_min_u32_e32 v75, 32, v75
	v_subrev_nc_u32_e32 v77, 29, v75
	v_sub_nc_u32_e32 v75, 30, v75
	v_lshlrev_b32_e32 v73, v77, v73
	v_lshlrev_b32_sdwa v77, v119, v11 dst_sel:DWORD dst_unused:UNUSED_PAD src0_sel:DWORD src1_sel:BYTE_1
	v_cndmask_b32_e32 v75, v78, v75, vcc_lo
	v_and_b32_e32 v73, 3, v73
	v_lshl_add_u32 v75, v75, 23, 0x37800000
	v_cndmask_b32_e32 v73, v74, v73, vcc_lo
	v_and_b32_e32 v74, 0x80000000, v77
	v_lshlrev_b32_e32 v73, 21, v73
	v_or3_b32 v73, v74, v75, v73
.LBB6_10130:                            ;   in Loop: Header=BB6_7994 Depth=3
	s_or_b32 exec_lo, exec_lo, s23
	v_add_f32_e32 v73, v30, v73
	v_and_b32_e32 v30, 0x7f800000, v73
	v_cmp_ne_u32_e32 vcc_lo, 0x7f800000, v30
	v_mov_b32_e32 v30, 0x8000
	s_and_saveexec_b32 s23, vcc_lo
	s_cbranch_execz .LBB6_10138
; %bb.10131:                            ;   in Loop: Header=BB6_7994 Depth=3
	v_mov_b32_e32 v30, 0
	s_mov_b32 s72, exec_lo
	v_cmpx_ne_u32_e32 0, v73
	s_cbranch_execz .LBB6_10137
; %bb.10132:                            ;   in Loop: Header=BB6_7994 Depth=3
	v_bfe_u32 v74, v73, 23, 8
	v_and_b32_e32 v30, 0x7fffff, v73
	v_cmp_gt_u32_e64 s16, 0x71, v74
	v_sub_nc_u32_e32 v75, 0x70, v74
	v_cmp_eq_u32_e32 vcc_lo, 0, v74
	v_or_b32_e32 v77, 0x800000, v30
	v_cndmask_b32_e64 v75, 0, v75, s16
	v_cndmask_b32_e32 v30, v77, v30, vcc_lo
	v_cndmask_b32_e64 v75, v75, 0x6f, vcc_lo
	v_lshl_add_u32 v77, 0x200000, v75, -1
	v_lshlrev_b32_e64 v78, v75, 0x100000
	v_and_b32_e32 v77, v77, v30
	v_cmp_eq_u32_e64 s16, v77, v78
	v_lshrrev_b32_e32 v77, v75, v30
	v_add_nc_u32_e32 v30, 0xffffff91, v74
	v_lshrrev_b32_e32 v74, 23, v77
	v_cndmask_b32_e64 v30, v30, 0xffffff92, vcc_lo
	v_xor_b32_e32 v74, 1, v74
	v_add_nc_u32_e32 v30, v75, v30
	v_bfe_u32 v75, v77, 21, 1
	v_add_nc_u32_e32 v75, -1, v75
	v_cndmask_b32_e64 v75, 0, v75, s16
	s_mov_b32 s16, exec_lo
	v_add_nc_u32_e32 v75, v75, v77
	v_and_b32_e32 v75, 0x1fffff, v75
	v_add_nc_u32_e32 v75, v75, v77
                                        ; implicit-def: $vgpr77
	v_cmpx_ne_u32_e64 v30, v74
	s_xor_b32 s16, exec_lo, s16
; %bb.10133:                            ;   in Loop: Header=BB6_7994 Depth=3
	v_cmp_lt_u32_e32 vcc_lo, 0xffffff, v75
	v_sub_nc_u32_e32 v30, v30, v74
	v_cndmask_b32_e64 v74, 0, 1, vcc_lo
	v_add_co_ci_u32_e64 v77, null, 0, v30, vcc_lo
	v_lshrrev_b32_e32 v75, v74, v75
; %bb.10134:                            ;   in Loop: Header=BB6_7994 Depth=3
	s_andn2_saveexec_b32 s16, s16
; %bb.10135:                            ;   in Loop: Header=BB6_7994 Depth=3
	v_bfe_u32 v77, v75, 23, 1
; %bb.10136:                            ;   in Loop: Header=BB6_7994 Depth=3
	s_or_b32 exec_lo, exec_lo, s16
	v_and_b32_sdwa v30, v73, v117 dst_sel:DWORD dst_unused:UNUSED_PAD src0_sel:BYTE_3 src1_sel:DWORD
	v_lshrrev_b32_e32 v73, 21, v75
	v_min_i32_e32 v74, 31, v77
	v_cmp_gt_i32_e32 vcc_lo, 32, v77
	v_lshlrev_b32_e32 v74, 2, v74
	v_cndmask_b32_e32 v73, 3, v73, vcc_lo
	v_and_b32_e32 v74, 0xfc, v74
	v_or_b32_e32 v75, v77, v73
	v_and_b32_e32 v73, 3, v73
	v_cmp_ne_u32_e32 vcc_lo, 0, v75
	v_or3_b32 v30, v30, v74, v73
	v_lshlrev_b32_e32 v30, 8, v30
	v_cndmask_b32_e32 v30, 0, v30, vcc_lo
.LBB6_10137:                            ;   in Loop: Header=BB6_7994 Depth=3
	s_or_b32 exec_lo, exec_lo, s72
.LBB6_10138:                            ;   in Loop: Header=BB6_7994 Depth=3
	s_or_b32 exec_lo, exec_lo, s23
	v_or_b32_e32 v28, v28, v25
	s_mov_b32 s23, 0
	v_cmp_gt_i16_sdwa s16, v28, v116 src0_sel:BYTE_0 src1_sel:DWORD
	s_and_saveexec_b32 s72, s16
	s_xor_b32 s16, exec_lo, s72
	s_cbranch_execz .LBB6_10552
; %bb.10139:                            ;   in Loop: Header=BB6_7994 Depth=3
	v_cmp_eq_u16_sdwa s73, v28, v117 src0_sel:BYTE_0 src1_sel:DWORD
	s_mov_b32 s23, -1
	s_and_saveexec_b32 s72, s73
; %bb.10140:                            ;   in Loop: Header=BB6_7994 Depth=3
	s_xor_b32 s23, exec_lo, -1
; %bb.10141:                            ;   in Loop: Header=BB6_7994 Depth=3
	s_or_b32 exec_lo, exec_lo, s72
	s_and_b32 s23, s23, exec_lo
	s_or_saveexec_b32 s16, s16
	v_mov_b32_e32 v25, 0x7f800001
	s_xor_b32 exec_lo, exec_lo, s16
	s_cbranch_execnz .LBB6_10553
.LBB6_10142:                            ;   in Loop: Header=BB6_7994 Depth=3
	s_or_b32 exec_lo, exec_lo, s16
	v_lshl_or_b32 v28, v28, 16, v72
	s_and_saveexec_b32 s16, s23
	s_cbranch_execz .LBB6_10144
.LBB6_10143:                            ;   in Loop: Header=BB6_7994 Depth=3
	v_bfe_u32 v25, v28, 16, 2
	v_bfe_u32 v72, v28, 18, 5
	v_ffbh_u32_e32 v73, v25
	v_cmp_eq_u32_e32 vcc_lo, 0, v72
	v_min_u32_e32 v73, 32, v73
	v_subrev_nc_u32_e32 v74, 29, v73
	v_sub_nc_u32_e32 v73, 30, v73
	v_lshlrev_b32_sdwa v74, v74, v28 dst_sel:DWORD dst_unused:UNUSED_PAD src0_sel:DWORD src1_sel:WORD_1
	v_cndmask_b32_e32 v72, v72, v73, vcc_lo
	v_lshlrev_b32_e32 v73, 8, v28
	v_and_b32_e32 v74, 3, v74
	v_lshl_add_u32 v72, v72, 23, 0x37800000
	v_and_b32_e32 v73, 0x80000000, v73
	v_cndmask_b32_e32 v25, v25, v74, vcc_lo
	v_lshlrev_b32_e32 v25, 21, v25
	v_or3_b32 v25, v73, v72, v25
.LBB6_10144:                            ;   in Loop: Header=BB6_7994 Depth=3
	s_or_b32 exec_lo, exec_lo, s16
	v_and_b32_sdwa v73, v11, v40 dst_sel:DWORD dst_unused:UNUSED_PAD src0_sel:WORD_1 src1_sel:DWORD
	s_mov_b32 s23, 0
	s_mov_b32 s16, exec_lo
	v_cmpx_lt_i16_e32 0x7f, v73
	s_xor_b32 s16, exec_lo, s16
	s_cbranch_execz .LBB6_10554
; %bb.10145:                            ;   in Loop: Header=BB6_7994 Depth=3
	s_mov_b32 s23, -1
	s_mov_b32 s72, exec_lo
	v_cmpx_eq_u16_e32 0x80, v73
; %bb.10146:                            ;   in Loop: Header=BB6_7994 Depth=3
	s_xor_b32 s23, exec_lo, -1
; %bb.10147:                            ;   in Loop: Header=BB6_7994 Depth=3
	s_or_b32 exec_lo, exec_lo, s72
	s_and_b32 s23, s23, exec_lo
                                        ; implicit-def: $vgpr73
	s_or_saveexec_b32 s16, s16
	v_mov_b32_e32 v72, 0x7f800001
	s_xor_b32 exec_lo, exec_lo, s16
	s_cbranch_execnz .LBB6_10555
.LBB6_10148:                            ;   in Loop: Header=BB6_7994 Depth=3
	s_or_b32 exec_lo, exec_lo, s16
	s_and_saveexec_b32 s16, s23
	s_cbranch_execz .LBB6_10150
.LBB6_10149:                            ;   in Loop: Header=BB6_7994 Depth=3
	v_bfe_u32 v72, v11, 16, 2
	v_bfe_u32 v73, v11, 18, 5
	v_ffbh_u32_e32 v74, v72
	v_cmp_eq_u32_e32 vcc_lo, 0, v73
	v_min_u32_e32 v74, 32, v74
	v_subrev_nc_u32_e32 v75, 29, v74
	v_sub_nc_u32_e32 v74, 30, v74
	v_lshlrev_b32_sdwa v75, v75, v11 dst_sel:DWORD dst_unused:UNUSED_PAD src0_sel:DWORD src1_sel:WORD_1
	v_cndmask_b32_e32 v73, v73, v74, vcc_lo
	v_lshlrev_b32_e32 v74, 8, v11
	v_and_b32_e32 v75, 3, v75
	v_lshl_add_u32 v73, v73, 23, 0x37800000
	v_and_b32_e32 v74, 0x80000000, v74
	v_cndmask_b32_e32 v72, v72, v75, vcc_lo
	v_lshlrev_b32_e32 v72, 21, v72
	v_or3_b32 v72, v74, v73, v72
.LBB6_10150:                            ;   in Loop: Header=BB6_7994 Depth=3
	s_or_b32 exec_lo, exec_lo, s16
	v_add_f32_e32 v72, v25, v72
	v_and_b32_e32 v25, 0x7f800000, v72
	v_cmp_ne_u32_e32 vcc_lo, 0x7f800000, v25
	v_mov_b32_e32 v25, 0x80
	s_and_saveexec_b32 s23, vcc_lo
	s_cbranch_execz .LBB6_10158
; %bb.10151:                            ;   in Loop: Header=BB6_7994 Depth=3
	v_mov_b32_e32 v25, 0
	s_mov_b32 s72, exec_lo
	v_cmpx_ne_u32_e32 0, v72
	s_cbranch_execz .LBB6_10157
; %bb.10152:                            ;   in Loop: Header=BB6_7994 Depth=3
	v_bfe_u32 v73, v72, 23, 8
	v_and_b32_e32 v25, 0x7fffff, v72
	v_cmp_gt_u32_e64 s16, 0x71, v73
	v_sub_nc_u32_e32 v74, 0x70, v73
	v_cmp_eq_u32_e32 vcc_lo, 0, v73
	v_or_b32_e32 v75, 0x800000, v25
	v_cndmask_b32_e64 v74, 0, v74, s16
	v_cndmask_b32_e32 v25, v75, v25, vcc_lo
	v_cndmask_b32_e64 v74, v74, 0x6f, vcc_lo
	v_lshl_add_u32 v75, 0x200000, v74, -1
	v_lshlrev_b32_e64 v77, v74, 0x100000
	v_and_b32_e32 v75, v75, v25
	v_cmp_eq_u32_e64 s16, v75, v77
	v_lshrrev_b32_e32 v75, v74, v25
	v_add_nc_u32_e32 v25, 0xffffff91, v73
	v_lshrrev_b32_e32 v73, 23, v75
	v_cndmask_b32_e64 v25, v25, 0xffffff92, vcc_lo
	v_xor_b32_e32 v73, 1, v73
	v_add_nc_u32_e32 v25, v74, v25
	v_bfe_u32 v74, v75, 21, 1
	v_add_nc_u32_e32 v74, -1, v74
	v_cndmask_b32_e64 v74, 0, v74, s16
	s_mov_b32 s16, exec_lo
	v_add_nc_u32_e32 v74, v74, v75
	v_and_b32_e32 v74, 0x1fffff, v74
	v_add_nc_u32_e32 v74, v74, v75
                                        ; implicit-def: $vgpr75
	v_cmpx_ne_u32_e64 v25, v73
	s_xor_b32 s16, exec_lo, s16
; %bb.10153:                            ;   in Loop: Header=BB6_7994 Depth=3
	v_cmp_lt_u32_e32 vcc_lo, 0xffffff, v74
	v_sub_nc_u32_e32 v25, v25, v73
	v_cndmask_b32_e64 v73, 0, 1, vcc_lo
	v_add_co_ci_u32_e64 v75, null, 0, v25, vcc_lo
	v_lshrrev_b32_e32 v74, v73, v74
; %bb.10154:                            ;   in Loop: Header=BB6_7994 Depth=3
	s_andn2_saveexec_b32 s16, s16
; %bb.10155:                            ;   in Loop: Header=BB6_7994 Depth=3
	v_bfe_u32 v75, v74, 23, 1
; %bb.10156:                            ;   in Loop: Header=BB6_7994 Depth=3
	s_or_b32 exec_lo, exec_lo, s16
	v_and_b32_sdwa v25, v72, v117 dst_sel:DWORD dst_unused:UNUSED_PAD src0_sel:BYTE_3 src1_sel:DWORD
	v_lshrrev_b32_e32 v72, 21, v74
	v_min_i32_e32 v73, 31, v75
	v_cmp_gt_i32_e32 vcc_lo, 32, v75
	v_lshlrev_b32_e32 v73, 2, v73
	v_cndmask_b32_e32 v72, 3, v72, vcc_lo
	v_and_b32_e32 v73, 0xfc, v73
	v_or_b32_e32 v74, v75, v72
	v_and_b32_e32 v72, 3, v72
	v_cmp_ne_u32_e32 vcc_lo, 0, v74
	v_or3_b32 v25, v73, v25, v72
	v_cndmask_b32_e32 v25, 0, v25, vcc_lo
.LBB6_10157:                            ;   in Loop: Header=BB6_7994 Depth=3
	s_or_b32 exec_lo, exec_lo, s72
.LBB6_10158:                            ;   in Loop: Header=BB6_7994 Depth=3
	s_or_b32 exec_lo, exec_lo, s23
	v_cmp_gt_i16_sdwa s23, v28, v116 src0_sel:BYTE_3 src1_sel:DWORD
	s_mov_b32 s16, 0
	s_and_saveexec_b32 s72, s23
	s_xor_b32 s23, exec_lo, s72
	s_cbranch_execz .LBB6_10556
; %bb.10159:                            ;   in Loop: Header=BB6_7994 Depth=3
	v_cmp_eq_u16_sdwa s73, v28, v117 src0_sel:BYTE_3 src1_sel:DWORD
	s_mov_b32 s16, -1
	s_and_saveexec_b32 s72, s73
; %bb.10160:                            ;   in Loop: Header=BB6_7994 Depth=3
	s_xor_b32 s16, exec_lo, -1
; %bb.10161:                            ;   in Loop: Header=BB6_7994 Depth=3
	s_or_b32 exec_lo, exec_lo, s72
	s_and_b32 s16, s16, exec_lo
	s_or_saveexec_b32 s23, s23
	v_mov_b32_e32 v72, 0x7f800001
	s_xor_b32 exec_lo, exec_lo, s23
	s_cbranch_execnz .LBB6_10557
.LBB6_10162:                            ;   in Loop: Header=BB6_7994 Depth=3
	s_or_b32 exec_lo, exec_lo, s23
	s_and_saveexec_b32 s23, s16
	s_cbranch_execz .LBB6_10164
.LBB6_10163:                            ;   in Loop: Header=BB6_7994 Depth=3
	v_bfe_u32 v72, v28, 24, 2
	v_bfe_u32 v75, v28, 26, 5
	v_ffbh_u32_e32 v73, v72
	v_cmp_eq_u32_e32 vcc_lo, 0, v75
	v_min_u32_e32 v73, 32, v73
	v_subrev_nc_u32_e32 v74, 29, v73
	v_sub_nc_u32_e32 v73, 30, v73
	v_lshlrev_b32_sdwa v74, v74, v28 dst_sel:DWORD dst_unused:UNUSED_PAD src0_sel:DWORD src1_sel:BYTE_3
	v_cndmask_b32_e32 v73, v75, v73, vcc_lo
	v_and_b32_e32 v28, 0x80000000, v28
	v_and_b32_e32 v74, 3, v74
	v_lshl_add_u32 v73, v73, 23, 0x37800000
	v_cndmask_b32_e32 v72, v72, v74, vcc_lo
	v_lshlrev_b32_e32 v72, 21, v72
	v_or3_b32 v72, v28, v73, v72
.LBB6_10164:                            ;   in Loop: Header=BB6_7994 Depth=3
	s_or_b32 exec_lo, exec_lo, s23
	v_cmp_gt_i16_sdwa s23, v11, v116 src0_sel:BYTE_3 src1_sel:DWORD
	s_mov_b32 s16, 0
	s_and_saveexec_b32 s72, s23
	s_xor_b32 s23, exec_lo, s72
	s_cbranch_execz .LBB6_10558
; %bb.10165:                            ;   in Loop: Header=BB6_7994 Depth=3
	v_cmp_eq_u16_sdwa s73, v11, v117 src0_sel:BYTE_3 src1_sel:DWORD
	s_mov_b32 s16, -1
	s_and_saveexec_b32 s72, s73
; %bb.10166:                            ;   in Loop: Header=BB6_7994 Depth=3
	s_xor_b32 s16, exec_lo, -1
; %bb.10167:                            ;   in Loop: Header=BB6_7994 Depth=3
	s_or_b32 exec_lo, exec_lo, s72
	s_and_b32 s16, s16, exec_lo
	s_or_saveexec_b32 s23, s23
	v_mov_b32_e32 v28, 0x7f800001
	s_xor_b32 exec_lo, exec_lo, s23
	s_cbranch_execnz .LBB6_10559
.LBB6_10168:                            ;   in Loop: Header=BB6_7994 Depth=3
	s_or_b32 exec_lo, exec_lo, s23
	s_and_saveexec_b32 s23, s16
	s_cbranch_execz .LBB6_10170
.LBB6_10169:                            ;   in Loop: Header=BB6_7994 Depth=3
	v_bfe_u32 v28, v11, 24, 2
	v_bfe_u32 v75, v11, 26, 5
	v_ffbh_u32_e32 v73, v28
	v_cmp_eq_u32_e32 vcc_lo, 0, v75
	v_min_u32_e32 v73, 32, v73
	v_subrev_nc_u32_e32 v74, 29, v73
	v_sub_nc_u32_e32 v73, 30, v73
	v_lshlrev_b32_sdwa v74, v74, v11 dst_sel:DWORD dst_unused:UNUSED_PAD src0_sel:DWORD src1_sel:BYTE_3
	v_cndmask_b32_e32 v73, v75, v73, vcc_lo
	v_and_b32_e32 v11, 0x80000000, v11
	v_and_b32_e32 v74, 3, v74
	v_lshl_add_u32 v73, v73, 23, 0x37800000
	v_cndmask_b32_e32 v28, v28, v74, vcc_lo
	v_lshlrev_b32_e32 v28, 21, v28
	v_or3_b32 v28, v11, v73, v28
.LBB6_10170:                            ;   in Loop: Header=BB6_7994 Depth=3
	s_or_b32 exec_lo, exec_lo, s23
	v_add_f32_e32 v11, v72, v28
	v_and_b32_e32 v28, 0x7f800000, v11
	v_cmp_ne_u32_e32 vcc_lo, 0x7f800000, v28
	v_mov_b32_e32 v28, 0x8000
	s_and_saveexec_b32 s23, vcc_lo
	s_cbranch_execz .LBB6_7993
; %bb.10171:                            ;   in Loop: Header=BB6_7994 Depth=3
	v_mov_b32_e32 v28, 0
	s_mov_b32 s72, exec_lo
	v_cmpx_ne_u32_e32 0, v11
	s_cbranch_execz .LBB6_7992
; %bb.10172:                            ;   in Loop: Header=BB6_7994 Depth=3
	v_bfe_u32 v72, v11, 23, 8
	v_and_b32_e32 v28, 0x7fffff, v11
	v_cmp_gt_u32_e64 s16, 0x71, v72
	v_sub_nc_u32_e32 v73, 0x70, v72
	v_cmp_eq_u32_e32 vcc_lo, 0, v72
	v_or_b32_e32 v74, 0x800000, v28
	v_cndmask_b32_e64 v73, 0, v73, s16
	v_cndmask_b32_e32 v28, v74, v28, vcc_lo
	v_cndmask_b32_e64 v73, v73, 0x6f, vcc_lo
	v_lshl_add_u32 v74, 0x200000, v73, -1
	v_lshlrev_b32_e64 v75, v73, 0x100000
	v_and_b32_e32 v74, v74, v28
	v_cmp_eq_u32_e64 s16, v74, v75
	v_lshrrev_b32_e32 v74, v73, v28
	v_add_nc_u32_e32 v28, 0xffffff91, v72
	v_lshrrev_b32_e32 v72, 23, v74
	v_cndmask_b32_e64 v28, v28, 0xffffff92, vcc_lo
	v_xor_b32_e32 v72, 1, v72
	v_add_nc_u32_e32 v28, v73, v28
	v_bfe_u32 v73, v74, 21, 1
	v_add_nc_u32_e32 v73, -1, v73
	v_cndmask_b32_e64 v73, 0, v73, s16
	s_mov_b32 s16, exec_lo
	v_add_nc_u32_e32 v73, v73, v74
	v_and_b32_e32 v73, 0x1fffff, v73
	v_add_nc_u32_e32 v73, v73, v74
                                        ; implicit-def: $vgpr74
	v_cmpx_ne_u32_e64 v28, v72
	s_xor_b32 s16, exec_lo, s16
; %bb.10173:                            ;   in Loop: Header=BB6_7994 Depth=3
	v_cmp_lt_u32_e32 vcc_lo, 0xffffff, v73
	v_sub_nc_u32_e32 v28, v28, v72
	v_cndmask_b32_e64 v72, 0, 1, vcc_lo
	v_add_co_ci_u32_e64 v74, null, 0, v28, vcc_lo
	v_lshrrev_b32_e32 v73, v72, v73
; %bb.10174:                            ;   in Loop: Header=BB6_7994 Depth=3
	s_andn2_saveexec_b32 s16, s16
	s_cbranch_execz .LBB6_7991
; %bb.10175:                            ;   in Loop: Header=BB6_7994 Depth=3
	v_bfe_u32 v74, v73, 23, 1
	s_branch .LBB6_7991
.LBB6_10176:                            ;   in Loop: Header=BB6_7994 Depth=3
	s_or_saveexec_b32 s72, s72
	v_mov_b32_e32 v0, 0x7f800001
	s_xor_b32 exec_lo, exec_lo, s72
	s_cbranch_execz .LBB6_8006
.LBB6_10177:                            ;   in Loop: Header=BB6_7994 Depth=3
	v_cmp_ne_u16_sdwa s73, v8, v2 src0_sel:BYTE_0 src1_sel:DWORD
	v_mov_b32_e32 v0, 0
	s_andn2_b32 s16, s16, exec_lo
	s_and_b32 s73, s73, exec_lo
	s_or_b32 s16, s16, s73
	s_or_b32 exec_lo, exec_lo, s72
	s_and_saveexec_b32 s72, s16
	s_cbranch_execnz .LBB6_8007
	s_branch .LBB6_8008
.LBB6_10178:                            ;   in Loop: Header=BB6_7994 Depth=3
	s_or_saveexec_b32 s72, s72
	v_mov_b32_e32 v0, 0x7f800001
	s_xor_b32 exec_lo, exec_lo, s72
	s_cbranch_execz .LBB6_8020
.LBB6_10179:                            ;   in Loop: Header=BB6_7994 Depth=3
	v_cmp_ne_u16_sdwa s73, v8, v2 src0_sel:BYTE_1 src1_sel:DWORD
	v_mov_b32_e32 v0, 0
	s_andn2_b32 s16, s16, exec_lo
	s_and_b32 s73, s73, exec_lo
	s_or_b32 s16, s16, s73
	s_or_b32 exec_lo, exec_lo, s72
	s_and_saveexec_b32 s72, s16
	s_cbranch_execnz .LBB6_8021
	s_branch .LBB6_8022
.LBB6_10180:                            ;   in Loop: Header=BB6_7994 Depth=3
	s_or_saveexec_b32 s72, s72
	v_mov_b32_e32 v0, 0x7f800001
	s_xor_b32 exec_lo, exec_lo, s72
	s_cbranch_execz .LBB6_8034
.LBB6_10181:                            ;   in Loop: Header=BB6_7994 Depth=3
	v_cmp_ne_u16_e32 vcc_lo, 0, v1
	v_mov_b32_e32 v0, 0
	s_andn2_b32 s16, s16, exec_lo
	s_and_b32 s73, vcc_lo, exec_lo
	s_or_b32 s16, s16, s73
	s_or_b32 exec_lo, exec_lo, s72
	s_and_saveexec_b32 s72, s16
	s_cbranch_execnz .LBB6_8035
	s_branch .LBB6_8036
.LBB6_10182:                            ;   in Loop: Header=BB6_7994 Depth=3
	s_or_saveexec_b32 s72, s72
	v_mov_b32_e32 v0, 0x7f800001
	s_xor_b32 exec_lo, exec_lo, s72
	s_cbranch_execz .LBB6_8048
.LBB6_10183:                            ;   in Loop: Header=BB6_7994 Depth=3
	v_cmp_ne_u16_sdwa s73, v8, v2 src0_sel:BYTE_3 src1_sel:DWORD
	v_mov_b32_e32 v0, 0
	s_andn2_b32 s16, s16, exec_lo
	s_and_b32 s73, s73, exec_lo
	s_or_b32 s16, s16, s73
	s_or_b32 exec_lo, exec_lo, s72
	s_and_saveexec_b32 s72, s16
	s_cbranch_execnz .LBB6_8049
	s_branch .LBB6_8050
.LBB6_10184:                            ;   in Loop: Header=BB6_7994 Depth=3
	s_or_saveexec_b32 s72, s72
	v_mov_b32_e32 v0, 0x7f800001
	s_xor_b32 exec_lo, exec_lo, s72
	s_cbranch_execz .LBB6_8062
.LBB6_10185:                            ;   in Loop: Header=BB6_7994 Depth=3
	v_cmp_ne_u16_sdwa s73, v9, v2 src0_sel:BYTE_0 src1_sel:DWORD
	v_mov_b32_e32 v0, 0
	s_andn2_b32 s16, s16, exec_lo
	s_and_b32 s73, s73, exec_lo
	s_or_b32 s16, s16, s73
	s_or_b32 exec_lo, exec_lo, s72
	s_and_saveexec_b32 s72, s16
	s_cbranch_execnz .LBB6_8063
	s_branch .LBB6_8064
.LBB6_10186:                            ;   in Loop: Header=BB6_7994 Depth=3
	s_or_saveexec_b32 s72, s72
	v_mov_b32_e32 v0, 0x7f800001
	s_xor_b32 exec_lo, exec_lo, s72
	s_cbranch_execz .LBB6_8076
.LBB6_10187:                            ;   in Loop: Header=BB6_7994 Depth=3
	v_cmp_ne_u16_sdwa s73, v9, v2 src0_sel:BYTE_1 src1_sel:DWORD
	v_mov_b32_e32 v0, 0
	s_andn2_b32 s16, s16, exec_lo
	s_and_b32 s73, s73, exec_lo
	s_or_b32 s16, s16, s73
	s_or_b32 exec_lo, exec_lo, s72
	s_and_saveexec_b32 s72, s16
	s_cbranch_execnz .LBB6_8077
	s_branch .LBB6_8078
.LBB6_10188:                            ;   in Loop: Header=BB6_7994 Depth=3
	s_or_saveexec_b32 s72, s72
	v_mov_b32_e32 v0, 0x7f800001
	s_xor_b32 exec_lo, exec_lo, s72
	s_cbranch_execz .LBB6_8090
.LBB6_10189:                            ;   in Loop: Header=BB6_7994 Depth=3
	v_cmp_ne_u16_e32 vcc_lo, 0, v1
	v_mov_b32_e32 v0, 0
	s_andn2_b32 s16, s16, exec_lo
	s_and_b32 s73, vcc_lo, exec_lo
	s_or_b32 s16, s16, s73
	s_or_b32 exec_lo, exec_lo, s72
	s_and_saveexec_b32 s72, s16
	s_cbranch_execnz .LBB6_8091
	s_branch .LBB6_8092
.LBB6_10190:                            ;   in Loop: Header=BB6_7994 Depth=3
	s_or_saveexec_b32 s72, s72
	v_mov_b32_e32 v0, 0x7f800001
	s_xor_b32 exec_lo, exec_lo, s72
	s_cbranch_execz .LBB6_8104
.LBB6_10191:                            ;   in Loop: Header=BB6_7994 Depth=3
	v_cmp_ne_u16_sdwa s73, v9, v2 src0_sel:BYTE_3 src1_sel:DWORD
	v_mov_b32_e32 v0, 0
	s_andn2_b32 s16, s16, exec_lo
	s_and_b32 s73, s73, exec_lo
	s_or_b32 s16, s16, s73
	s_or_b32 exec_lo, exec_lo, s72
	s_and_saveexec_b32 s72, s16
	s_cbranch_execnz .LBB6_8105
	s_branch .LBB6_8106
.LBB6_10192:                            ;   in Loop: Header=BB6_7994 Depth=3
	s_or_saveexec_b32 s72, s72
	v_mov_b32_e32 v0, 0x7f800001
	s_xor_b32 exec_lo, exec_lo, s72
	s_cbranch_execz .LBB6_8118
.LBB6_10193:                            ;   in Loop: Header=BB6_7994 Depth=3
	v_cmp_ne_u16_sdwa s73, v10, v2 src0_sel:BYTE_0 src1_sel:DWORD
	v_mov_b32_e32 v0, 0
	s_andn2_b32 s16, s16, exec_lo
	s_and_b32 s73, s73, exec_lo
	s_or_b32 s16, s16, s73
	s_or_b32 exec_lo, exec_lo, s72
	s_and_saveexec_b32 s72, s16
	s_cbranch_execnz .LBB6_8119
	s_branch .LBB6_8120
.LBB6_10194:                            ;   in Loop: Header=BB6_7994 Depth=3
	s_or_saveexec_b32 s72, s72
	v_mov_b32_e32 v0, 0x7f800001
	s_xor_b32 exec_lo, exec_lo, s72
	s_cbranch_execz .LBB6_8132
.LBB6_10195:                            ;   in Loop: Header=BB6_7994 Depth=3
	v_cmp_ne_u16_sdwa s73, v10, v2 src0_sel:BYTE_1 src1_sel:DWORD
	v_mov_b32_e32 v0, 0
	s_andn2_b32 s16, s16, exec_lo
	s_and_b32 s73, s73, exec_lo
	s_or_b32 s16, s16, s73
	s_or_b32 exec_lo, exec_lo, s72
	s_and_saveexec_b32 s72, s16
	s_cbranch_execnz .LBB6_8133
	s_branch .LBB6_8134
.LBB6_10196:                            ;   in Loop: Header=BB6_7994 Depth=3
	s_or_saveexec_b32 s72, s72
	v_mov_b32_e32 v0, 0x7f800001
	s_xor_b32 exec_lo, exec_lo, s72
	s_cbranch_execz .LBB6_8146
.LBB6_10197:                            ;   in Loop: Header=BB6_7994 Depth=3
	v_cmp_ne_u16_e32 vcc_lo, 0, v1
	v_mov_b32_e32 v0, 0
	s_andn2_b32 s16, s16, exec_lo
	s_and_b32 s73, vcc_lo, exec_lo
	s_or_b32 s16, s16, s73
	s_or_b32 exec_lo, exec_lo, s72
	s_and_saveexec_b32 s72, s16
	s_cbranch_execnz .LBB6_8147
	s_branch .LBB6_8148
.LBB6_10198:                            ;   in Loop: Header=BB6_7994 Depth=3
	s_or_saveexec_b32 s72, s72
	v_mov_b32_e32 v0, 0x7f800001
	s_xor_b32 exec_lo, exec_lo, s72
	s_cbranch_execz .LBB6_8160
.LBB6_10199:                            ;   in Loop: Header=BB6_7994 Depth=3
	v_cmp_ne_u16_sdwa s73, v10, v2 src0_sel:BYTE_3 src1_sel:DWORD
	v_mov_b32_e32 v0, 0
	s_andn2_b32 s16, s16, exec_lo
	s_and_b32 s73, s73, exec_lo
	s_or_b32 s16, s16, s73
	s_or_b32 exec_lo, exec_lo, s72
	s_and_saveexec_b32 s72, s16
	s_cbranch_execnz .LBB6_8161
	s_branch .LBB6_8162
.LBB6_10200:                            ;   in Loop: Header=BB6_7994 Depth=3
	s_or_saveexec_b32 s72, s72
	v_mov_b32_e32 v0, 0x7f800001
	s_xor_b32 exec_lo, exec_lo, s72
	s_cbranch_execz .LBB6_8174
.LBB6_10201:                            ;   in Loop: Header=BB6_7994 Depth=3
	v_cmp_ne_u16_sdwa s73, v11, v2 src0_sel:BYTE_0 src1_sel:DWORD
	v_mov_b32_e32 v0, 0
	s_andn2_b32 s16, s16, exec_lo
	s_and_b32 s73, s73, exec_lo
	s_or_b32 s16, s16, s73
	s_or_b32 exec_lo, exec_lo, s72
	s_and_saveexec_b32 s72, s16
	s_cbranch_execnz .LBB6_8175
	s_branch .LBB6_8176
.LBB6_10202:                            ;   in Loop: Header=BB6_7994 Depth=3
	s_or_saveexec_b32 s72, s72
	v_mov_b32_e32 v0, 0x7f800001
	s_xor_b32 exec_lo, exec_lo, s72
	s_cbranch_execz .LBB6_8188
.LBB6_10203:                            ;   in Loop: Header=BB6_7994 Depth=3
	v_cmp_ne_u16_sdwa s73, v11, v2 src0_sel:BYTE_1 src1_sel:DWORD
	v_mov_b32_e32 v0, 0
	s_andn2_b32 s16, s16, exec_lo
	s_and_b32 s73, s73, exec_lo
	s_or_b32 s16, s16, s73
	s_or_b32 exec_lo, exec_lo, s72
	s_and_saveexec_b32 s72, s16
	s_cbranch_execnz .LBB6_8189
	s_branch .LBB6_8190
.LBB6_10204:                            ;   in Loop: Header=BB6_7994 Depth=3
	s_or_saveexec_b32 s72, s72
	v_mov_b32_e32 v0, 0x7f800001
	s_xor_b32 exec_lo, exec_lo, s72
	s_cbranch_execz .LBB6_8202
.LBB6_10205:                            ;   in Loop: Header=BB6_7994 Depth=3
	v_cmp_ne_u16_e32 vcc_lo, 0, v1
	v_mov_b32_e32 v0, 0
	s_andn2_b32 s16, s16, exec_lo
	s_and_b32 s73, vcc_lo, exec_lo
	s_or_b32 s16, s16, s73
	s_or_b32 exec_lo, exec_lo, s72
	s_and_saveexec_b32 s72, s16
	s_cbranch_execnz .LBB6_8203
	s_branch .LBB6_8204
.LBB6_10206:                            ;   in Loop: Header=BB6_7994 Depth=3
	s_or_saveexec_b32 s72, s72
	v_mov_b32_e32 v1, 0x7f800001
	s_xor_b32 exec_lo, exec_lo, s72
	s_cbranch_execz .LBB6_8216
.LBB6_10207:                            ;   in Loop: Header=BB6_7994 Depth=3
	v_cmp_ne_u16_sdwa s73, v11, v2 src0_sel:BYTE_3 src1_sel:DWORD
	v_mov_b32_e32 v1, 0
	s_andn2_b32 s16, s16, exec_lo
	s_and_b32 s73, s73, exec_lo
	s_or_b32 s16, s16, s73
	s_or_b32 exec_lo, exec_lo, s72
	s_and_saveexec_b32 s72, s16
	s_cbranch_execnz .LBB6_8217
	s_branch .LBB6_8218
.LBB6_10208:                            ;   in Loop: Header=BB6_7994 Depth=3
	s_or_saveexec_b32 s72, s72
	v_mov_b32_e32 v1, 0x7f800001
	s_xor_b32 exec_lo, exec_lo, s72
	s_cbranch_execz .LBB6_8230
.LBB6_10209:                            ;   in Loop: Header=BB6_7994 Depth=3
	v_cmp_ne_u16_sdwa s73, v8, v2 src0_sel:BYTE_0 src1_sel:DWORD
	v_mov_b32_e32 v1, 0
	s_andn2_b32 s16, s16, exec_lo
	s_and_b32 s73, s73, exec_lo
	s_or_b32 s16, s16, s73
	s_or_b32 exec_lo, exec_lo, s72
	s_and_saveexec_b32 s72, s16
	s_cbranch_execnz .LBB6_8231
	s_branch .LBB6_8232
.LBB6_10210:                            ;   in Loop: Header=BB6_7994 Depth=3
	s_or_saveexec_b32 s72, s72
	v_mov_b32_e32 v1, 0x7f800001
	s_xor_b32 exec_lo, exec_lo, s72
	s_cbranch_execz .LBB6_8244
.LBB6_10211:                            ;   in Loop: Header=BB6_7994 Depth=3
	v_cmp_ne_u16_sdwa s73, v8, v2 src0_sel:BYTE_1 src1_sel:DWORD
	v_mov_b32_e32 v1, 0
	s_andn2_b32 s16, s16, exec_lo
	s_and_b32 s73, s73, exec_lo
	s_or_b32 s16, s16, s73
	s_or_b32 exec_lo, exec_lo, s72
	s_and_saveexec_b32 s72, s16
	s_cbranch_execnz .LBB6_8245
	s_branch .LBB6_8246
.LBB6_10212:                            ;   in Loop: Header=BB6_7994 Depth=3
	s_or_saveexec_b32 s72, s72
	v_mov_b32_e32 v1, 0x7f800001
	s_xor_b32 exec_lo, exec_lo, s72
	s_cbranch_execz .LBB6_8258
.LBB6_10213:                            ;   in Loop: Header=BB6_7994 Depth=3
	v_cmp_ne_u16_e32 vcc_lo, 0, v4
	v_mov_b32_e32 v1, 0
	s_andn2_b32 s16, s16, exec_lo
	s_and_b32 s73, vcc_lo, exec_lo
	s_or_b32 s16, s16, s73
	s_or_b32 exec_lo, exec_lo, s72
	s_and_saveexec_b32 s72, s16
	s_cbranch_execnz .LBB6_8259
	s_branch .LBB6_8260
.LBB6_10214:                            ;   in Loop: Header=BB6_7994 Depth=3
	s_or_saveexec_b32 s72, s72
	v_mov_b32_e32 v1, 0x7f800001
	s_xor_b32 exec_lo, exec_lo, s72
	s_cbranch_execz .LBB6_8272
.LBB6_10215:                            ;   in Loop: Header=BB6_7994 Depth=3
	v_cmp_ne_u16_sdwa s73, v8, v2 src0_sel:BYTE_3 src1_sel:DWORD
	v_mov_b32_e32 v1, 0
	s_andn2_b32 s16, s16, exec_lo
	s_and_b32 s73, s73, exec_lo
	s_or_b32 s16, s16, s73
	s_or_b32 exec_lo, exec_lo, s72
	s_and_saveexec_b32 s72, s16
	s_cbranch_execnz .LBB6_8273
	s_branch .LBB6_8274
.LBB6_10216:                            ;   in Loop: Header=BB6_7994 Depth=3
	s_or_saveexec_b32 s72, s72
	v_mov_b32_e32 v1, 0x7f800001
	s_xor_b32 exec_lo, exec_lo, s72
	s_cbranch_execz .LBB6_8286
.LBB6_10217:                            ;   in Loop: Header=BB6_7994 Depth=3
	v_cmp_ne_u16_sdwa s73, v9, v2 src0_sel:BYTE_0 src1_sel:DWORD
	v_mov_b32_e32 v1, 0
	s_andn2_b32 s16, s16, exec_lo
	s_and_b32 s73, s73, exec_lo
	s_or_b32 s16, s16, s73
	s_or_b32 exec_lo, exec_lo, s72
	s_and_saveexec_b32 s72, s16
	s_cbranch_execnz .LBB6_8287
	s_branch .LBB6_8288
.LBB6_10218:                            ;   in Loop: Header=BB6_7994 Depth=3
	s_or_saveexec_b32 s72, s72
	v_mov_b32_e32 v1, 0x7f800001
	s_xor_b32 exec_lo, exec_lo, s72
	s_cbranch_execz .LBB6_8300
.LBB6_10219:                            ;   in Loop: Header=BB6_7994 Depth=3
	v_cmp_ne_u16_sdwa s73, v9, v2 src0_sel:BYTE_1 src1_sel:DWORD
	v_mov_b32_e32 v1, 0
	s_andn2_b32 s16, s16, exec_lo
	s_and_b32 s73, s73, exec_lo
	s_or_b32 s16, s16, s73
	s_or_b32 exec_lo, exec_lo, s72
	s_and_saveexec_b32 s72, s16
	s_cbranch_execnz .LBB6_8301
	s_branch .LBB6_8302
.LBB6_10220:                            ;   in Loop: Header=BB6_7994 Depth=3
	s_or_saveexec_b32 s72, s72
	v_mov_b32_e32 v1, 0x7f800001
	s_xor_b32 exec_lo, exec_lo, s72
	s_cbranch_execz .LBB6_8314
.LBB6_10221:                            ;   in Loop: Header=BB6_7994 Depth=3
	v_cmp_ne_u16_e32 vcc_lo, 0, v4
	v_mov_b32_e32 v1, 0
	s_andn2_b32 s16, s16, exec_lo
	s_and_b32 s73, vcc_lo, exec_lo
	s_or_b32 s16, s16, s73
	s_or_b32 exec_lo, exec_lo, s72
	s_and_saveexec_b32 s72, s16
	s_cbranch_execnz .LBB6_8315
	s_branch .LBB6_8316
.LBB6_10222:                            ;   in Loop: Header=BB6_7994 Depth=3
	s_or_saveexec_b32 s72, s72
	v_mov_b32_e32 v1, 0x7f800001
	s_xor_b32 exec_lo, exec_lo, s72
	s_cbranch_execz .LBB6_8328
.LBB6_10223:                            ;   in Loop: Header=BB6_7994 Depth=3
	v_cmp_ne_u16_sdwa s73, v9, v2 src0_sel:BYTE_3 src1_sel:DWORD
	v_mov_b32_e32 v1, 0
	s_andn2_b32 s16, s16, exec_lo
	s_and_b32 s73, s73, exec_lo
	s_or_b32 s16, s16, s73
	s_or_b32 exec_lo, exec_lo, s72
	s_and_saveexec_b32 s72, s16
	s_cbranch_execnz .LBB6_8329
	s_branch .LBB6_8330
.LBB6_10224:                            ;   in Loop: Header=BB6_7994 Depth=3
	s_or_saveexec_b32 s72, s72
	v_mov_b32_e32 v1, 0x7f800001
	s_xor_b32 exec_lo, exec_lo, s72
	s_cbranch_execz .LBB6_8342
.LBB6_10225:                            ;   in Loop: Header=BB6_7994 Depth=3
	v_cmp_ne_u16_sdwa s73, v10, v2 src0_sel:BYTE_0 src1_sel:DWORD
	v_mov_b32_e32 v1, 0
	s_andn2_b32 s16, s16, exec_lo
	s_and_b32 s73, s73, exec_lo
	s_or_b32 s16, s16, s73
	s_or_b32 exec_lo, exec_lo, s72
	s_and_saveexec_b32 s72, s16
	s_cbranch_execnz .LBB6_8343
	s_branch .LBB6_8344
.LBB6_10226:                            ;   in Loop: Header=BB6_7994 Depth=3
	s_or_saveexec_b32 s72, s72
	v_mov_b32_e32 v1, 0x7f800001
	s_xor_b32 exec_lo, exec_lo, s72
	s_cbranch_execz .LBB6_8356
.LBB6_10227:                            ;   in Loop: Header=BB6_7994 Depth=3
	v_cmp_ne_u16_sdwa s73, v10, v2 src0_sel:BYTE_1 src1_sel:DWORD
	v_mov_b32_e32 v1, 0
	s_andn2_b32 s16, s16, exec_lo
	s_and_b32 s73, s73, exec_lo
	s_or_b32 s16, s16, s73
	s_or_b32 exec_lo, exec_lo, s72
	s_and_saveexec_b32 s72, s16
	s_cbranch_execnz .LBB6_8357
	s_branch .LBB6_8358
.LBB6_10228:                            ;   in Loop: Header=BB6_7994 Depth=3
	s_or_saveexec_b32 s72, s72
	v_mov_b32_e32 v1, 0x7f800001
	s_xor_b32 exec_lo, exec_lo, s72
	s_cbranch_execz .LBB6_8370
.LBB6_10229:                            ;   in Loop: Header=BB6_7994 Depth=3
	v_cmp_ne_u16_e32 vcc_lo, 0, v4
	v_mov_b32_e32 v1, 0
	s_andn2_b32 s16, s16, exec_lo
	s_and_b32 s73, vcc_lo, exec_lo
	s_or_b32 s16, s16, s73
	s_or_b32 exec_lo, exec_lo, s72
	s_and_saveexec_b32 s72, s16
	s_cbranch_execnz .LBB6_8371
	s_branch .LBB6_8372
.LBB6_10230:                            ;   in Loop: Header=BB6_7994 Depth=3
	s_or_saveexec_b32 s72, s72
	v_mov_b32_e32 v1, 0x7f800001
	s_xor_b32 exec_lo, exec_lo, s72
	s_cbranch_execz .LBB6_8384
.LBB6_10231:                            ;   in Loop: Header=BB6_7994 Depth=3
	v_cmp_ne_u16_sdwa s73, v10, v2 src0_sel:BYTE_3 src1_sel:DWORD
	v_mov_b32_e32 v1, 0
	s_andn2_b32 s16, s16, exec_lo
	s_and_b32 s73, s73, exec_lo
	s_or_b32 s16, s16, s73
	s_or_b32 exec_lo, exec_lo, s72
	s_and_saveexec_b32 s72, s16
	s_cbranch_execnz .LBB6_8385
	s_branch .LBB6_8386
.LBB6_10232:                            ;   in Loop: Header=BB6_7994 Depth=3
	s_or_saveexec_b32 s72, s72
	v_mov_b32_e32 v1, 0x7f800001
	s_xor_b32 exec_lo, exec_lo, s72
	s_cbranch_execz .LBB6_8398
.LBB6_10233:                            ;   in Loop: Header=BB6_7994 Depth=3
	v_cmp_ne_u16_sdwa s73, v11, v2 src0_sel:BYTE_0 src1_sel:DWORD
	v_mov_b32_e32 v1, 0
	s_andn2_b32 s16, s16, exec_lo
	s_and_b32 s73, s73, exec_lo
	s_or_b32 s16, s16, s73
	s_or_b32 exec_lo, exec_lo, s72
	s_and_saveexec_b32 s72, s16
	s_cbranch_execnz .LBB6_8399
	s_branch .LBB6_8400
.LBB6_10234:                            ;   in Loop: Header=BB6_7994 Depth=3
	s_or_saveexec_b32 s72, s72
	v_mov_b32_e32 v1, 0x7f800001
	s_xor_b32 exec_lo, exec_lo, s72
	s_cbranch_execz .LBB6_8412
.LBB6_10235:                            ;   in Loop: Header=BB6_7994 Depth=3
	v_cmp_ne_u16_sdwa s73, v11, v2 src0_sel:BYTE_1 src1_sel:DWORD
	v_mov_b32_e32 v1, 0
	s_andn2_b32 s16, s16, exec_lo
	s_and_b32 s73, s73, exec_lo
	s_or_b32 s16, s16, s73
	s_or_b32 exec_lo, exec_lo, s72
	s_and_saveexec_b32 s72, s16
	s_cbranch_execnz .LBB6_8413
	s_branch .LBB6_8414
.LBB6_10236:                            ;   in Loop: Header=BB6_7994 Depth=3
	s_or_saveexec_b32 s72, s72
	v_mov_b32_e32 v1, 0x7f800001
	s_xor_b32 exec_lo, exec_lo, s72
	s_cbranch_execz .LBB6_8426
.LBB6_10237:                            ;   in Loop: Header=BB6_7994 Depth=3
	v_cmp_ne_u16_e32 vcc_lo, 0, v4
	v_mov_b32_e32 v1, 0
	s_andn2_b32 s16, s16, exec_lo
	s_and_b32 s73, vcc_lo, exec_lo
	s_or_b32 s16, s16, s73
	s_or_b32 exec_lo, exec_lo, s72
	s_and_saveexec_b32 s72, s16
	s_cbranch_execnz .LBB6_8427
	s_branch .LBB6_8428
.LBB6_10238:                            ;   in Loop: Header=BB6_7994 Depth=3
	s_or_saveexec_b32 s72, s72
	v_mov_b32_e32 v1, 0x7f800001
	s_xor_b32 exec_lo, exec_lo, s72
	s_cbranch_execz .LBB6_8440
.LBB6_10239:                            ;   in Loop: Header=BB6_7994 Depth=3
	v_cmp_ne_u16_sdwa s73, v11, v2 src0_sel:BYTE_3 src1_sel:DWORD
	v_mov_b32_e32 v1, 0
	s_andn2_b32 s16, s16, exec_lo
	s_and_b32 s73, s73, exec_lo
	s_or_b32 s16, s16, s73
	s_or_b32 exec_lo, exec_lo, s72
	s_and_saveexec_b32 s72, s16
	s_cbranch_execnz .LBB6_8441
	s_branch .LBB6_8442
.LBB6_10240:                            ;   in Loop: Header=BB6_7994 Depth=3
	s_or_saveexec_b32 s16, s16
	v_mov_b32_e32 v1, 0x7f800001
	s_xor_b32 exec_lo, exec_lo, s16
	s_cbranch_execz .LBB6_8454
.LBB6_10241:                            ;   in Loop: Header=BB6_7994 Depth=3
	v_cmp_ne_u16_sdwa s73, v8, v2 src0_sel:BYTE_0 src1_sel:DWORD
	v_mov_b32_e32 v1, 0
	s_andn2_b32 s72, s72, exec_lo
	s_and_b32 s73, s73, exec_lo
	s_or_b32 s72, s72, s73
	s_or_b32 exec_lo, exec_lo, s16
	s_and_saveexec_b32 s16, s72
	s_cbranch_execnz .LBB6_8455
	s_branch .LBB6_8456
.LBB6_10242:                            ;   in Loop: Header=BB6_7994 Depth=3
	s_or_saveexec_b32 s72, s72
	v_mov_b32_e32 v1, 0x7f800001
	s_xor_b32 exec_lo, exec_lo, s72
	s_cbranch_execz .LBB6_8468
.LBB6_10243:                            ;   in Loop: Header=BB6_7994 Depth=3
	v_cmp_ne_u16_sdwa s73, v8, v2 src0_sel:BYTE_1 src1_sel:DWORD
	v_mov_b32_e32 v1, 0
	s_andn2_b32 s16, s16, exec_lo
	s_and_b32 s73, s73, exec_lo
	s_or_b32 s16, s16, s73
	s_or_b32 exec_lo, exec_lo, s72
	s_and_saveexec_b32 s72, s16
	s_cbranch_execnz .LBB6_8469
	s_branch .LBB6_8470
.LBB6_10244:                            ;   in Loop: Header=BB6_7994 Depth=3
	s_or_saveexec_b32 s16, s16
	v_mov_b32_e32 v1, 0x7f800001
	s_xor_b32 exec_lo, exec_lo, s16
	s_cbranch_execz .LBB6_8482
.LBB6_10245:                            ;   in Loop: Header=BB6_7994 Depth=3
	v_cmp_ne_u16_e32 vcc_lo, 0, v4
	v_mov_b32_e32 v1, 0
	s_andn2_b32 s72, s72, exec_lo
	s_and_b32 s73, vcc_lo, exec_lo
	s_or_b32 s72, s72, s73
	s_or_b32 exec_lo, exec_lo, s16
	s_and_saveexec_b32 s16, s72
	s_cbranch_execnz .LBB6_8483
	s_branch .LBB6_8484
.LBB6_10246:                            ;   in Loop: Header=BB6_7994 Depth=3
	s_or_saveexec_b32 s72, s72
	v_mov_b32_e32 v1, 0x7f800001
	s_xor_b32 exec_lo, exec_lo, s72
	s_cbranch_execz .LBB6_8496
.LBB6_10247:                            ;   in Loop: Header=BB6_7994 Depth=3
	v_cmp_ne_u16_sdwa s73, v8, v2 src0_sel:BYTE_3 src1_sel:DWORD
	v_mov_b32_e32 v1, 0
	s_andn2_b32 s16, s16, exec_lo
	s_and_b32 s73, s73, exec_lo
	s_or_b32 s16, s16, s73
	s_or_b32 exec_lo, exec_lo, s72
	s_and_saveexec_b32 s72, s16
	s_cbranch_execnz .LBB6_8497
	s_branch .LBB6_8498
.LBB6_10248:                            ;   in Loop: Header=BB6_7994 Depth=3
	s_or_saveexec_b32 s16, s16
	v_mov_b32_e32 v1, 0x7f800001
	s_xor_b32 exec_lo, exec_lo, s16
	s_cbranch_execz .LBB6_8510
.LBB6_10249:                            ;   in Loop: Header=BB6_7994 Depth=3
	v_cmp_ne_u16_sdwa s73, v9, v2 src0_sel:BYTE_0 src1_sel:DWORD
	v_mov_b32_e32 v1, 0
	s_andn2_b32 s72, s72, exec_lo
	s_and_b32 s73, s73, exec_lo
	s_or_b32 s72, s72, s73
	s_or_b32 exec_lo, exec_lo, s16
	s_and_saveexec_b32 s16, s72
	s_cbranch_execnz .LBB6_8511
	s_branch .LBB6_8512
.LBB6_10250:                            ;   in Loop: Header=BB6_7994 Depth=3
	s_or_saveexec_b32 s72, s72
	v_mov_b32_e32 v1, 0x7f800001
	s_xor_b32 exec_lo, exec_lo, s72
	s_cbranch_execz .LBB6_8524
.LBB6_10251:                            ;   in Loop: Header=BB6_7994 Depth=3
	v_cmp_ne_u16_sdwa s73, v9, v2 src0_sel:BYTE_1 src1_sel:DWORD
	v_mov_b32_e32 v1, 0
	s_andn2_b32 s16, s16, exec_lo
	s_and_b32 s73, s73, exec_lo
	s_or_b32 s16, s16, s73
	s_or_b32 exec_lo, exec_lo, s72
	s_and_saveexec_b32 s72, s16
	s_cbranch_execnz .LBB6_8525
	s_branch .LBB6_8526
.LBB6_10252:                            ;   in Loop: Header=BB6_7994 Depth=3
	s_or_saveexec_b32 s16, s16
	v_mov_b32_e32 v4, 0x7f800001
	s_xor_b32 exec_lo, exec_lo, s16
	s_cbranch_execz .LBB6_8538
.LBB6_10253:                            ;   in Loop: Header=BB6_7994 Depth=3
	v_cmp_ne_u16_e32 vcc_lo, 0, v5
	v_mov_b32_e32 v4, 0
	s_andn2_b32 s72, s72, exec_lo
	s_and_b32 s73, vcc_lo, exec_lo
	s_or_b32 s72, s72, s73
	s_or_b32 exec_lo, exec_lo, s16
	s_and_saveexec_b32 s16, s72
	s_cbranch_execnz .LBB6_8539
	s_branch .LBB6_8540
.LBB6_10254:                            ;   in Loop: Header=BB6_7994 Depth=3
	s_or_saveexec_b32 s72, s72
	v_mov_b32_e32 v4, 0x7f800001
	s_xor_b32 exec_lo, exec_lo, s72
	s_cbranch_execz .LBB6_8552
.LBB6_10255:                            ;   in Loop: Header=BB6_7994 Depth=3
	v_cmp_ne_u16_sdwa s73, v9, v2 src0_sel:BYTE_3 src1_sel:DWORD
	v_mov_b32_e32 v4, 0
	s_andn2_b32 s16, s16, exec_lo
	s_and_b32 s73, s73, exec_lo
	s_or_b32 s16, s16, s73
	s_or_b32 exec_lo, exec_lo, s72
	s_and_saveexec_b32 s72, s16
	s_cbranch_execnz .LBB6_8553
	s_branch .LBB6_8554
.LBB6_10256:                            ;   in Loop: Header=BB6_7994 Depth=3
	s_or_saveexec_b32 s16, s16
	v_mov_b32_e32 v4, 0x7f800001
	s_xor_b32 exec_lo, exec_lo, s16
	s_cbranch_execz .LBB6_8566
.LBB6_10257:                            ;   in Loop: Header=BB6_7994 Depth=3
	v_cmp_ne_u16_sdwa s73, v10, v2 src0_sel:BYTE_0 src1_sel:DWORD
	v_mov_b32_e32 v4, 0
	s_andn2_b32 s72, s72, exec_lo
	s_and_b32 s73, s73, exec_lo
	s_or_b32 s72, s72, s73
	s_or_b32 exec_lo, exec_lo, s16
	s_and_saveexec_b32 s16, s72
	s_cbranch_execnz .LBB6_8567
	s_branch .LBB6_8568
.LBB6_10258:                            ;   in Loop: Header=BB6_7994 Depth=3
	s_or_saveexec_b32 s72, s72
	v_mov_b32_e32 v4, 0x7f800001
	s_xor_b32 exec_lo, exec_lo, s72
	s_cbranch_execz .LBB6_8580
.LBB6_10259:                            ;   in Loop: Header=BB6_7994 Depth=3
	v_cmp_ne_u16_sdwa s73, v10, v2 src0_sel:BYTE_1 src1_sel:DWORD
	v_mov_b32_e32 v4, 0
	s_andn2_b32 s16, s16, exec_lo
	s_and_b32 s73, s73, exec_lo
	s_or_b32 s16, s16, s73
	s_or_b32 exec_lo, exec_lo, s72
	s_and_saveexec_b32 s72, s16
	s_cbranch_execnz .LBB6_8581
	s_branch .LBB6_8582
.LBB6_10260:                            ;   in Loop: Header=BB6_7994 Depth=3
	s_or_saveexec_b32 s16, s16
	v_mov_b32_e32 v4, 0x7f800001
	s_xor_b32 exec_lo, exec_lo, s16
	s_cbranch_execz .LBB6_8594
.LBB6_10261:                            ;   in Loop: Header=BB6_7994 Depth=3
	v_cmp_ne_u16_e32 vcc_lo, 0, v5
	v_mov_b32_e32 v4, 0
	s_andn2_b32 s72, s72, exec_lo
	s_and_b32 s73, vcc_lo, exec_lo
	s_or_b32 s72, s72, s73
	s_or_b32 exec_lo, exec_lo, s16
	s_and_saveexec_b32 s16, s72
	s_cbranch_execnz .LBB6_8595
	s_branch .LBB6_8596
.LBB6_10262:                            ;   in Loop: Header=BB6_7994 Depth=3
	s_or_saveexec_b32 s72, s72
	v_mov_b32_e32 v4, 0x7f800001
	s_xor_b32 exec_lo, exec_lo, s72
	s_cbranch_execz .LBB6_8608
.LBB6_10263:                            ;   in Loop: Header=BB6_7994 Depth=3
	v_cmp_ne_u16_sdwa s73, v10, v2 src0_sel:BYTE_3 src1_sel:DWORD
	v_mov_b32_e32 v4, 0
	s_andn2_b32 s16, s16, exec_lo
	s_and_b32 s73, s73, exec_lo
	s_or_b32 s16, s16, s73
	s_or_b32 exec_lo, exec_lo, s72
	s_and_saveexec_b32 s72, s16
	s_cbranch_execnz .LBB6_8609
	s_branch .LBB6_8610
.LBB6_10264:                            ;   in Loop: Header=BB6_7994 Depth=3
	s_or_saveexec_b32 s16, s16
	v_mov_b32_e32 v4, 0x7f800001
	s_xor_b32 exec_lo, exec_lo, s16
	s_cbranch_execz .LBB6_8622
.LBB6_10265:                            ;   in Loop: Header=BB6_7994 Depth=3
	v_cmp_ne_u16_sdwa s73, v11, v2 src0_sel:BYTE_0 src1_sel:DWORD
	v_mov_b32_e32 v4, 0
	s_andn2_b32 s72, s72, exec_lo
	s_and_b32 s73, s73, exec_lo
	s_or_b32 s72, s72, s73
	s_or_b32 exec_lo, exec_lo, s16
	s_and_saveexec_b32 s16, s72
	s_cbranch_execnz .LBB6_8623
	s_branch .LBB6_8624
.LBB6_10266:                            ;   in Loop: Header=BB6_7994 Depth=3
	s_or_saveexec_b32 s72, s72
	v_mov_b32_e32 v4, 0x7f800001
	s_xor_b32 exec_lo, exec_lo, s72
	s_cbranch_execz .LBB6_8636
.LBB6_10267:                            ;   in Loop: Header=BB6_7994 Depth=3
	v_cmp_ne_u16_sdwa s73, v11, v2 src0_sel:BYTE_1 src1_sel:DWORD
	v_mov_b32_e32 v4, 0
	s_andn2_b32 s16, s16, exec_lo
	s_and_b32 s73, s73, exec_lo
	s_or_b32 s16, s16, s73
	s_or_b32 exec_lo, exec_lo, s72
	s_and_saveexec_b32 s72, s16
	s_cbranch_execnz .LBB6_8637
	s_branch .LBB6_8638
.LBB6_10268:                            ;   in Loop: Header=BB6_7994 Depth=3
	s_or_saveexec_b32 s16, s16
	v_mov_b32_e32 v4, 0x7f800001
	s_xor_b32 exec_lo, exec_lo, s16
	s_cbranch_execz .LBB6_8650
.LBB6_10269:                            ;   in Loop: Header=BB6_7994 Depth=3
	v_cmp_ne_u16_e32 vcc_lo, 0, v5
	v_mov_b32_e32 v4, 0
	s_andn2_b32 s72, s72, exec_lo
	s_and_b32 s73, vcc_lo, exec_lo
	s_or_b32 s72, s72, s73
	s_or_b32 exec_lo, exec_lo, s16
	s_and_saveexec_b32 s16, s72
	s_cbranch_execnz .LBB6_8651
	s_branch .LBB6_8652
.LBB6_10270:                            ;   in Loop: Header=BB6_7994 Depth=3
	s_or_saveexec_b32 s72, s72
	v_mov_b32_e32 v4, 0x7f800001
	s_xor_b32 exec_lo, exec_lo, s72
	s_cbranch_execz .LBB6_8664
.LBB6_10271:                            ;   in Loop: Header=BB6_7994 Depth=3
	v_cmp_ne_u16_sdwa s73, v11, v2 src0_sel:BYTE_3 src1_sel:DWORD
	v_mov_b32_e32 v4, 0
	s_andn2_b32 s16, s16, exec_lo
	s_and_b32 s73, s73, exec_lo
	s_or_b32 s16, s16, s73
	s_or_b32 exec_lo, exec_lo, s72
	s_and_saveexec_b32 s72, s16
	s_cbranch_execnz .LBB6_8665
	s_branch .LBB6_8666
.LBB6_10272:                            ;   in Loop: Header=BB6_7994 Depth=3
	s_or_saveexec_b32 s16, s16
	v_mov_b32_e32 v4, 0x7f800001
	s_xor_b32 exec_lo, exec_lo, s16
	s_cbranch_execz .LBB6_8678
.LBB6_10273:                            ;   in Loop: Header=BB6_7994 Depth=3
	v_cmp_ne_u16_sdwa s73, v8, v2 src0_sel:BYTE_0 src1_sel:DWORD
	v_mov_b32_e32 v4, 0
	s_andn2_b32 s72, s72, exec_lo
	s_and_b32 s73, s73, exec_lo
	s_or_b32 s72, s72, s73
	s_or_b32 exec_lo, exec_lo, s16
	s_and_saveexec_b32 s16, s72
	s_cbranch_execnz .LBB6_8679
	s_branch .LBB6_8680
.LBB6_10274:                            ;   in Loop: Header=BB6_7994 Depth=3
	s_or_saveexec_b32 s72, s72
	v_mov_b32_e32 v4, 0x7f800001
	s_xor_b32 exec_lo, exec_lo, s72
	s_cbranch_execz .LBB6_8692
.LBB6_10275:                            ;   in Loop: Header=BB6_7994 Depth=3
	v_cmp_ne_u16_sdwa s73, v8, v2 src0_sel:BYTE_1 src1_sel:DWORD
	v_mov_b32_e32 v4, 0
	s_andn2_b32 s16, s16, exec_lo
	s_and_b32 s73, s73, exec_lo
	s_or_b32 s16, s16, s73
	s_or_b32 exec_lo, exec_lo, s72
	s_and_saveexec_b32 s72, s16
	s_cbranch_execnz .LBB6_8693
	s_branch .LBB6_8694
.LBB6_10276:                            ;   in Loop: Header=BB6_7994 Depth=3
	s_or_saveexec_b32 s16, s16
	v_mov_b32_e32 v4, 0x7f800001
	s_xor_b32 exec_lo, exec_lo, s16
	s_cbranch_execz .LBB6_8706
.LBB6_10277:                            ;   in Loop: Header=BB6_7994 Depth=3
	v_cmp_ne_u16_e32 vcc_lo, 0, v5
	v_mov_b32_e32 v4, 0
	s_andn2_b32 s72, s72, exec_lo
	s_and_b32 s73, vcc_lo, exec_lo
	s_or_b32 s72, s72, s73
	s_or_b32 exec_lo, exec_lo, s16
	s_and_saveexec_b32 s16, s72
	s_cbranch_execnz .LBB6_8707
	s_branch .LBB6_8708
.LBB6_10278:                            ;   in Loop: Header=BB6_7994 Depth=3
	s_or_saveexec_b32 s72, s72
	v_mov_b32_e32 v4, 0x7f800001
	s_xor_b32 exec_lo, exec_lo, s72
	s_cbranch_execz .LBB6_8720
.LBB6_10279:                            ;   in Loop: Header=BB6_7994 Depth=3
	v_cmp_ne_u16_sdwa s73, v8, v2 src0_sel:BYTE_3 src1_sel:DWORD
	v_mov_b32_e32 v4, 0
	s_andn2_b32 s16, s16, exec_lo
	s_and_b32 s73, s73, exec_lo
	s_or_b32 s16, s16, s73
	s_or_b32 exec_lo, exec_lo, s72
	s_and_saveexec_b32 s72, s16
	s_cbranch_execnz .LBB6_8721
	s_branch .LBB6_8722
.LBB6_10280:                            ;   in Loop: Header=BB6_7994 Depth=3
	s_or_saveexec_b32 s16, s16
	v_mov_b32_e32 v4, 0x7f800001
	s_xor_b32 exec_lo, exec_lo, s16
	s_cbranch_execz .LBB6_8734
.LBB6_10281:                            ;   in Loop: Header=BB6_7994 Depth=3
	v_cmp_ne_u16_sdwa s73, v9, v2 src0_sel:BYTE_0 src1_sel:DWORD
	v_mov_b32_e32 v4, 0
	s_andn2_b32 s72, s72, exec_lo
	s_and_b32 s73, s73, exec_lo
	s_or_b32 s72, s72, s73
	s_or_b32 exec_lo, exec_lo, s16
	s_and_saveexec_b32 s16, s72
	s_cbranch_execnz .LBB6_8735
	s_branch .LBB6_8736
.LBB6_10282:                            ;   in Loop: Header=BB6_7994 Depth=3
	s_or_saveexec_b32 s72, s72
	v_mov_b32_e32 v4, 0x7f800001
	s_xor_b32 exec_lo, exec_lo, s72
	s_cbranch_execz .LBB6_8748
.LBB6_10283:                            ;   in Loop: Header=BB6_7994 Depth=3
	v_cmp_ne_u16_sdwa s73, v9, v2 src0_sel:BYTE_1 src1_sel:DWORD
	v_mov_b32_e32 v4, 0
	s_andn2_b32 s16, s16, exec_lo
	s_and_b32 s73, s73, exec_lo
	s_or_b32 s16, s16, s73
	s_or_b32 exec_lo, exec_lo, s72
	s_and_saveexec_b32 s72, s16
	s_cbranch_execnz .LBB6_8749
	s_branch .LBB6_8750
.LBB6_10284:                            ;   in Loop: Header=BB6_7994 Depth=3
	s_or_saveexec_b32 s16, s16
	v_mov_b32_e32 v4, 0x7f800001
	s_xor_b32 exec_lo, exec_lo, s16
	s_cbranch_execz .LBB6_8762
.LBB6_10285:                            ;   in Loop: Header=BB6_7994 Depth=3
	v_cmp_ne_u16_e32 vcc_lo, 0, v6
	v_mov_b32_e32 v4, 0
	s_andn2_b32 s72, s72, exec_lo
	s_and_b32 s73, vcc_lo, exec_lo
	s_or_b32 s72, s72, s73
	s_or_b32 exec_lo, exec_lo, s16
	s_and_saveexec_b32 s16, s72
	s_cbranch_execnz .LBB6_8763
	s_branch .LBB6_8764
.LBB6_10286:                            ;   in Loop: Header=BB6_7994 Depth=3
	s_or_saveexec_b32 s72, s72
	v_mov_b32_e32 v4, 0x7f800001
	s_xor_b32 exec_lo, exec_lo, s72
	s_cbranch_execz .LBB6_8776
.LBB6_10287:                            ;   in Loop: Header=BB6_7994 Depth=3
	v_cmp_ne_u16_sdwa s73, v9, v2 src0_sel:BYTE_3 src1_sel:DWORD
	v_mov_b32_e32 v4, 0
	s_andn2_b32 s16, s16, exec_lo
	s_and_b32 s73, s73, exec_lo
	s_or_b32 s16, s16, s73
	s_or_b32 exec_lo, exec_lo, s72
	s_and_saveexec_b32 s72, s16
	s_cbranch_execnz .LBB6_8777
	s_branch .LBB6_8778
.LBB6_10288:                            ;   in Loop: Header=BB6_7994 Depth=3
	s_or_saveexec_b32 s16, s16
	v_mov_b32_e32 v6, 0x7f800001
	s_xor_b32 exec_lo, exec_lo, s16
	s_cbranch_execz .LBB6_8790
.LBB6_10289:                            ;   in Loop: Header=BB6_7994 Depth=3
	v_cmp_ne_u16_sdwa s73, v10, v2 src0_sel:BYTE_0 src1_sel:DWORD
	v_mov_b32_e32 v6, 0
	s_andn2_b32 s72, s72, exec_lo
	s_and_b32 s73, s73, exec_lo
	s_or_b32 s72, s72, s73
	s_or_b32 exec_lo, exec_lo, s16
	s_and_saveexec_b32 s16, s72
	s_cbranch_execnz .LBB6_8791
	s_branch .LBB6_8792
.LBB6_10290:                            ;   in Loop: Header=BB6_7994 Depth=3
	s_or_saveexec_b32 s72, s72
	v_mov_b32_e32 v6, 0x7f800001
	s_xor_b32 exec_lo, exec_lo, s72
	s_cbranch_execz .LBB6_8804
.LBB6_10291:                            ;   in Loop: Header=BB6_7994 Depth=3
	v_cmp_ne_u16_sdwa s73, v10, v2 src0_sel:BYTE_1 src1_sel:DWORD
	v_mov_b32_e32 v6, 0
	s_andn2_b32 s16, s16, exec_lo
	s_and_b32 s73, s73, exec_lo
	s_or_b32 s16, s16, s73
	s_or_b32 exec_lo, exec_lo, s72
	s_and_saveexec_b32 s72, s16
	s_cbranch_execnz .LBB6_8805
	s_branch .LBB6_8806
.LBB6_10292:                            ;   in Loop: Header=BB6_7994 Depth=3
	s_or_saveexec_b32 s16, s16
	v_mov_b32_e32 v6, 0x7f800001
	s_xor_b32 exec_lo, exec_lo, s16
	s_cbranch_execz .LBB6_8818
.LBB6_10293:                            ;   in Loop: Header=BB6_7994 Depth=3
	v_cmp_ne_u16_e32 vcc_lo, 0, v7
	v_mov_b32_e32 v6, 0
	s_andn2_b32 s72, s72, exec_lo
	s_and_b32 s73, vcc_lo, exec_lo
	s_or_b32 s72, s72, s73
	s_or_b32 exec_lo, exec_lo, s16
	s_and_saveexec_b32 s16, s72
	s_cbranch_execnz .LBB6_8819
	s_branch .LBB6_8820
.LBB6_10294:                            ;   in Loop: Header=BB6_7994 Depth=3
	s_or_saveexec_b32 s72, s72
	v_mov_b32_e32 v6, 0x7f800001
	s_xor_b32 exec_lo, exec_lo, s72
	s_cbranch_execz .LBB6_8832
.LBB6_10295:                            ;   in Loop: Header=BB6_7994 Depth=3
	v_cmp_ne_u16_sdwa s73, v10, v2 src0_sel:BYTE_3 src1_sel:DWORD
	v_mov_b32_e32 v6, 0
	s_andn2_b32 s16, s16, exec_lo
	s_and_b32 s73, s73, exec_lo
	s_or_b32 s16, s16, s73
	s_or_b32 exec_lo, exec_lo, s72
	s_and_saveexec_b32 s72, s16
	s_cbranch_execnz .LBB6_8833
	s_branch .LBB6_8834
.LBB6_10296:                            ;   in Loop: Header=BB6_7994 Depth=3
	s_or_saveexec_b32 s16, s16
	v_mov_b32_e32 v6, 0x7f800001
	s_xor_b32 exec_lo, exec_lo, s16
	s_cbranch_execz .LBB6_8846
.LBB6_10297:                            ;   in Loop: Header=BB6_7994 Depth=3
	v_cmp_ne_u16_sdwa s73, v11, v2 src0_sel:BYTE_0 src1_sel:DWORD
	v_mov_b32_e32 v6, 0
	s_andn2_b32 s72, s72, exec_lo
	s_and_b32 s73, s73, exec_lo
	s_or_b32 s72, s72, s73
	s_or_b32 exec_lo, exec_lo, s16
	s_and_saveexec_b32 s16, s72
	s_cbranch_execnz .LBB6_8847
	s_branch .LBB6_8848
.LBB6_10298:                            ;   in Loop: Header=BB6_7994 Depth=3
	s_or_saveexec_b32 s72, s72
	v_mov_b32_e32 v6, 0x7f800001
	s_xor_b32 exec_lo, exec_lo, s72
	s_cbranch_execz .LBB6_8860
.LBB6_10299:                            ;   in Loop: Header=BB6_7994 Depth=3
	v_cmp_ne_u16_sdwa s73, v11, v2 src0_sel:BYTE_1 src1_sel:DWORD
	v_mov_b32_e32 v6, 0
	s_andn2_b32 s16, s16, exec_lo
	s_and_b32 s73, s73, exec_lo
	s_or_b32 s16, s16, s73
	s_or_b32 exec_lo, exec_lo, s72
	s_and_saveexec_b32 s72, s16
	s_cbranch_execnz .LBB6_8861
	s_branch .LBB6_8862
.LBB6_10300:                            ;   in Loop: Header=BB6_7994 Depth=3
	s_or_saveexec_b32 s16, s16
	v_mov_b32_e32 v6, 0x7f800001
	s_xor_b32 exec_lo, exec_lo, s16
	s_cbranch_execz .LBB6_8874
.LBB6_10301:                            ;   in Loop: Header=BB6_7994 Depth=3
	v_cmp_ne_u16_e32 vcc_lo, 0, v7
	v_mov_b32_e32 v6, 0
	s_andn2_b32 s72, s72, exec_lo
	s_and_b32 s73, vcc_lo, exec_lo
	s_or_b32 s72, s72, s73
	s_or_b32 exec_lo, exec_lo, s16
	s_and_saveexec_b32 s16, s72
	s_cbranch_execnz .LBB6_8875
	s_branch .LBB6_8876
.LBB6_10302:                            ;   in Loop: Header=BB6_7994 Depth=3
	s_or_saveexec_b32 s72, s72
	v_mov_b32_e32 v6, 0x7f800001
	s_xor_b32 exec_lo, exec_lo, s72
	s_cbranch_execz .LBB6_8888
.LBB6_10303:                            ;   in Loop: Header=BB6_7994 Depth=3
	v_cmp_ne_u16_sdwa s73, v11, v2 src0_sel:BYTE_3 src1_sel:DWORD
	v_mov_b32_e32 v6, 0
	s_andn2_b32 s16, s16, exec_lo
	s_and_b32 s73, s73, exec_lo
	s_or_b32 s16, s16, s73
	s_or_b32 exec_lo, exec_lo, s72
	s_and_saveexec_b32 s72, s16
	s_cbranch_execnz .LBB6_8889
	s_branch .LBB6_8890
.LBB6_10304:                            ;   in Loop: Header=BB6_7994 Depth=3
	s_or_saveexec_b32 s16, s16
	v_mov_b32_e32 v7, 0x7f800001
	s_xor_b32 exec_lo, exec_lo, s16
	s_cbranch_execz .LBB6_8902
.LBB6_10305:                            ;   in Loop: Header=BB6_7994 Depth=3
	v_cmp_ne_u16_sdwa s72, v6, v2 src0_sel:BYTE_0 src1_sel:DWORD
	v_mov_b32_e32 v7, 0
	s_andn2_b32 s23, s23, exec_lo
	s_and_b32 s72, s72, exec_lo
	s_or_b32 s23, s23, s72
	s_or_b32 exec_lo, exec_lo, s16
	s_and_saveexec_b32 s16, s23
	s_cbranch_execnz .LBB6_8903
	s_branch .LBB6_8904
.LBB6_10306:                            ;   in Loop: Header=BB6_7994 Depth=3
	s_or_saveexec_b32 s16, s16
	v_mov_b32_e32 v24, 0x7f800001
	s_xor_b32 exec_lo, exec_lo, s16
	s_cbranch_execz .LBB6_8908
.LBB6_10307:                            ;   in Loop: Header=BB6_7994 Depth=3
	v_cmp_ne_u16_sdwa s72, v20, v2 src0_sel:BYTE_0 src1_sel:DWORD
	v_mov_b32_e32 v24, 0
	s_andn2_b32 s23, s23, exec_lo
	s_and_b32 s72, s72, exec_lo
	s_or_b32 s23, s23, s72
	s_or_b32 exec_lo, exec_lo, s16
	s_and_saveexec_b32 s16, s23
	s_cbranch_execnz .LBB6_8909
	s_branch .LBB6_8910
.LBB6_10308:                            ;   in Loop: Header=BB6_7994 Depth=3
	s_or_saveexec_b32 s16, s16
	v_mov_b32_e32 v7, 0x7f800001
	s_xor_b32 exec_lo, exec_lo, s16
	s_cbranch_execz .LBB6_8922
.LBB6_10309:                            ;   in Loop: Header=BB6_7994 Depth=3
	v_cmp_ne_u16_sdwa s72, v6, v2 src0_sel:BYTE_1 src1_sel:DWORD
	v_mov_b32_e32 v7, 0
	s_andn2_b32 s23, s23, exec_lo
	s_and_b32 s72, s72, exec_lo
	s_or_b32 s23, s23, s72
	s_or_b32 exec_lo, exec_lo, s16
	s_and_saveexec_b32 s16, s23
	s_cbranch_execnz .LBB6_8923
	s_branch .LBB6_8924
.LBB6_10310:                            ;   in Loop: Header=BB6_7994 Depth=3
	s_or_saveexec_b32 s16, s16
	v_mov_b32_e32 v27, 0x7f800001
	s_xor_b32 exec_lo, exec_lo, s16
	s_cbranch_execz .LBB6_8928
.LBB6_10311:                            ;   in Loop: Header=BB6_7994 Depth=3
	v_cmp_ne_u16_sdwa s72, v20, v2 src0_sel:BYTE_1 src1_sel:DWORD
	v_mov_b32_e32 v27, 0
	s_andn2_b32 s23, s23, exec_lo
	s_and_b32 s72, s72, exec_lo
	s_or_b32 s23, s23, s72
	s_or_b32 exec_lo, exec_lo, s16
	s_and_saveexec_b32 s16, s23
	s_cbranch_execnz .LBB6_8929
	s_branch .LBB6_8930
.LBB6_10312:                            ;   in Loop: Header=BB6_7994 Depth=3
	s_or_saveexec_b32 s16, s16
	v_mov_b32_e32 v7, 0x7f800001
	s_xor_b32 exec_lo, exec_lo, s16
	s_cbranch_execz .LBB6_8942
.LBB6_10313:                            ;   in Loop: Header=BB6_7994 Depth=3
	v_cmp_ne_u16_sdwa s72, v36, v2 src0_sel:BYTE_0 src1_sel:DWORD
	v_mov_b32_e32 v7, 0
	s_andn2_b32 s23, s23, exec_lo
	s_and_b32 s72, s72, exec_lo
	s_or_b32 s23, s23, s72
	s_or_b32 exec_lo, exec_lo, s16
	v_lshl_or_b32 v6, v36, 16, v6
	s_and_saveexec_b32 s16, s23
	s_cbranch_execnz .LBB6_8943
	s_branch .LBB6_8944
.LBB6_10314:                            ;   in Loop: Header=BB6_7994 Depth=3
	s_or_saveexec_b32 s16, s16
	v_mov_b32_e32 v36, 0x7f800001
	s_xor_b32 exec_lo, exec_lo, s16
	s_cbranch_execz .LBB6_8948
.LBB6_10315:                            ;   in Loop: Header=BB6_7994 Depth=3
	v_cmp_ne_u16_e32 vcc_lo, 0, v37
	v_mov_b32_e32 v36, 0
	s_andn2_b32 s23, s23, exec_lo
	s_and_b32 s72, vcc_lo, exec_lo
	s_or_b32 s23, s23, s72
	s_or_b32 exec_lo, exec_lo, s16
	s_and_saveexec_b32 s16, s23
	s_cbranch_execnz .LBB6_8949
	s_branch .LBB6_8950
.LBB6_10316:                            ;   in Loop: Header=BB6_7994 Depth=3
	s_or_saveexec_b32 s16, s16
	v_mov_b32_e32 v7, 0x7f800001
	s_xor_b32 exec_lo, exec_lo, s16
	s_cbranch_execz .LBB6_8962
.LBB6_10317:                            ;   in Loop: Header=BB6_7994 Depth=3
	v_cmp_ne_u16_sdwa s72, v6, v2 src0_sel:BYTE_3 src1_sel:DWORD
	v_mov_b32_e32 v7, 0
	s_andn2_b32 s23, s23, exec_lo
	s_and_b32 s72, s72, exec_lo
	s_or_b32 s23, s23, s72
	s_or_b32 exec_lo, exec_lo, s16
	s_and_saveexec_b32 s16, s23
	s_cbranch_execnz .LBB6_8963
	s_branch .LBB6_8964
.LBB6_10318:                            ;   in Loop: Header=BB6_7994 Depth=3
	s_or_saveexec_b32 s16, s16
	v_mov_b32_e32 v6, 0x7f800001
	s_xor_b32 exec_lo, exec_lo, s16
	s_cbranch_execz .LBB6_8968
.LBB6_10319:                            ;   in Loop: Header=BB6_7994 Depth=3
	v_cmp_ne_u16_sdwa s72, v20, v2 src0_sel:BYTE_3 src1_sel:DWORD
	v_mov_b32_e32 v6, 0
	s_andn2_b32 s23, s23, exec_lo
	s_and_b32 s72, s72, exec_lo
	s_or_b32 s23, s23, s72
	s_or_b32 exec_lo, exec_lo, s16
	s_and_saveexec_b32 s16, s23
	s_cbranch_execnz .LBB6_8969
	s_branch .LBB6_8970
.LBB6_10320:                            ;   in Loop: Header=BB6_7994 Depth=3
	s_or_saveexec_b32 s16, s16
	v_mov_b32_e32 v7, 0x7f800001
	s_xor_b32 exec_lo, exec_lo, s16
	s_cbranch_execz .LBB6_8982
.LBB6_10321:                            ;   in Loop: Header=BB6_7994 Depth=3
	v_cmp_ne_u16_sdwa s72, v6, v2 src0_sel:BYTE_0 src1_sel:DWORD
	v_mov_b32_e32 v7, 0
	s_andn2_b32 s23, s23, exec_lo
	s_and_b32 s72, s72, exec_lo
	s_or_b32 s23, s23, s72
	s_or_b32 exec_lo, exec_lo, s16
	s_and_saveexec_b32 s16, s23
	s_cbranch_execnz .LBB6_8983
	s_branch .LBB6_8984
.LBB6_10322:                            ;   in Loop: Header=BB6_7994 Depth=3
	s_or_saveexec_b32 s16, s16
	v_mov_b32_e32 v36, 0x7f800001
	s_xor_b32 exec_lo, exec_lo, s16
	s_cbranch_execz .LBB6_8988
.LBB6_10323:                            ;   in Loop: Header=BB6_7994 Depth=3
	v_cmp_ne_u16_sdwa s72, v21, v2 src0_sel:BYTE_0 src1_sel:DWORD
	v_mov_b32_e32 v36, 0
	s_andn2_b32 s23, s23, exec_lo
	s_and_b32 s72, s72, exec_lo
	s_or_b32 s23, s23, s72
	s_or_b32 exec_lo, exec_lo, s16
	s_and_saveexec_b32 s16, s23
	s_cbranch_execnz .LBB6_8989
	s_branch .LBB6_8990
.LBB6_10324:                            ;   in Loop: Header=BB6_7994 Depth=3
	s_or_saveexec_b32 s16, s16
	v_mov_b32_e32 v7, 0x7f800001
	s_xor_b32 exec_lo, exec_lo, s16
	s_cbranch_execz .LBB6_9002
.LBB6_10325:                            ;   in Loop: Header=BB6_7994 Depth=3
	v_cmp_ne_u16_sdwa s72, v6, v2 src0_sel:BYTE_1 src1_sel:DWORD
	v_mov_b32_e32 v7, 0
	s_andn2_b32 s23, s23, exec_lo
	s_and_b32 s72, s72, exec_lo
	s_or_b32 s23, s23, s72
	s_or_b32 exec_lo, exec_lo, s16
	s_and_saveexec_b32 s16, s23
	s_cbranch_execnz .LBB6_9003
	s_branch .LBB6_9004
.LBB6_10326:                            ;   in Loop: Header=BB6_7994 Depth=3
	s_or_saveexec_b32 s16, s16
	v_mov_b32_e32 v36, 0x7f800001
	s_xor_b32 exec_lo, exec_lo, s16
	s_cbranch_execz .LBB6_9008
.LBB6_10327:                            ;   in Loop: Header=BB6_7994 Depth=3
	v_cmp_ne_u16_sdwa s72, v21, v2 src0_sel:BYTE_1 src1_sel:DWORD
	v_mov_b32_e32 v36, 0
	s_andn2_b32 s23, s23, exec_lo
	s_and_b32 s72, s72, exec_lo
	s_or_b32 s23, s23, s72
	s_or_b32 exec_lo, exec_lo, s16
	s_and_saveexec_b32 s16, s23
	s_cbranch_execnz .LBB6_9009
	s_branch .LBB6_9010
.LBB6_10328:                            ;   in Loop: Header=BB6_7994 Depth=3
	s_or_saveexec_b32 s16, s16
	v_mov_b32_e32 v7, 0x7f800001
	s_xor_b32 exec_lo, exec_lo, s16
	s_cbranch_execz .LBB6_9022
.LBB6_10329:                            ;   in Loop: Header=BB6_7994 Depth=3
	v_cmp_ne_u16_sdwa s72, v36, v2 src0_sel:BYTE_0 src1_sel:DWORD
	v_mov_b32_e32 v7, 0
	s_andn2_b32 s23, s23, exec_lo
	s_and_b32 s72, s72, exec_lo
	s_or_b32 s23, s23, s72
	s_or_b32 exec_lo, exec_lo, s16
	v_lshl_or_b32 v6, v36, 16, v6
	s_and_saveexec_b32 s16, s23
	s_cbranch_execnz .LBB6_9023
	s_branch .LBB6_9024
.LBB6_10330:                            ;   in Loop: Header=BB6_7994 Depth=3
	s_or_saveexec_b32 s16, s16
	v_mov_b32_e32 v36, 0x7f800001
	s_xor_b32 exec_lo, exec_lo, s16
	s_cbranch_execz .LBB6_9028
.LBB6_10331:                            ;   in Loop: Header=BB6_7994 Depth=3
	v_cmp_ne_u16_e32 vcc_lo, 0, v37
	v_mov_b32_e32 v36, 0
	s_andn2_b32 s23, s23, exec_lo
	s_and_b32 s72, vcc_lo, exec_lo
	s_or_b32 s23, s23, s72
	s_or_b32 exec_lo, exec_lo, s16
	s_and_saveexec_b32 s16, s23
	s_cbranch_execnz .LBB6_9029
	s_branch .LBB6_9030
.LBB6_10332:                            ;   in Loop: Header=BB6_7994 Depth=3
	s_or_saveexec_b32 s16, s16
	v_mov_b32_e32 v7, 0x7f800001
	s_xor_b32 exec_lo, exec_lo, s16
	s_cbranch_execz .LBB6_9042
.LBB6_10333:                            ;   in Loop: Header=BB6_7994 Depth=3
	v_cmp_ne_u16_sdwa s72, v6, v2 src0_sel:BYTE_3 src1_sel:DWORD
	v_mov_b32_e32 v7, 0
	s_andn2_b32 s23, s23, exec_lo
	s_and_b32 s72, s72, exec_lo
	s_or_b32 s23, s23, s72
	s_or_b32 exec_lo, exec_lo, s16
	s_and_saveexec_b32 s16, s23
	s_cbranch_execnz .LBB6_9043
	s_branch .LBB6_9044
.LBB6_10334:                            ;   in Loop: Header=BB6_7994 Depth=3
	s_or_saveexec_b32 s16, s16
	v_mov_b32_e32 v6, 0x7f800001
	s_xor_b32 exec_lo, exec_lo, s16
	s_cbranch_execz .LBB6_9048
.LBB6_10335:                            ;   in Loop: Header=BB6_7994 Depth=3
	v_cmp_ne_u16_sdwa s72, v21, v2 src0_sel:BYTE_3 src1_sel:DWORD
	v_mov_b32_e32 v6, 0
	s_andn2_b32 s23, s23, exec_lo
	s_and_b32 s72, s72, exec_lo
	s_or_b32 s23, s23, s72
	s_or_b32 exec_lo, exec_lo, s16
	s_and_saveexec_b32 s16, s23
	s_cbranch_execnz .LBB6_9049
	s_branch .LBB6_9050
.LBB6_10336:                            ;   in Loop: Header=BB6_7994 Depth=3
	s_or_saveexec_b32 s16, s16
	v_mov_b32_e32 v7, 0x7f800001
	s_xor_b32 exec_lo, exec_lo, s16
	s_cbranch_execz .LBB6_9062
.LBB6_10337:                            ;   in Loop: Header=BB6_7994 Depth=3
	v_cmp_ne_u16_sdwa s72, v6, v2 src0_sel:BYTE_0 src1_sel:DWORD
	v_mov_b32_e32 v7, 0
	s_andn2_b32 s23, s23, exec_lo
	s_and_b32 s72, s72, exec_lo
	s_or_b32 s23, s23, s72
	s_or_b32 exec_lo, exec_lo, s16
	s_and_saveexec_b32 s16, s23
	s_cbranch_execnz .LBB6_9063
	s_branch .LBB6_9064
.LBB6_10338:                            ;   in Loop: Header=BB6_7994 Depth=3
	s_or_saveexec_b32 s16, s16
	v_mov_b32_e32 v36, 0x7f800001
	s_xor_b32 exec_lo, exec_lo, s16
	s_cbranch_execz .LBB6_9068
.LBB6_10339:                            ;   in Loop: Header=BB6_7994 Depth=3
	v_cmp_ne_u16_sdwa s72, v22, v2 src0_sel:BYTE_0 src1_sel:DWORD
	v_mov_b32_e32 v36, 0
	s_andn2_b32 s23, s23, exec_lo
	s_and_b32 s72, s72, exec_lo
	s_or_b32 s23, s23, s72
	s_or_b32 exec_lo, exec_lo, s16
	s_and_saveexec_b32 s16, s23
	s_cbranch_execnz .LBB6_9069
	s_branch .LBB6_9070
.LBB6_10340:                            ;   in Loop: Header=BB6_7994 Depth=3
	s_or_saveexec_b32 s16, s16
	v_mov_b32_e32 v7, 0x7f800001
	s_xor_b32 exec_lo, exec_lo, s16
	s_cbranch_execz .LBB6_9082
.LBB6_10341:                            ;   in Loop: Header=BB6_7994 Depth=3
	v_cmp_ne_u16_sdwa s72, v6, v2 src0_sel:BYTE_1 src1_sel:DWORD
	v_mov_b32_e32 v7, 0
	s_andn2_b32 s23, s23, exec_lo
	s_and_b32 s72, s72, exec_lo
	s_or_b32 s23, s23, s72
	s_or_b32 exec_lo, exec_lo, s16
	s_and_saveexec_b32 s16, s23
	s_cbranch_execnz .LBB6_9083
	s_branch .LBB6_9084
.LBB6_10342:                            ;   in Loop: Header=BB6_7994 Depth=3
	s_or_saveexec_b32 s16, s16
	v_mov_b32_e32 v36, 0x7f800001
	s_xor_b32 exec_lo, exec_lo, s16
	s_cbranch_execz .LBB6_9088
.LBB6_10343:                            ;   in Loop: Header=BB6_7994 Depth=3
	v_cmp_ne_u16_sdwa s72, v22, v2 src0_sel:BYTE_1 src1_sel:DWORD
	v_mov_b32_e32 v36, 0
	s_andn2_b32 s23, s23, exec_lo
	s_and_b32 s72, s72, exec_lo
	s_or_b32 s23, s23, s72
	s_or_b32 exec_lo, exec_lo, s16
	s_and_saveexec_b32 s16, s23
	s_cbranch_execnz .LBB6_9089
	s_branch .LBB6_9090
.LBB6_10344:                            ;   in Loop: Header=BB6_7994 Depth=3
	s_or_saveexec_b32 s16, s16
	v_mov_b32_e32 v7, 0x7f800001
	s_xor_b32 exec_lo, exec_lo, s16
	s_cbranch_execz .LBB6_9102
.LBB6_10345:                            ;   in Loop: Header=BB6_7994 Depth=3
	v_cmp_ne_u16_sdwa s72, v36, v2 src0_sel:BYTE_0 src1_sel:DWORD
	v_mov_b32_e32 v7, 0
	s_andn2_b32 s23, s23, exec_lo
	s_and_b32 s72, s72, exec_lo
	s_or_b32 s23, s23, s72
	s_or_b32 exec_lo, exec_lo, s16
	v_lshl_or_b32 v6, v36, 16, v6
	s_and_saveexec_b32 s16, s23
	s_cbranch_execnz .LBB6_9103
	s_branch .LBB6_9104
.LBB6_10346:                            ;   in Loop: Header=BB6_7994 Depth=3
	s_or_saveexec_b32 s16, s16
	v_mov_b32_e32 v36, 0x7f800001
	s_xor_b32 exec_lo, exec_lo, s16
	s_cbranch_execz .LBB6_9108
.LBB6_10347:                            ;   in Loop: Header=BB6_7994 Depth=3
	v_cmp_ne_u16_e32 vcc_lo, 0, v37
	v_mov_b32_e32 v36, 0
	s_andn2_b32 s23, s23, exec_lo
	s_and_b32 s72, vcc_lo, exec_lo
	s_or_b32 s23, s23, s72
	s_or_b32 exec_lo, exec_lo, s16
	s_and_saveexec_b32 s16, s23
	s_cbranch_execnz .LBB6_9109
	s_branch .LBB6_9110
.LBB6_10348:                            ;   in Loop: Header=BB6_7994 Depth=3
	s_or_saveexec_b32 s16, s16
	v_mov_b32_e32 v7, 0x7f800001
	s_xor_b32 exec_lo, exec_lo, s16
	s_cbranch_execz .LBB6_9122
.LBB6_10349:                            ;   in Loop: Header=BB6_7994 Depth=3
	v_cmp_ne_u16_sdwa s72, v6, v2 src0_sel:BYTE_3 src1_sel:DWORD
	v_mov_b32_e32 v7, 0
	s_andn2_b32 s23, s23, exec_lo
	s_and_b32 s72, s72, exec_lo
	s_or_b32 s23, s23, s72
	s_or_b32 exec_lo, exec_lo, s16
	s_and_saveexec_b32 s16, s23
	s_cbranch_execnz .LBB6_9123
	s_branch .LBB6_9124
.LBB6_10350:                            ;   in Loop: Header=BB6_7994 Depth=3
	s_or_saveexec_b32 s16, s16
	v_mov_b32_e32 v6, 0x7f800001
	s_xor_b32 exec_lo, exec_lo, s16
	s_cbranch_execz .LBB6_9128
.LBB6_10351:                            ;   in Loop: Header=BB6_7994 Depth=3
	v_cmp_ne_u16_sdwa s72, v22, v2 src0_sel:BYTE_3 src1_sel:DWORD
	v_mov_b32_e32 v6, 0
	s_andn2_b32 s23, s23, exec_lo
	s_and_b32 s72, s72, exec_lo
	s_or_b32 s23, s23, s72
	s_or_b32 exec_lo, exec_lo, s16
	s_and_saveexec_b32 s16, s23
	s_cbranch_execnz .LBB6_9129
	s_branch .LBB6_9130
.LBB6_10352:                            ;   in Loop: Header=BB6_7994 Depth=3
	s_or_saveexec_b32 s16, s16
	v_mov_b32_e32 v7, 0x7f800001
	s_xor_b32 exec_lo, exec_lo, s16
	s_cbranch_execz .LBB6_9142
.LBB6_10353:                            ;   in Loop: Header=BB6_7994 Depth=3
	v_cmp_ne_u16_sdwa s72, v6, v2 src0_sel:BYTE_0 src1_sel:DWORD
	v_mov_b32_e32 v7, 0
	s_andn2_b32 s23, s23, exec_lo
	s_and_b32 s72, s72, exec_lo
	s_or_b32 s23, s23, s72
	s_or_b32 exec_lo, exec_lo, s16
	s_and_saveexec_b32 s16, s23
	s_cbranch_execnz .LBB6_9143
	s_branch .LBB6_9144
.LBB6_10354:                            ;   in Loop: Header=BB6_7994 Depth=3
	s_or_saveexec_b32 s16, s16
	v_mov_b32_e32 v36, 0x7f800001
	s_xor_b32 exec_lo, exec_lo, s16
	s_cbranch_execz .LBB6_9148
.LBB6_10355:                            ;   in Loop: Header=BB6_7994 Depth=3
	v_cmp_ne_u16_sdwa s72, v23, v2 src0_sel:BYTE_0 src1_sel:DWORD
	v_mov_b32_e32 v36, 0
	s_andn2_b32 s23, s23, exec_lo
	s_and_b32 s72, s72, exec_lo
	s_or_b32 s23, s23, s72
	s_or_b32 exec_lo, exec_lo, s16
	s_and_saveexec_b32 s16, s23
	s_cbranch_execnz .LBB6_9149
	s_branch .LBB6_9150
.LBB6_10356:                            ;   in Loop: Header=BB6_7994 Depth=3
	s_or_saveexec_b32 s16, s16
	v_mov_b32_e32 v7, 0x7f800001
	s_xor_b32 exec_lo, exec_lo, s16
	s_cbranch_execz .LBB6_9162
.LBB6_10357:                            ;   in Loop: Header=BB6_7994 Depth=3
	v_cmp_ne_u16_sdwa s72, v6, v2 src0_sel:BYTE_1 src1_sel:DWORD
	v_mov_b32_e32 v7, 0
	s_andn2_b32 s23, s23, exec_lo
	s_and_b32 s72, s72, exec_lo
	s_or_b32 s23, s23, s72
	s_or_b32 exec_lo, exec_lo, s16
	s_and_saveexec_b32 s16, s23
	s_cbranch_execnz .LBB6_9163
	s_branch .LBB6_9164
.LBB6_10358:                            ;   in Loop: Header=BB6_7994 Depth=3
	s_or_saveexec_b32 s16, s16
	v_mov_b32_e32 v36, 0x7f800001
	s_xor_b32 exec_lo, exec_lo, s16
	s_cbranch_execz .LBB6_9168
.LBB6_10359:                            ;   in Loop: Header=BB6_7994 Depth=3
	v_cmp_ne_u16_sdwa s72, v23, v2 src0_sel:BYTE_1 src1_sel:DWORD
	v_mov_b32_e32 v36, 0
	s_andn2_b32 s23, s23, exec_lo
	s_and_b32 s72, s72, exec_lo
	s_or_b32 s23, s23, s72
	s_or_b32 exec_lo, exec_lo, s16
	s_and_saveexec_b32 s16, s23
	s_cbranch_execnz .LBB6_9169
	s_branch .LBB6_9170
.LBB6_10360:                            ;   in Loop: Header=BB6_7994 Depth=3
	s_or_saveexec_b32 s16, s16
	v_mov_b32_e32 v7, 0x7f800001
	s_xor_b32 exec_lo, exec_lo, s16
	s_cbranch_execz .LBB6_9182
.LBB6_10361:                            ;   in Loop: Header=BB6_7994 Depth=3
	v_cmp_ne_u16_sdwa s72, v0, v2 src0_sel:BYTE_0 src1_sel:DWORD
	v_mov_b32_e32 v7, 0
	s_andn2_b32 s23, s23, exec_lo
	s_and_b32 s72, s72, exec_lo
	s_or_b32 s23, s23, s72
	s_or_b32 exec_lo, exec_lo, s16
	v_lshl_or_b32 v0, v0, 16, v6
	s_and_saveexec_b32 s16, s23
	s_cbranch_execnz .LBB6_9183
	s_branch .LBB6_9184
.LBB6_10362:                            ;   in Loop: Header=BB6_7994 Depth=3
	s_or_saveexec_b32 s16, s16
	v_mov_b32_e32 v6, 0x7f800001
	s_xor_b32 exec_lo, exec_lo, s16
	s_cbranch_execz .LBB6_9188
.LBB6_10363:                            ;   in Loop: Header=BB6_7994 Depth=3
	v_cmp_ne_u16_e32 vcc_lo, 0, v36
	v_mov_b32_e32 v6, 0
	s_andn2_b32 s23, s23, exec_lo
	s_and_b32 s72, vcc_lo, exec_lo
	s_or_b32 s23, s23, s72
	s_or_b32 exec_lo, exec_lo, s16
	s_and_saveexec_b32 s16, s23
	s_cbranch_execnz .LBB6_9189
	s_branch .LBB6_9190
.LBB6_10364:                            ;   in Loop: Header=BB6_7994 Depth=3
	s_or_saveexec_b32 s16, s16
	v_mov_b32_e32 v6, 0x7f800001
	s_xor_b32 exec_lo, exec_lo, s16
	s_cbranch_execz .LBB6_9202
.LBB6_10365:                            ;   in Loop: Header=BB6_7994 Depth=3
	v_cmp_ne_u16_sdwa s72, v0, v2 src0_sel:BYTE_3 src1_sel:DWORD
	v_mov_b32_e32 v6, 0
	s_andn2_b32 s23, s23, exec_lo
	s_and_b32 s72, s72, exec_lo
	s_or_b32 s23, s23, s72
	s_or_b32 exec_lo, exec_lo, s16
	s_and_saveexec_b32 s16, s23
	s_cbranch_execnz .LBB6_9203
	s_branch .LBB6_9204
.LBB6_10366:                            ;   in Loop: Header=BB6_7994 Depth=3
	s_or_saveexec_b32 s16, s16
	v_mov_b32_e32 v0, 0x7f800001
	s_xor_b32 exec_lo, exec_lo, s16
	s_cbranch_execz .LBB6_9208
.LBB6_10367:                            ;   in Loop: Header=BB6_7994 Depth=3
	v_cmp_ne_u16_sdwa s72, v23, v2 src0_sel:BYTE_3 src1_sel:DWORD
	v_mov_b32_e32 v0, 0
	s_andn2_b32 s23, s23, exec_lo
	s_and_b32 s72, s72, exec_lo
	s_or_b32 s23, s23, s72
	s_or_b32 exec_lo, exec_lo, s16
	s_and_saveexec_b32 s16, s23
	s_cbranch_execnz .LBB6_9209
	s_branch .LBB6_9210
.LBB6_10368:                            ;   in Loop: Header=BB6_7994 Depth=3
	s_or_saveexec_b32 s16, s16
	v_mov_b32_e32 v0, 0x7f800001
	s_xor_b32 exec_lo, exec_lo, s16
	s_cbranch_execz .LBB6_9222
.LBB6_10369:                            ;   in Loop: Header=BB6_7994 Depth=3
	v_cmp_ne_u16_sdwa s72, v6, v2 src0_sel:BYTE_0 src1_sel:DWORD
	v_mov_b32_e32 v0, 0
	s_andn2_b32 s23, s23, exec_lo
	s_and_b32 s72, s72, exec_lo
	s_or_b32 s23, s23, s72
	s_or_b32 exec_lo, exec_lo, s16
	s_and_saveexec_b32 s16, s23
	s_cbranch_execnz .LBB6_9223
	s_branch .LBB6_9224
.LBB6_10370:                            ;   in Loop: Header=BB6_7994 Depth=3
	s_or_saveexec_b32 s16, s16
	v_mov_b32_e32 v7, 0x7f800001
	s_xor_b32 exec_lo, exec_lo, s16
	s_cbranch_execz .LBB6_9228
.LBB6_10371:                            ;   in Loop: Header=BB6_7994 Depth=3
	v_cmp_ne_u16_sdwa s72, v16, v2 src0_sel:BYTE_0 src1_sel:DWORD
	v_mov_b32_e32 v7, 0
	s_andn2_b32 s23, s23, exec_lo
	s_and_b32 s72, s72, exec_lo
	s_or_b32 s23, s23, s72
	s_or_b32 exec_lo, exec_lo, s16
	s_and_saveexec_b32 s16, s23
	s_cbranch_execnz .LBB6_9229
	s_branch .LBB6_9230
.LBB6_10372:                            ;   in Loop: Header=BB6_7994 Depth=3
	s_or_saveexec_b32 s23, s23
	v_mov_b32_e32 v7, 0x7f800001
	s_xor_b32 exec_lo, exec_lo, s23
	s_cbranch_execz .LBB6_9242
.LBB6_10373:                            ;   in Loop: Header=BB6_7994 Depth=3
	v_cmp_ne_u16_sdwa s72, v6, v2 src0_sel:BYTE_1 src1_sel:DWORD
	v_mov_b32_e32 v7, 0
	s_andn2_b32 s16, s16, exec_lo
	s_and_b32 s72, s72, exec_lo
	s_or_b32 s16, s16, s72
	s_or_b32 exec_lo, exec_lo, s23
	s_and_saveexec_b32 s23, s16
	s_cbranch_execnz .LBB6_9243
	s_branch .LBB6_9244
.LBB6_10374:                            ;   in Loop: Header=BB6_7994 Depth=3
	s_or_saveexec_b32 s23, s23
	v_mov_b32_e32 v36, 0x7f800001
	s_xor_b32 exec_lo, exec_lo, s23
	s_cbranch_execz .LBB6_9248
.LBB6_10375:                            ;   in Loop: Header=BB6_7994 Depth=3
	v_cmp_ne_u16_sdwa s72, v16, v2 src0_sel:BYTE_1 src1_sel:DWORD
	v_mov_b32_e32 v36, 0
	s_andn2_b32 s16, s16, exec_lo
	s_and_b32 s72, s72, exec_lo
	s_or_b32 s16, s16, s72
	s_or_b32 exec_lo, exec_lo, s23
	s_and_saveexec_b32 s23, s16
	s_cbranch_execnz .LBB6_9249
	s_branch .LBB6_9250
.LBB6_10376:                            ;   in Loop: Header=BB6_7994 Depth=3
	s_or_saveexec_b32 s16, s16
	v_mov_b32_e32 v7, 0x7f800001
	s_xor_b32 exec_lo, exec_lo, s16
	s_cbranch_execz .LBB6_9262
.LBB6_10377:                            ;   in Loop: Header=BB6_7994 Depth=3
	v_cmp_ne_u16_sdwa s72, v36, v2 src0_sel:BYTE_0 src1_sel:DWORD
	v_mov_b32_e32 v7, 0
	s_andn2_b32 s23, s23, exec_lo
	s_and_b32 s72, s72, exec_lo
	s_or_b32 s23, s23, s72
	s_or_b32 exec_lo, exec_lo, s16
	v_lshl_or_b32 v6, v36, 16, v6
	s_and_saveexec_b32 s16, s23
	s_cbranch_execnz .LBB6_9263
	s_branch .LBB6_9264
.LBB6_10378:                            ;   in Loop: Header=BB6_7994 Depth=3
	s_or_saveexec_b32 s16, s16
	v_mov_b32_e32 v36, 0x7f800001
	s_xor_b32 exec_lo, exec_lo, s16
	s_cbranch_execz .LBB6_9268
.LBB6_10379:                            ;   in Loop: Header=BB6_7994 Depth=3
	v_cmp_ne_u16_e32 vcc_lo, 0, v37
	v_mov_b32_e32 v36, 0
	s_andn2_b32 s23, s23, exec_lo
	s_and_b32 s72, vcc_lo, exec_lo
	s_or_b32 s23, s23, s72
	s_or_b32 exec_lo, exec_lo, s16
	s_and_saveexec_b32 s16, s23
	s_cbranch_execnz .LBB6_9269
	s_branch .LBB6_9270
.LBB6_10380:                            ;   in Loop: Header=BB6_7994 Depth=3
	s_or_saveexec_b32 s23, s23
	v_mov_b32_e32 v7, 0x7f800001
	s_xor_b32 exec_lo, exec_lo, s23
	s_cbranch_execz .LBB6_9282
.LBB6_10381:                            ;   in Loop: Header=BB6_7994 Depth=3
	v_cmp_ne_u16_sdwa s72, v6, v2 src0_sel:BYTE_3 src1_sel:DWORD
	v_mov_b32_e32 v7, 0
	s_andn2_b32 s16, s16, exec_lo
	s_and_b32 s72, s72, exec_lo
	s_or_b32 s16, s16, s72
	s_or_b32 exec_lo, exec_lo, s23
	s_and_saveexec_b32 s23, s16
	s_cbranch_execnz .LBB6_9283
	s_branch .LBB6_9284
.LBB6_10382:                            ;   in Loop: Header=BB6_7994 Depth=3
	s_or_saveexec_b32 s23, s23
	v_mov_b32_e32 v6, 0x7f800001
	s_xor_b32 exec_lo, exec_lo, s23
	s_cbranch_execz .LBB6_9288
.LBB6_10383:                            ;   in Loop: Header=BB6_7994 Depth=3
	v_cmp_ne_u16_sdwa s72, v16, v2 src0_sel:BYTE_3 src1_sel:DWORD
	v_mov_b32_e32 v6, 0
	s_andn2_b32 s16, s16, exec_lo
	s_and_b32 s72, s72, exec_lo
	s_or_b32 s16, s16, s72
	s_or_b32 exec_lo, exec_lo, s23
	s_and_saveexec_b32 s23, s16
	s_cbranch_execnz .LBB6_9289
	s_branch .LBB6_9290
.LBB6_10384:                            ;   in Loop: Header=BB6_7994 Depth=3
	s_or_saveexec_b32 s16, s16
	v_mov_b32_e32 v7, 0x7f800001
	s_xor_b32 exec_lo, exec_lo, s16
	s_cbranch_execz .LBB6_9302
.LBB6_10385:                            ;   in Loop: Header=BB6_7994 Depth=3
	v_cmp_ne_u16_sdwa s72, v6, v2 src0_sel:BYTE_0 src1_sel:DWORD
	v_mov_b32_e32 v7, 0
	s_andn2_b32 s23, s23, exec_lo
	s_and_b32 s72, s72, exec_lo
	s_or_b32 s23, s23, s72
	s_or_b32 exec_lo, exec_lo, s16
	s_and_saveexec_b32 s16, s23
	s_cbranch_execnz .LBB6_9303
	s_branch .LBB6_9304
.LBB6_10386:                            ;   in Loop: Header=BB6_7994 Depth=3
	s_or_saveexec_b32 s16, s16
	v_mov_b32_e32 v36, 0x7f800001
	s_xor_b32 exec_lo, exec_lo, s16
	s_cbranch_execz .LBB6_9308
.LBB6_10387:                            ;   in Loop: Header=BB6_7994 Depth=3
	v_cmp_ne_u16_sdwa s72, v17, v2 src0_sel:BYTE_0 src1_sel:DWORD
	v_mov_b32_e32 v36, 0
	s_andn2_b32 s23, s23, exec_lo
	s_and_b32 s72, s72, exec_lo
	s_or_b32 s23, s23, s72
	s_or_b32 exec_lo, exec_lo, s16
	s_and_saveexec_b32 s16, s23
	s_cbranch_execnz .LBB6_9309
	s_branch .LBB6_9310
.LBB6_10388:                            ;   in Loop: Header=BB6_7994 Depth=3
	s_or_saveexec_b32 s23, s23
	v_mov_b32_e32 v7, 0x7f800001
	s_xor_b32 exec_lo, exec_lo, s23
	s_cbranch_execz .LBB6_9322
.LBB6_10389:                            ;   in Loop: Header=BB6_7994 Depth=3
	v_cmp_ne_u16_sdwa s72, v6, v2 src0_sel:BYTE_1 src1_sel:DWORD
	v_mov_b32_e32 v7, 0
	s_andn2_b32 s16, s16, exec_lo
	s_and_b32 s72, s72, exec_lo
	s_or_b32 s16, s16, s72
	s_or_b32 exec_lo, exec_lo, s23
	s_and_saveexec_b32 s23, s16
	s_cbranch_execnz .LBB6_9323
	s_branch .LBB6_9324
.LBB6_10390:                            ;   in Loop: Header=BB6_7994 Depth=3
	s_or_saveexec_b32 s23, s23
	v_mov_b32_e32 v36, 0x7f800001
	s_xor_b32 exec_lo, exec_lo, s23
	s_cbranch_execz .LBB6_9328
.LBB6_10391:                            ;   in Loop: Header=BB6_7994 Depth=3
	v_cmp_ne_u16_sdwa s72, v17, v2 src0_sel:BYTE_1 src1_sel:DWORD
	v_mov_b32_e32 v36, 0
	s_andn2_b32 s16, s16, exec_lo
	s_and_b32 s72, s72, exec_lo
	s_or_b32 s16, s16, s72
	s_or_b32 exec_lo, exec_lo, s23
	s_and_saveexec_b32 s23, s16
	s_cbranch_execnz .LBB6_9329
	s_branch .LBB6_9330
.LBB6_10392:                            ;   in Loop: Header=BB6_7994 Depth=3
	s_or_saveexec_b32 s16, s16
	v_mov_b32_e32 v7, 0x7f800001
	s_xor_b32 exec_lo, exec_lo, s16
	s_cbranch_execz .LBB6_9342
.LBB6_10393:                            ;   in Loop: Header=BB6_7994 Depth=3
	v_cmp_ne_u16_sdwa s72, v36, v2 src0_sel:BYTE_0 src1_sel:DWORD
	v_mov_b32_e32 v7, 0
	s_andn2_b32 s23, s23, exec_lo
	s_and_b32 s72, s72, exec_lo
	s_or_b32 s23, s23, s72
	s_or_b32 exec_lo, exec_lo, s16
	v_lshl_or_b32 v6, v36, 16, v6
	s_and_saveexec_b32 s16, s23
	s_cbranch_execnz .LBB6_9343
	s_branch .LBB6_9344
.LBB6_10394:                            ;   in Loop: Header=BB6_7994 Depth=3
	s_or_saveexec_b32 s16, s16
	v_mov_b32_e32 v36, 0x7f800001
	s_xor_b32 exec_lo, exec_lo, s16
	s_cbranch_execz .LBB6_9348
.LBB6_10395:                            ;   in Loop: Header=BB6_7994 Depth=3
	v_cmp_ne_u16_e32 vcc_lo, 0, v37
	v_mov_b32_e32 v36, 0
	s_andn2_b32 s23, s23, exec_lo
	s_and_b32 s72, vcc_lo, exec_lo
	s_or_b32 s23, s23, s72
	s_or_b32 exec_lo, exec_lo, s16
	s_and_saveexec_b32 s16, s23
	s_cbranch_execnz .LBB6_9349
	s_branch .LBB6_9350
.LBB6_10396:                            ;   in Loop: Header=BB6_7994 Depth=3
	s_or_saveexec_b32 s23, s23
	v_mov_b32_e32 v7, 0x7f800001
	s_xor_b32 exec_lo, exec_lo, s23
	s_cbranch_execz .LBB6_9362
.LBB6_10397:                            ;   in Loop: Header=BB6_7994 Depth=3
	v_cmp_ne_u16_sdwa s72, v6, v2 src0_sel:BYTE_3 src1_sel:DWORD
	v_mov_b32_e32 v7, 0
	s_andn2_b32 s16, s16, exec_lo
	s_and_b32 s72, s72, exec_lo
	s_or_b32 s16, s16, s72
	s_or_b32 exec_lo, exec_lo, s23
	s_and_saveexec_b32 s23, s16
	s_cbranch_execnz .LBB6_9363
	s_branch .LBB6_9364
.LBB6_10398:                            ;   in Loop: Header=BB6_7994 Depth=3
	s_or_saveexec_b32 s23, s23
	v_mov_b32_e32 v6, 0x7f800001
	s_xor_b32 exec_lo, exec_lo, s23
	s_cbranch_execz .LBB6_9368
.LBB6_10399:                            ;   in Loop: Header=BB6_7994 Depth=3
	v_cmp_ne_u16_sdwa s72, v17, v2 src0_sel:BYTE_3 src1_sel:DWORD
	v_mov_b32_e32 v6, 0
	s_andn2_b32 s16, s16, exec_lo
	s_and_b32 s72, s72, exec_lo
	s_or_b32 s16, s16, s72
	s_or_b32 exec_lo, exec_lo, s23
	s_and_saveexec_b32 s23, s16
	s_cbranch_execnz .LBB6_9369
	s_branch .LBB6_9370
.LBB6_10400:                            ;   in Loop: Header=BB6_7994 Depth=3
	s_or_saveexec_b32 s16, s16
	v_mov_b32_e32 v7, 0x7f800001
	s_xor_b32 exec_lo, exec_lo, s16
	s_cbranch_execz .LBB6_9382
.LBB6_10401:                            ;   in Loop: Header=BB6_7994 Depth=3
	v_cmp_ne_u16_sdwa s72, v6, v2 src0_sel:BYTE_0 src1_sel:DWORD
	v_mov_b32_e32 v7, 0
	s_andn2_b32 s23, s23, exec_lo
	s_and_b32 s72, s72, exec_lo
	s_or_b32 s23, s23, s72
	s_or_b32 exec_lo, exec_lo, s16
	s_and_saveexec_b32 s16, s23
	s_cbranch_execnz .LBB6_9383
	s_branch .LBB6_9384
.LBB6_10402:                            ;   in Loop: Header=BB6_7994 Depth=3
	s_or_saveexec_b32 s16, s16
	v_mov_b32_e32 v36, 0x7f800001
	s_xor_b32 exec_lo, exec_lo, s16
	s_cbranch_execz .LBB6_9388
.LBB6_10403:                            ;   in Loop: Header=BB6_7994 Depth=3
	v_cmp_ne_u16_sdwa s72, v18, v2 src0_sel:BYTE_0 src1_sel:DWORD
	v_mov_b32_e32 v36, 0
	s_andn2_b32 s23, s23, exec_lo
	s_and_b32 s72, s72, exec_lo
	s_or_b32 s23, s23, s72
	s_or_b32 exec_lo, exec_lo, s16
	s_and_saveexec_b32 s16, s23
	s_cbranch_execnz .LBB6_9389
	s_branch .LBB6_9390
.LBB6_10404:                            ;   in Loop: Header=BB6_7994 Depth=3
	s_or_saveexec_b32 s23, s23
	v_mov_b32_e32 v7, 0x7f800001
	s_xor_b32 exec_lo, exec_lo, s23
	s_cbranch_execz .LBB6_9402
.LBB6_10405:                            ;   in Loop: Header=BB6_7994 Depth=3
	v_cmp_ne_u16_sdwa s72, v6, v2 src0_sel:BYTE_1 src1_sel:DWORD
	v_mov_b32_e32 v7, 0
	s_andn2_b32 s16, s16, exec_lo
	s_and_b32 s72, s72, exec_lo
	s_or_b32 s16, s16, s72
	s_or_b32 exec_lo, exec_lo, s23
	s_and_saveexec_b32 s23, s16
	s_cbranch_execnz .LBB6_9403
	s_branch .LBB6_9404
.LBB6_10406:                            ;   in Loop: Header=BB6_7994 Depth=3
	s_or_saveexec_b32 s23, s23
	v_mov_b32_e32 v36, 0x7f800001
	s_xor_b32 exec_lo, exec_lo, s23
	s_cbranch_execz .LBB6_9408
.LBB6_10407:                            ;   in Loop: Header=BB6_7994 Depth=3
	v_cmp_ne_u16_sdwa s72, v18, v2 src0_sel:BYTE_1 src1_sel:DWORD
	v_mov_b32_e32 v36, 0
	s_andn2_b32 s16, s16, exec_lo
	s_and_b32 s72, s72, exec_lo
	s_or_b32 s16, s16, s72
	s_or_b32 exec_lo, exec_lo, s23
	s_and_saveexec_b32 s23, s16
	s_cbranch_execnz .LBB6_9409
	s_branch .LBB6_9410
.LBB6_10408:                            ;   in Loop: Header=BB6_7994 Depth=3
	s_or_saveexec_b32 s16, s16
	v_mov_b32_e32 v7, 0x7f800001
	s_xor_b32 exec_lo, exec_lo, s16
	s_cbranch_execz .LBB6_9422
.LBB6_10409:                            ;   in Loop: Header=BB6_7994 Depth=3
	v_cmp_ne_u16_sdwa s72, v36, v2 src0_sel:BYTE_0 src1_sel:DWORD
	v_mov_b32_e32 v7, 0
	s_andn2_b32 s23, s23, exec_lo
	s_and_b32 s72, s72, exec_lo
	s_or_b32 s23, s23, s72
	s_or_b32 exec_lo, exec_lo, s16
	v_lshl_or_b32 v6, v36, 16, v6
	s_and_saveexec_b32 s16, s23
	s_cbranch_execnz .LBB6_9423
	s_branch .LBB6_9424
.LBB6_10410:                            ;   in Loop: Header=BB6_7994 Depth=3
	s_or_saveexec_b32 s16, s16
	v_mov_b32_e32 v36, 0x7f800001
	s_xor_b32 exec_lo, exec_lo, s16
	s_cbranch_execz .LBB6_9428
.LBB6_10411:                            ;   in Loop: Header=BB6_7994 Depth=3
	v_cmp_ne_u16_e32 vcc_lo, 0, v37
	v_mov_b32_e32 v36, 0
	s_andn2_b32 s23, s23, exec_lo
	s_and_b32 s72, vcc_lo, exec_lo
	s_or_b32 s23, s23, s72
	s_or_b32 exec_lo, exec_lo, s16
	s_and_saveexec_b32 s16, s23
	s_cbranch_execnz .LBB6_9429
	s_branch .LBB6_9430
.LBB6_10412:                            ;   in Loop: Header=BB6_7994 Depth=3
	s_or_saveexec_b32 s23, s23
	v_mov_b32_e32 v7, 0x7f800001
	s_xor_b32 exec_lo, exec_lo, s23
	s_cbranch_execz .LBB6_9442
.LBB6_10413:                            ;   in Loop: Header=BB6_7994 Depth=3
	v_cmp_ne_u16_sdwa s72, v6, v2 src0_sel:BYTE_3 src1_sel:DWORD
	v_mov_b32_e32 v7, 0
	s_andn2_b32 s16, s16, exec_lo
	s_and_b32 s72, s72, exec_lo
	s_or_b32 s16, s16, s72
	s_or_b32 exec_lo, exec_lo, s23
	s_and_saveexec_b32 s23, s16
	s_cbranch_execnz .LBB6_9443
	s_branch .LBB6_9444
.LBB6_10414:                            ;   in Loop: Header=BB6_7994 Depth=3
	s_or_saveexec_b32 s23, s23
	v_mov_b32_e32 v6, 0x7f800001
	s_xor_b32 exec_lo, exec_lo, s23
	s_cbranch_execz .LBB6_9448
.LBB6_10415:                            ;   in Loop: Header=BB6_7994 Depth=3
	v_cmp_ne_u16_sdwa s72, v18, v2 src0_sel:BYTE_3 src1_sel:DWORD
	v_mov_b32_e32 v6, 0
	s_andn2_b32 s16, s16, exec_lo
	s_and_b32 s72, s72, exec_lo
	s_or_b32 s16, s16, s72
	s_or_b32 exec_lo, exec_lo, s23
	s_and_saveexec_b32 s23, s16
	s_cbranch_execnz .LBB6_9449
	s_branch .LBB6_9450
.LBB6_10416:                            ;   in Loop: Header=BB6_7994 Depth=3
	s_or_saveexec_b32 s16, s16
	v_mov_b32_e32 v7, 0x7f800001
	s_xor_b32 exec_lo, exec_lo, s16
	s_cbranch_execz .LBB6_9462
.LBB6_10417:                            ;   in Loop: Header=BB6_7994 Depth=3
	v_cmp_ne_u16_sdwa s72, v6, v2 src0_sel:BYTE_0 src1_sel:DWORD
	v_mov_b32_e32 v7, 0
	s_andn2_b32 s23, s23, exec_lo
	s_and_b32 s72, s72, exec_lo
	s_or_b32 s23, s23, s72
	s_or_b32 exec_lo, exec_lo, s16
	s_and_saveexec_b32 s16, s23
	s_cbranch_execnz .LBB6_9463
	s_branch .LBB6_9464
.LBB6_10418:                            ;   in Loop: Header=BB6_7994 Depth=3
	s_or_saveexec_b32 s16, s16
	v_mov_b32_e32 v36, 0x7f800001
	s_xor_b32 exec_lo, exec_lo, s16
	s_cbranch_execz .LBB6_9468
.LBB6_10419:                            ;   in Loop: Header=BB6_7994 Depth=3
	v_cmp_ne_u16_sdwa s72, v19, v2 src0_sel:BYTE_0 src1_sel:DWORD
	v_mov_b32_e32 v36, 0
	s_andn2_b32 s23, s23, exec_lo
	s_and_b32 s72, s72, exec_lo
	s_or_b32 s23, s23, s72
	s_or_b32 exec_lo, exec_lo, s16
	s_and_saveexec_b32 s16, s23
	s_cbranch_execnz .LBB6_9469
	s_branch .LBB6_9470
.LBB6_10420:                            ;   in Loop: Header=BB6_7994 Depth=3
	s_or_saveexec_b32 s23, s23
	v_mov_b32_e32 v7, 0x7f800001
	s_xor_b32 exec_lo, exec_lo, s23
	s_cbranch_execz .LBB6_9482
.LBB6_10421:                            ;   in Loop: Header=BB6_7994 Depth=3
	v_cmp_ne_u16_sdwa s72, v6, v2 src0_sel:BYTE_1 src1_sel:DWORD
	v_mov_b32_e32 v7, 0
	s_andn2_b32 s16, s16, exec_lo
	s_and_b32 s72, s72, exec_lo
	s_or_b32 s16, s16, s72
	s_or_b32 exec_lo, exec_lo, s23
	s_and_saveexec_b32 s23, s16
	s_cbranch_execnz .LBB6_9483
	s_branch .LBB6_9484
.LBB6_10422:                            ;   in Loop: Header=BB6_7994 Depth=3
	s_or_saveexec_b32 s23, s23
	v_mov_b32_e32 v36, 0x7f800001
	s_xor_b32 exec_lo, exec_lo, s23
	s_cbranch_execz .LBB6_9488
.LBB6_10423:                            ;   in Loop: Header=BB6_7994 Depth=3
	v_cmp_ne_u16_sdwa s72, v19, v2 src0_sel:BYTE_1 src1_sel:DWORD
	v_mov_b32_e32 v36, 0
	s_andn2_b32 s16, s16, exec_lo
	s_and_b32 s72, s72, exec_lo
	s_or_b32 s16, s16, s72
	s_or_b32 exec_lo, exec_lo, s23
	s_and_saveexec_b32 s23, s16
	s_cbranch_execnz .LBB6_9489
	s_branch .LBB6_9490
.LBB6_10424:                            ;   in Loop: Header=BB6_7994 Depth=3
	s_or_saveexec_b32 s16, s16
	v_mov_b32_e32 v7, 0x7f800001
	s_xor_b32 exec_lo, exec_lo, s16
	s_cbranch_execz .LBB6_9502
.LBB6_10425:                            ;   in Loop: Header=BB6_7994 Depth=3
	v_cmp_ne_u16_sdwa s72, v37, v2 src0_sel:BYTE_0 src1_sel:DWORD
	v_mov_b32_e32 v7, 0
	s_andn2_b32 s23, s23, exec_lo
	s_and_b32 s72, s72, exec_lo
	s_or_b32 s23, s23, s72
	s_or_b32 exec_lo, exec_lo, s16
	v_lshl_or_b32 v6, v37, 16, v6
	s_and_saveexec_b32 s16, s23
	s_cbranch_execnz .LBB6_9503
	s_branch .LBB6_9504
.LBB6_10426:                            ;   in Loop: Header=BB6_7994 Depth=3
	s_or_saveexec_b32 s16, s16
	v_mov_b32_e32 v37, 0x7f800001
	s_xor_b32 exec_lo, exec_lo, s16
	s_cbranch_execz .LBB6_9508
.LBB6_10427:                            ;   in Loop: Header=BB6_7994 Depth=3
	v_cmp_ne_u16_e32 vcc_lo, 0, v81
	v_mov_b32_e32 v37, 0
	s_andn2_b32 s23, s23, exec_lo
	s_and_b32 s72, vcc_lo, exec_lo
	s_or_b32 s23, s23, s72
	s_or_b32 exec_lo, exec_lo, s16
	s_and_saveexec_b32 s16, s23
	s_cbranch_execnz .LBB6_9509
	s_branch .LBB6_9510
.LBB6_10428:                            ;   in Loop: Header=BB6_7994 Depth=3
	s_or_saveexec_b32 s23, s23
	v_mov_b32_e32 v7, 0x7f800001
	s_xor_b32 exec_lo, exec_lo, s23
	s_cbranch_execz .LBB6_9522
.LBB6_10429:                            ;   in Loop: Header=BB6_7994 Depth=3
	v_cmp_ne_u16_sdwa s72, v6, v2 src0_sel:BYTE_3 src1_sel:DWORD
	v_mov_b32_e32 v7, 0
	s_andn2_b32 s16, s16, exec_lo
	s_and_b32 s72, s72, exec_lo
	s_or_b32 s16, s16, s72
	s_or_b32 exec_lo, exec_lo, s23
	s_and_saveexec_b32 s23, s16
	s_cbranch_execnz .LBB6_9523
	s_branch .LBB6_9524
.LBB6_10430:                            ;   in Loop: Header=BB6_7994 Depth=3
	s_or_saveexec_b32 s23, s23
	v_mov_b32_e32 v6, 0x7f800001
	s_xor_b32 exec_lo, exec_lo, s23
	s_cbranch_execz .LBB6_9528
.LBB6_10431:                            ;   in Loop: Header=BB6_7994 Depth=3
	v_cmp_ne_u16_sdwa s72, v19, v2 src0_sel:BYTE_3 src1_sel:DWORD
	v_mov_b32_e32 v6, 0
	s_andn2_b32 s16, s16, exec_lo
	s_and_b32 s72, s72, exec_lo
	s_or_b32 s16, s16, s72
	s_or_b32 exec_lo, exec_lo, s23
	s_and_saveexec_b32 s23, s16
	s_cbranch_execnz .LBB6_9529
	s_branch .LBB6_9530
.LBB6_10432:                            ;   in Loop: Header=BB6_7994 Depth=3
	s_or_saveexec_b32 s16, s16
	v_mov_b32_e32 v7, 0x7f800001
	s_xor_b32 exec_lo, exec_lo, s16
	s_cbranch_execz .LBB6_9542
.LBB6_10433:                            ;   in Loop: Header=BB6_7994 Depth=3
	v_cmp_ne_u16_sdwa s72, v81, v2 src0_sel:BYTE_0 src1_sel:DWORD
	v_mov_b32_e32 v7, 0
	s_andn2_b32 s23, s23, exec_lo
	s_and_b32 s72, s72, exec_lo
	s_or_b32 s23, s23, s72
	s_or_b32 exec_lo, exec_lo, s16
	s_and_saveexec_b32 s16, s23
	s_cbranch_execnz .LBB6_9543
	s_branch .LBB6_9544
.LBB6_10434:                            ;   in Loop: Header=BB6_7994 Depth=3
	s_or_saveexec_b32 s16, s16
	v_mov_b32_e32 v19, 0x7f800001
	s_xor_b32 exec_lo, exec_lo, s16
	s_cbranch_execz .LBB6_9548
.LBB6_10435:                            ;   in Loop: Header=BB6_7994 Depth=3
	v_cmp_ne_u16_sdwa s72, v12, v2 src0_sel:BYTE_0 src1_sel:DWORD
	v_mov_b32_e32 v19, 0
	s_andn2_b32 s23, s23, exec_lo
	s_and_b32 s72, s72, exec_lo
	s_or_b32 s23, s23, s72
	s_or_b32 exec_lo, exec_lo, s16
	s_and_saveexec_b32 s16, s23
	s_cbranch_execnz .LBB6_9549
	s_branch .LBB6_9550
.LBB6_10436:                            ;   in Loop: Header=BB6_7994 Depth=3
	s_or_saveexec_b32 s23, s23
	v_mov_b32_e32 v19, 0x7f800001
	s_xor_b32 exec_lo, exec_lo, s23
	s_cbranch_execz .LBB6_9562
.LBB6_10437:                            ;   in Loop: Header=BB6_7994 Depth=3
	v_cmp_ne_u16_sdwa s72, v81, v2 src0_sel:BYTE_1 src1_sel:DWORD
	v_mov_b32_e32 v19, 0
	s_andn2_b32 s16, s16, exec_lo
	s_and_b32 s72, s72, exec_lo
	s_or_b32 s16, s16, s72
	s_or_b32 exec_lo, exec_lo, s23
	s_and_saveexec_b32 s23, s16
	s_cbranch_execnz .LBB6_9563
	s_branch .LBB6_9564
.LBB6_10438:                            ;   in Loop: Header=BB6_7994 Depth=3
	s_or_saveexec_b32 s23, s23
	v_mov_b32_e32 v101, 0x7f800001
	s_xor_b32 exec_lo, exec_lo, s23
	s_cbranch_execz .LBB6_9568
.LBB6_10439:                            ;   in Loop: Header=BB6_7994 Depth=3
	v_cmp_ne_u16_sdwa s72, v12, v2 src0_sel:BYTE_1 src1_sel:DWORD
	v_mov_b32_e32 v101, 0
	s_andn2_b32 s16, s16, exec_lo
	s_and_b32 s72, s72, exec_lo
	s_or_b32 s16, s16, s72
	s_or_b32 exec_lo, exec_lo, s23
	s_and_saveexec_b32 s23, s16
	s_cbranch_execnz .LBB6_9569
	s_branch .LBB6_9570
.LBB6_10440:                            ;   in Loop: Header=BB6_7994 Depth=3
	s_or_saveexec_b32 s16, s16
	v_mov_b32_e32 v113, 0x7f800001
	s_xor_b32 exec_lo, exec_lo, s16
	s_cbranch_execz .LBB6_9582
.LBB6_10441:                            ;   in Loop: Header=BB6_7994 Depth=3
	v_cmp_ne_u16_sdwa s72, v101, v2 src0_sel:BYTE_0 src1_sel:DWORD
	v_mov_b32_e32 v113, 0
	s_andn2_b32 s23, s23, exec_lo
	s_and_b32 s72, s72, exec_lo
	s_or_b32 s23, s23, s72
	s_or_b32 exec_lo, exec_lo, s16
	v_lshl_or_b32 v101, v101, 16, v81
	s_and_saveexec_b32 s16, s23
	s_cbranch_execnz .LBB6_9583
	s_branch .LBB6_9584
.LBB6_10442:                            ;   in Loop: Header=BB6_7994 Depth=3
	s_or_saveexec_b32 s16, s16
	v_mov_b32_e32 v81, 0x7f800001
	s_xor_b32 exec_lo, exec_lo, s16
	s_cbranch_execz .LBB6_9588
.LBB6_10443:                            ;   in Loop: Header=BB6_7994 Depth=3
	v_cmp_ne_u16_e32 vcc_lo, 0, v42
	v_mov_b32_e32 v81, 0
	s_andn2_b32 s23, s23, exec_lo
	s_and_b32 s72, vcc_lo, exec_lo
	s_or_b32 s23, s23, s72
	s_or_b32 exec_lo, exec_lo, s16
	s_and_saveexec_b32 s16, s23
	s_cbranch_execnz .LBB6_9589
	s_branch .LBB6_9590
.LBB6_10444:                            ;   in Loop: Header=BB6_7994 Depth=3
	s_or_saveexec_b32 s23, s23
	v_mov_b32_e32 v113, 0x7f800001
	s_xor_b32 exec_lo, exec_lo, s23
	s_cbranch_execz .LBB6_9602
.LBB6_10445:                            ;   in Loop: Header=BB6_7994 Depth=3
	v_cmp_ne_u16_sdwa s72, v101, v2 src0_sel:BYTE_3 src1_sel:DWORD
	v_mov_b32_e32 v113, 0
	s_andn2_b32 s16, s16, exec_lo
	s_and_b32 s72, s72, exec_lo
	s_or_b32 s16, s16, s72
	s_or_b32 exec_lo, exec_lo, s23
	s_and_saveexec_b32 s23, s16
	s_cbranch_execnz .LBB6_9603
	s_branch .LBB6_9604
.LBB6_10446:                            ;   in Loop: Header=BB6_7994 Depth=3
	s_or_saveexec_b32 s23, s23
	v_mov_b32_e32 v101, 0x7f800001
	s_xor_b32 exec_lo, exec_lo, s23
	s_cbranch_execz .LBB6_9608
.LBB6_10447:                            ;   in Loop: Header=BB6_7994 Depth=3
	v_cmp_ne_u16_sdwa s72, v12, v2 src0_sel:BYTE_3 src1_sel:DWORD
	v_mov_b32_e32 v101, 0
	s_andn2_b32 s16, s16, exec_lo
	s_and_b32 s72, s72, exec_lo
	s_or_b32 s16, s16, s72
	s_or_b32 exec_lo, exec_lo, s23
	s_and_saveexec_b32 s23, s16
	s_cbranch_execnz .LBB6_9609
	s_branch .LBB6_9610
.LBB6_10448:                            ;   in Loop: Header=BB6_7994 Depth=3
	s_or_saveexec_b32 s16, s16
	v_mov_b32_e32 v1, 0x7f800001
	s_xor_b32 exec_lo, exec_lo, s16
	s_cbranch_execz .LBB6_9622
.LBB6_10449:                            ;   in Loop: Header=BB6_7994 Depth=3
	v_cmp_ne_u16_sdwa s72, v101, v2 src0_sel:BYTE_0 src1_sel:DWORD
	v_mov_b32_e32 v1, 0
	s_andn2_b32 s23, s23, exec_lo
	s_and_b32 s72, s72, exec_lo
	s_or_b32 s23, s23, s72
	s_or_b32 exec_lo, exec_lo, s16
	s_and_saveexec_b32 s16, s23
	s_cbranch_execnz .LBB6_9623
	s_branch .LBB6_9624
.LBB6_10450:                            ;   in Loop: Header=BB6_7994 Depth=3
	s_or_saveexec_b32 s16, s16
	v_mov_b32_e32 v31, 0x7f800001
	s_xor_b32 exec_lo, exec_lo, s16
	s_cbranch_execz .LBB6_9628
.LBB6_10451:                            ;   in Loop: Header=BB6_7994 Depth=3
	v_cmp_ne_u16_sdwa s72, v13, v2 src0_sel:BYTE_0 src1_sel:DWORD
	v_mov_b32_e32 v31, 0
	s_andn2_b32 s23, s23, exec_lo
	s_and_b32 s72, s72, exec_lo
	s_or_b32 s23, s23, s72
	s_or_b32 exec_lo, exec_lo, s16
	s_and_saveexec_b32 s16, s23
	s_cbranch_execnz .LBB6_9629
	s_branch .LBB6_9630
.LBB6_10452:                            ;   in Loop: Header=BB6_7994 Depth=3
	s_or_saveexec_b32 s23, s23
	v_mov_b32_e32 v31, 0x7f800001
	s_xor_b32 exec_lo, exec_lo, s23
	s_cbranch_execz .LBB6_9642
.LBB6_10453:                            ;   in Loop: Header=BB6_7994 Depth=3
	v_cmp_ne_u16_sdwa s72, v101, v2 src0_sel:BYTE_1 src1_sel:DWORD
	v_mov_b32_e32 v31, 0
	s_andn2_b32 s16, s16, exec_lo
	s_and_b32 s72, s72, exec_lo
	s_or_b32 s16, s16, s72
	s_or_b32 exec_lo, exec_lo, s23
	s_and_saveexec_b32 s23, s16
	s_cbranch_execnz .LBB6_9643
	s_branch .LBB6_9644
.LBB6_10454:                            ;   in Loop: Header=BB6_7994 Depth=3
	s_or_saveexec_b32 s23, s23
	v_mov_b32_e32 v113, 0x7f800001
	s_xor_b32 exec_lo, exec_lo, s23
	s_cbranch_execz .LBB6_9648
.LBB6_10455:                            ;   in Loop: Header=BB6_7994 Depth=3
	v_cmp_ne_u16_sdwa s72, v13, v2 src0_sel:BYTE_1 src1_sel:DWORD
	v_mov_b32_e32 v113, 0
	s_andn2_b32 s16, s16, exec_lo
	s_and_b32 s72, s72, exec_lo
	s_or_b32 s16, s16, s72
	s_or_b32 exec_lo, exec_lo, s23
	s_and_saveexec_b32 s23, s16
	s_cbranch_execnz .LBB6_9649
	s_branch .LBB6_9650
.LBB6_10456:                            ;   in Loop: Header=BB6_7994 Depth=3
	s_or_saveexec_b32 s16, s16
	v_mov_b32_e32 v42, 0x7f800001
	s_xor_b32 exec_lo, exec_lo, s16
	s_cbranch_execz .LBB6_9662
.LBB6_10457:                            ;   in Loop: Header=BB6_7994 Depth=3
	v_cmp_ne_u16_sdwa s72, v113, v2 src0_sel:BYTE_0 src1_sel:DWORD
	v_mov_b32_e32 v42, 0
	s_andn2_b32 s23, s23, exec_lo
	s_and_b32 s72, s72, exec_lo
	s_or_b32 s23, s23, s72
	s_or_b32 exec_lo, exec_lo, s16
	v_lshl_or_b32 v113, v113, 16, v101
	s_and_saveexec_b32 s16, s23
	s_cbranch_execnz .LBB6_9663
	s_branch .LBB6_9664
.LBB6_10458:                            ;   in Loop: Header=BB6_7994 Depth=3
	s_or_saveexec_b32 s16, s16
	v_mov_b32_e32 v101, 0x7f800001
	s_xor_b32 exec_lo, exec_lo, s16
	s_cbranch_execz .LBB6_9668
.LBB6_10459:                            ;   in Loop: Header=BB6_7994 Depth=3
	v_cmp_ne_u16_e32 vcc_lo, 0, v45
	v_mov_b32_e32 v101, 0
	s_andn2_b32 s23, s23, exec_lo
	s_and_b32 s72, vcc_lo, exec_lo
	s_or_b32 s23, s23, s72
	s_or_b32 exec_lo, exec_lo, s16
	s_and_saveexec_b32 s16, s23
	s_cbranch_execnz .LBB6_9669
	s_branch .LBB6_9670
.LBB6_10460:                            ;   in Loop: Header=BB6_7994 Depth=3
	s_or_saveexec_b32 s23, s23
	v_mov_b32_e32 v42, 0x7f800001
	s_xor_b32 exec_lo, exec_lo, s23
	s_cbranch_execz .LBB6_9682
.LBB6_10461:                            ;   in Loop: Header=BB6_7994 Depth=3
	v_cmp_ne_u16_sdwa s72, v113, v2 src0_sel:BYTE_3 src1_sel:DWORD
	v_mov_b32_e32 v42, 0
	s_andn2_b32 s16, s16, exec_lo
	s_and_b32 s72, s72, exec_lo
	s_or_b32 s16, s16, s72
	s_or_b32 exec_lo, exec_lo, s23
	s_and_saveexec_b32 s23, s16
	s_cbranch_execnz .LBB6_9683
	s_branch .LBB6_9684
.LBB6_10462:                            ;   in Loop: Header=BB6_7994 Depth=3
	s_or_saveexec_b32 s23, s23
	v_mov_b32_e32 v113, 0x7f800001
	s_xor_b32 exec_lo, exec_lo, s23
	s_cbranch_execz .LBB6_9688
.LBB6_10463:                            ;   in Loop: Header=BB6_7994 Depth=3
	v_cmp_ne_u16_sdwa s72, v13, v2 src0_sel:BYTE_3 src1_sel:DWORD
	v_mov_b32_e32 v113, 0
	s_andn2_b32 s16, s16, exec_lo
	s_and_b32 s72, s72, exec_lo
	s_or_b32 s16, s16, s72
	s_or_b32 exec_lo, exec_lo, s23
	s_and_saveexec_b32 s23, s16
	s_cbranch_execnz .LBB6_9689
	s_branch .LBB6_9690
.LBB6_10464:                            ;   in Loop: Header=BB6_7994 Depth=3
	s_or_saveexec_b32 s16, s16
	v_mov_b32_e32 v113, 0x7f800001
	s_xor_b32 exec_lo, exec_lo, s16
	s_cbranch_execz .LBB6_9702
.LBB6_10465:                            ;   in Loop: Header=BB6_7994 Depth=3
	v_cmp_ne_u16_sdwa s72, v45, v2 src0_sel:BYTE_0 src1_sel:DWORD
	v_mov_b32_e32 v113, 0
	s_andn2_b32 s23, s23, exec_lo
	s_and_b32 s72, s72, exec_lo
	s_or_b32 s23, s23, s72
	s_or_b32 exec_lo, exec_lo, s16
	s_and_saveexec_b32 s16, s23
	s_cbranch_execnz .LBB6_9703
	s_branch .LBB6_9704
.LBB6_10466:                            ;   in Loop: Header=BB6_7994 Depth=3
	s_or_saveexec_b32 s16, s16
	v_mov_b32_e32 v42, 0x7f800001
	s_xor_b32 exec_lo, exec_lo, s16
	s_cbranch_execz .LBB6_9708
.LBB6_10467:                            ;   in Loop: Header=BB6_7994 Depth=3
	v_cmp_ne_u16_sdwa s72, v14, v2 src0_sel:BYTE_0 src1_sel:DWORD
	v_mov_b32_e32 v42, 0
	s_andn2_b32 s23, s23, exec_lo
	s_and_b32 s72, s72, exec_lo
	s_or_b32 s23, s23, s72
	s_or_b32 exec_lo, exec_lo, s16
	s_and_saveexec_b32 s16, s23
	s_cbranch_execnz .LBB6_9709
	s_branch .LBB6_9710
.LBB6_10468:                            ;   in Loop: Header=BB6_7994 Depth=3
	s_or_saveexec_b32 s23, s23
	v_mov_b32_e32 v42, 0x7f800001
	s_xor_b32 exec_lo, exec_lo, s23
	s_cbranch_execz .LBB6_9722
.LBB6_10469:                            ;   in Loop: Header=BB6_7994 Depth=3
	v_cmp_ne_u16_sdwa s72, v45, v2 src0_sel:BYTE_1 src1_sel:DWORD
	v_mov_b32_e32 v42, 0
	s_andn2_b32 s16, s16, exec_lo
	s_and_b32 s72, s72, exec_lo
	s_or_b32 s16, s16, s72
	s_or_b32 exec_lo, exec_lo, s23
	s_and_saveexec_b32 s23, s16
	s_cbranch_execnz .LBB6_9723
	s_branch .LBB6_9724
.LBB6_10470:                            ;   in Loop: Header=BB6_7994 Depth=3
	s_or_saveexec_b32 s23, s23
	v_mov_b32_e32 v57, 0x7f800001
	s_xor_b32 exec_lo, exec_lo, s23
	s_cbranch_execz .LBB6_9728
.LBB6_10471:                            ;   in Loop: Header=BB6_7994 Depth=3
	v_cmp_ne_u16_sdwa s72, v14, v2 src0_sel:BYTE_1 src1_sel:DWORD
	v_mov_b32_e32 v57, 0
	s_andn2_b32 s16, s16, exec_lo
	s_and_b32 s72, s72, exec_lo
	s_or_b32 s16, s16, s72
	s_or_b32 exec_lo, exec_lo, s23
	s_and_saveexec_b32 s23, s16
	s_cbranch_execnz .LBB6_9729
	s_branch .LBB6_9730
.LBB6_10472:                            ;   in Loop: Header=BB6_7994 Depth=3
	s_or_saveexec_b32 s16, s16
	v_mov_b32_e32 v112, 0x7f800001
	s_xor_b32 exec_lo, exec_lo, s16
	s_cbranch_execz .LBB6_9742
.LBB6_10473:                            ;   in Loop: Header=BB6_7994 Depth=3
	v_cmp_ne_u16_sdwa s72, v57, v2 src0_sel:BYTE_0 src1_sel:DWORD
	v_mov_b32_e32 v112, 0
	s_andn2_b32 s23, s23, exec_lo
	s_and_b32 s72, s72, exec_lo
	s_or_b32 s23, s23, s72
	s_or_b32 exec_lo, exec_lo, s16
	v_lshl_or_b32 v45, v57, 16, v45
	s_and_saveexec_b32 s16, s23
	s_cbranch_execnz .LBB6_9743
	s_branch .LBB6_9744
.LBB6_10474:                            ;   in Loop: Header=BB6_7994 Depth=3
	s_or_saveexec_b32 s16, s16
	v_mov_b32_e32 v57, 0x7f800001
	s_xor_b32 exec_lo, exec_lo, s16
	s_cbranch_execz .LBB6_9748
.LBB6_10475:                            ;   in Loop: Header=BB6_7994 Depth=3
	v_cmp_ne_u16_e32 vcc_lo, 0, v60
	v_mov_b32_e32 v57, 0
	s_andn2_b32 s23, s23, exec_lo
	s_and_b32 s72, vcc_lo, exec_lo
	s_or_b32 s23, s23, s72
	s_or_b32 exec_lo, exec_lo, s16
	s_and_saveexec_b32 s16, s23
	s_cbranch_execnz .LBB6_9749
	s_branch .LBB6_9750
.LBB6_10476:                            ;   in Loop: Header=BB6_7994 Depth=3
	s_or_saveexec_b32 s23, s23
	v_mov_b32_e32 v57, 0x7f800001
	s_xor_b32 exec_lo, exec_lo, s23
	s_cbranch_execz .LBB6_9762
.LBB6_10477:                            ;   in Loop: Header=BB6_7994 Depth=3
	v_cmp_ne_u16_sdwa s72, v45, v2 src0_sel:BYTE_3 src1_sel:DWORD
	v_mov_b32_e32 v57, 0
	s_andn2_b32 s16, s16, exec_lo
	s_and_b32 s72, s72, exec_lo
	s_or_b32 s16, s16, s72
	s_or_b32 exec_lo, exec_lo, s23
	s_and_saveexec_b32 s23, s16
	s_cbranch_execnz .LBB6_9763
	s_branch .LBB6_9764
.LBB6_10478:                            ;   in Loop: Header=BB6_7994 Depth=3
	s_or_saveexec_b32 s23, s23
	v_mov_b32_e32 v45, 0x7f800001
	s_xor_b32 exec_lo, exec_lo, s23
	s_cbranch_execz .LBB6_9768
.LBB6_10479:                            ;   in Loop: Header=BB6_7994 Depth=3
	v_cmp_ne_u16_sdwa s72, v14, v2 src0_sel:BYTE_3 src1_sel:DWORD
	v_mov_b32_e32 v45, 0
	s_andn2_b32 s16, s16, exec_lo
	s_and_b32 s72, s72, exec_lo
	s_or_b32 s16, s16, s72
	s_or_b32 exec_lo, exec_lo, s23
	s_and_saveexec_b32 s23, s16
	s_cbranch_execnz .LBB6_9769
	s_branch .LBB6_9770
.LBB6_10480:                            ;   in Loop: Header=BB6_7994 Depth=3
	s_or_saveexec_b32 s16, s16
	v_mov_b32_e32 v51, 0x7f800001
	s_xor_b32 exec_lo, exec_lo, s16
	s_cbranch_execz .LBB6_9782
.LBB6_10481:                            ;   in Loop: Header=BB6_7994 Depth=3
	v_cmp_ne_u16_sdwa s72, v45, v2 src0_sel:BYTE_0 src1_sel:DWORD
	v_mov_b32_e32 v51, 0
	s_andn2_b32 s23, s23, exec_lo
	s_and_b32 s72, s72, exec_lo
	s_or_b32 s23, s23, s72
	s_or_b32 exec_lo, exec_lo, s16
	s_and_saveexec_b32 s16, s23
	s_cbranch_execnz .LBB6_9783
	s_branch .LBB6_9784
.LBB6_10482:                            ;   in Loop: Header=BB6_7994 Depth=3
	s_or_saveexec_b32 s16, s16
	v_mov_b32_e32 v57, 0x7f800001
	s_xor_b32 exec_lo, exec_lo, s16
	s_cbranch_execz .LBB6_9788
.LBB6_10483:                            ;   in Loop: Header=BB6_7994 Depth=3
	v_cmp_ne_u16_sdwa s72, v15, v2 src0_sel:BYTE_0 src1_sel:DWORD
	v_mov_b32_e32 v57, 0
	s_andn2_b32 s23, s23, exec_lo
	s_and_b32 s72, s72, exec_lo
	s_or_b32 s23, s23, s72
	s_or_b32 exec_lo, exec_lo, s16
	s_and_saveexec_b32 s16, s23
	s_cbranch_execnz .LBB6_9789
	s_branch .LBB6_9790
.LBB6_10484:                            ;   in Loop: Header=BB6_7994 Depth=3
	s_or_saveexec_b32 s23, s23
	v_mov_b32_e32 v57, 0x7f800001
	s_xor_b32 exec_lo, exec_lo, s23
	s_cbranch_execz .LBB6_9802
.LBB6_10485:                            ;   in Loop: Header=BB6_7994 Depth=3
	v_cmp_ne_u16_sdwa s72, v45, v2 src0_sel:BYTE_1 src1_sel:DWORD
	v_mov_b32_e32 v57, 0
	s_andn2_b32 s16, s16, exec_lo
	s_and_b32 s72, s72, exec_lo
	s_or_b32 s16, s16, s72
	s_or_b32 exec_lo, exec_lo, s23
	s_and_saveexec_b32 s23, s16
	s_cbranch_execnz .LBB6_9803
	s_branch .LBB6_9804
.LBB6_10486:                            ;   in Loop: Header=BB6_7994 Depth=3
	s_or_saveexec_b32 s23, s23
	v_mov_b32_e32 v60, 0x7f800001
	s_xor_b32 exec_lo, exec_lo, s23
	s_cbranch_execz .LBB6_9808
.LBB6_10487:                            ;   in Loop: Header=BB6_7994 Depth=3
	v_cmp_ne_u16_sdwa s72, v15, v2 src0_sel:BYTE_1 src1_sel:DWORD
	v_mov_b32_e32 v60, 0
	s_andn2_b32 s16, s16, exec_lo
	s_and_b32 s72, s72, exec_lo
	s_or_b32 s16, s16, s72
	s_or_b32 exec_lo, exec_lo, s23
	s_and_saveexec_b32 s23, s16
	s_cbranch_execnz .LBB6_9809
	s_branch .LBB6_9810
.LBB6_10488:                            ;   in Loop: Header=BB6_7994 Depth=3
	s_or_saveexec_b32 s16, s16
	v_mov_b32_e32 v60, 0x7f800001
	s_xor_b32 exec_lo, exec_lo, s16
	s_cbranch_execz .LBB6_9822
.LBB6_10489:                            ;   in Loop: Header=BB6_7994 Depth=3
	v_cmp_ne_u16_sdwa s72, v61, v2 src0_sel:BYTE_0 src1_sel:DWORD
	v_mov_b32_e32 v60, 0
	s_andn2_b32 s23, s23, exec_lo
	s_and_b32 s72, s72, exec_lo
	s_or_b32 s23, s23, s72
	s_or_b32 exec_lo, exec_lo, s16
	v_lshl_or_b32 v45, v61, 16, v45
	s_and_saveexec_b32 s16, s23
	s_cbranch_execnz .LBB6_9823
	s_branch .LBB6_9824
.LBB6_10490:                            ;   in Loop: Header=BB6_7994 Depth=3
	s_or_saveexec_b32 s16, s16
	v_mov_b32_e32 v61, 0x7f800001
	s_xor_b32 exec_lo, exec_lo, s16
	s_cbranch_execz .LBB6_9828
.LBB6_10491:                            ;   in Loop: Header=BB6_7994 Depth=3
	v_cmp_ne_u16_e32 vcc_lo, 0, v62
	v_mov_b32_e32 v61, 0
	s_andn2_b32 s23, s23, exec_lo
	s_and_b32 s72, vcc_lo, exec_lo
	s_or_b32 s23, s23, s72
	s_or_b32 exec_lo, exec_lo, s16
	s_and_saveexec_b32 s16, s23
	s_cbranch_execnz .LBB6_9829
	s_branch .LBB6_9830
.LBB6_10492:                            ;   in Loop: Header=BB6_7994 Depth=3
	s_or_saveexec_b32 s23, s23
	v_mov_b32_e32 v61, 0x7f800001
	s_xor_b32 exec_lo, exec_lo, s23
	s_cbranch_execz .LBB6_9842
.LBB6_10493:                            ;   in Loop: Header=BB6_7994 Depth=3
	v_cmp_ne_u16_sdwa s72, v45, v2 src0_sel:BYTE_3 src1_sel:DWORD
	v_mov_b32_e32 v61, 0
	s_andn2_b32 s16, s16, exec_lo
	s_and_b32 s72, s72, exec_lo
	s_or_b32 s16, s16, s72
	s_or_b32 exec_lo, exec_lo, s23
	s_and_saveexec_b32 s23, s16
	s_cbranch_execnz .LBB6_9843
	s_branch .LBB6_9844
.LBB6_10494:                            ;   in Loop: Header=BB6_7994 Depth=3
	s_or_saveexec_b32 s23, s23
	v_mov_b32_e32 v45, 0x7f800001
	s_xor_b32 exec_lo, exec_lo, s23
	s_cbranch_execz .LBB6_9848
.LBB6_10495:                            ;   in Loop: Header=BB6_7994 Depth=3
	v_cmp_ne_u16_sdwa s72, v15, v2 src0_sel:BYTE_3 src1_sel:DWORD
	v_mov_b32_e32 v45, 0
	s_andn2_b32 s16, s16, exec_lo
	s_and_b32 s72, s72, exec_lo
	s_or_b32 s16, s16, s72
	s_or_b32 exec_lo, exec_lo, s23
	s_and_saveexec_b32 s23, s16
	s_cbranch_execnz .LBB6_9849
	s_branch .LBB6_9850
.LBB6_10496:                            ;   in Loop: Header=BB6_7994 Depth=3
	s_or_saveexec_b32 s16, s16
	v_mov_b32_e32 v50, 0x7f800001
	s_xor_b32 exec_lo, exec_lo, s16
	s_cbranch_execz .LBB6_9862
.LBB6_10497:                            ;   in Loop: Header=BB6_7994 Depth=3
	v_cmp_ne_u16_sdwa s72, v45, v2 src0_sel:BYTE_0 src1_sel:DWORD
	v_mov_b32_e32 v50, 0
	s_andn2_b32 s23, s23, exec_lo
	s_and_b32 s72, s72, exec_lo
	s_or_b32 s23, s23, s72
	s_or_b32 exec_lo, exec_lo, s16
	s_and_saveexec_b32 s16, s23
	s_cbranch_execnz .LBB6_9863
	s_branch .LBB6_9864
.LBB6_10498:                            ;   in Loop: Header=BB6_7994 Depth=3
	s_or_saveexec_b32 s16, s16
	v_mov_b32_e32 v61, 0x7f800001
	s_xor_b32 exec_lo, exec_lo, s16
	s_cbranch_execz .LBB6_9868
.LBB6_10499:                            ;   in Loop: Header=BB6_7994 Depth=3
	v_cmp_ne_u16_sdwa s72, v8, v2 src0_sel:BYTE_0 src1_sel:DWORD
	v_mov_b32_e32 v61, 0
	s_andn2_b32 s23, s23, exec_lo
	s_and_b32 s72, s72, exec_lo
	s_or_b32 s23, s23, s72
	s_or_b32 exec_lo, exec_lo, s16
	s_and_saveexec_b32 s16, s23
	s_cbranch_execnz .LBB6_9869
	s_branch .LBB6_9870
.LBB6_10500:                            ;   in Loop: Header=BB6_7994 Depth=3
	s_or_saveexec_b32 s23, s23
	v_mov_b32_e32 v61, 0x7f800001
	s_xor_b32 exec_lo, exec_lo, s23
	s_cbranch_execz .LBB6_9882
.LBB6_10501:                            ;   in Loop: Header=BB6_7994 Depth=3
	v_cmp_ne_u16_sdwa s72, v45, v2 src0_sel:BYTE_1 src1_sel:DWORD
	v_mov_b32_e32 v61, 0
	s_andn2_b32 s16, s16, exec_lo
	s_and_b32 s72, s72, exec_lo
	s_or_b32 s16, s16, s72
	s_or_b32 exec_lo, exec_lo, s23
	s_and_saveexec_b32 s23, s16
	s_cbranch_execnz .LBB6_9883
	s_branch .LBB6_9884
.LBB6_10502:                            ;   in Loop: Header=BB6_7994 Depth=3
	s_or_saveexec_b32 s23, s23
	v_mov_b32_e32 v62, 0x7f800001
	s_xor_b32 exec_lo, exec_lo, s23
	s_cbranch_execz .LBB6_9888
.LBB6_10503:                            ;   in Loop: Header=BB6_7994 Depth=3
	v_cmp_ne_u16_sdwa s72, v8, v2 src0_sel:BYTE_1 src1_sel:DWORD
	v_mov_b32_e32 v62, 0
	s_andn2_b32 s16, s16, exec_lo
	s_and_b32 s72, s72, exec_lo
	s_or_b32 s16, s16, s72
	s_or_b32 exec_lo, exec_lo, s23
	s_and_saveexec_b32 s23, s16
	s_cbranch_execnz .LBB6_9889
	s_branch .LBB6_9890
.LBB6_10504:                            ;   in Loop: Header=BB6_7994 Depth=3
	s_or_saveexec_b32 s16, s16
	v_mov_b32_e32 v5, 0x7f800001
	s_xor_b32 exec_lo, exec_lo, s16
	s_cbranch_execz .LBB6_9902
.LBB6_10505:                            ;   in Loop: Header=BB6_7994 Depth=3
	v_cmp_ne_u16_sdwa s72, v62, v2 src0_sel:BYTE_0 src1_sel:DWORD
	v_mov_b32_e32 v5, 0
	s_andn2_b32 s23, s23, exec_lo
	s_and_b32 s72, s72, exec_lo
	s_or_b32 s23, s23, s72
	s_or_b32 exec_lo, exec_lo, s16
	v_lshl_or_b32 v45, v62, 16, v45
	s_and_saveexec_b32 s16, s23
	s_cbranch_execnz .LBB6_9903
	s_branch .LBB6_9904
.LBB6_10506:                            ;   in Loop: Header=BB6_7994 Depth=3
	s_or_saveexec_b32 s16, s16
	v_mov_b32_e32 v62, 0x7f800001
	s_xor_b32 exec_lo, exec_lo, s16
	s_cbranch_execz .LBB6_9908
.LBB6_10507:                            ;   in Loop: Header=BB6_7994 Depth=3
	v_cmp_ne_u16_e32 vcc_lo, 0, v63
	v_mov_b32_e32 v62, 0
	s_andn2_b32 s23, s23, exec_lo
	s_and_b32 s72, vcc_lo, exec_lo
	s_or_b32 s23, s23, s72
	s_or_b32 exec_lo, exec_lo, s16
	s_and_saveexec_b32 s16, s23
	s_cbranch_execnz .LBB6_9909
	s_branch .LBB6_9910
.LBB6_10508:                            ;   in Loop: Header=BB6_7994 Depth=3
	s_or_saveexec_b32 s23, s23
	v_mov_b32_e32 v62, 0x7f800001
	s_xor_b32 exec_lo, exec_lo, s23
	s_cbranch_execz .LBB6_9922
.LBB6_10509:                            ;   in Loop: Header=BB6_7994 Depth=3
	v_cmp_ne_u16_sdwa s72, v45, v2 src0_sel:BYTE_3 src1_sel:DWORD
	v_mov_b32_e32 v62, 0
	s_andn2_b32 s16, s16, exec_lo
	s_and_b32 s72, s72, exec_lo
	s_or_b32 s16, s16, s72
	s_or_b32 exec_lo, exec_lo, s23
	s_and_saveexec_b32 s23, s16
	s_cbranch_execnz .LBB6_9923
	s_branch .LBB6_9924
.LBB6_10510:                            ;   in Loop: Header=BB6_7994 Depth=3
	s_or_saveexec_b32 s23, s23
	v_mov_b32_e32 v45, 0x7f800001
	s_xor_b32 exec_lo, exec_lo, s23
	s_cbranch_execz .LBB6_9928
.LBB6_10511:                            ;   in Loop: Header=BB6_7994 Depth=3
	v_cmp_ne_u16_sdwa s72, v8, v2 src0_sel:BYTE_3 src1_sel:DWORD
	v_mov_b32_e32 v45, 0
	s_andn2_b32 s16, s16, exec_lo
	s_and_b32 s72, s72, exec_lo
	s_or_b32 s16, s16, s72
	s_or_b32 exec_lo, exec_lo, s23
	s_and_saveexec_b32 s23, s16
	s_cbranch_execnz .LBB6_9929
	s_branch .LBB6_9930
.LBB6_10512:                            ;   in Loop: Header=BB6_7994 Depth=3
	s_or_saveexec_b32 s16, s16
	v_mov_b32_e32 v45, 0x7f800001
	s_xor_b32 exec_lo, exec_lo, s16
	s_cbranch_execz .LBB6_9942
.LBB6_10513:                            ;   in Loop: Header=BB6_7994 Depth=3
	v_cmp_ne_u16_sdwa s72, v63, v2 src0_sel:BYTE_0 src1_sel:DWORD
	v_mov_b32_e32 v45, 0
	s_andn2_b32 s23, s23, exec_lo
	s_and_b32 s72, s72, exec_lo
	s_or_b32 s23, s23, s72
	s_or_b32 exec_lo, exec_lo, s16
	s_and_saveexec_b32 s16, s23
	s_cbranch_execnz .LBB6_9943
	s_branch .LBB6_9944
.LBB6_10514:                            ;   in Loop: Header=BB6_7994 Depth=3
	s_or_saveexec_b32 s16, s16
	v_mov_b32_e32 v62, 0x7f800001
	s_xor_b32 exec_lo, exec_lo, s16
	s_cbranch_execz .LBB6_9948
.LBB6_10515:                            ;   in Loop: Header=BB6_7994 Depth=3
	v_cmp_ne_u16_sdwa s72, v9, v2 src0_sel:BYTE_0 src1_sel:DWORD
	v_mov_b32_e32 v62, 0
	s_andn2_b32 s23, s23, exec_lo
	s_and_b32 s72, s72, exec_lo
	s_or_b32 s23, s23, s72
	s_or_b32 exec_lo, exec_lo, s16
	s_and_saveexec_b32 s16, s23
	s_cbranch_execnz .LBB6_9949
	s_branch .LBB6_9950
.LBB6_10516:                            ;   in Loop: Header=BB6_7994 Depth=3
	s_or_saveexec_b32 s23, s23
	v_mov_b32_e32 v62, 0x7f800001
	s_xor_b32 exec_lo, exec_lo, s23
	s_cbranch_execz .LBB6_9962
.LBB6_10517:                            ;   in Loop: Header=BB6_7994 Depth=3
	v_cmp_ne_u16_sdwa s72, v63, v2 src0_sel:BYTE_1 src1_sel:DWORD
	v_mov_b32_e32 v62, 0
	s_andn2_b32 s16, s16, exec_lo
	s_and_b32 s72, s72, exec_lo
	s_or_b32 s16, s16, s72
	s_or_b32 exec_lo, exec_lo, s23
	s_and_saveexec_b32 s23, s16
	s_cbranch_execnz .LBB6_9963
	s_branch .LBB6_9964
.LBB6_10518:                            ;   in Loop: Header=BB6_7994 Depth=3
	s_or_saveexec_b32 s23, s23
	v_mov_b32_e32 v72, 0x7f800001
	s_xor_b32 exec_lo, exec_lo, s23
	s_cbranch_execz .LBB6_9968
.LBB6_10519:                            ;   in Loop: Header=BB6_7994 Depth=3
	v_cmp_ne_u16_sdwa s72, v9, v2 src0_sel:BYTE_1 src1_sel:DWORD
	v_mov_b32_e32 v72, 0
	s_andn2_b32 s16, s16, exec_lo
	s_and_b32 s72, s72, exec_lo
	s_or_b32 s16, s16, s72
	s_or_b32 exec_lo, exec_lo, s23
	s_and_saveexec_b32 s23, s16
	s_cbranch_execnz .LBB6_9969
	s_branch .LBB6_9970
.LBB6_10520:                            ;   in Loop: Header=BB6_7994 Depth=3
	s_or_saveexec_b32 s16, s16
	v_mov_b32_e32 v4, 0x7f800001
	s_xor_b32 exec_lo, exec_lo, s16
	s_cbranch_execz .LBB6_9982
.LBB6_10521:                            ;   in Loop: Header=BB6_7994 Depth=3
	v_cmp_ne_u16_sdwa s72, v72, v2 src0_sel:BYTE_0 src1_sel:DWORD
	v_mov_b32_e32 v4, 0
	s_andn2_b32 s23, s23, exec_lo
	s_and_b32 s72, s72, exec_lo
	s_or_b32 s23, s23, s72
	s_or_b32 exec_lo, exec_lo, s16
	v_lshl_or_b32 v63, v72, 16, v63
	s_and_saveexec_b32 s16, s23
	s_cbranch_execnz .LBB6_9983
	s_branch .LBB6_9984
.LBB6_10522:                            ;   in Loop: Header=BB6_7994 Depth=3
	s_or_saveexec_b32 s16, s16
	v_mov_b32_e32 v72, 0x7f800001
	s_xor_b32 exec_lo, exec_lo, s16
	s_cbranch_execz .LBB6_9988
.LBB6_10523:                            ;   in Loop: Header=BB6_7994 Depth=3
	v_cmp_ne_u16_e32 vcc_lo, 0, v73
	v_mov_b32_e32 v72, 0
	s_andn2_b32 s23, s23, exec_lo
	s_and_b32 s72, vcc_lo, exec_lo
	s_or_b32 s23, s23, s72
	s_or_b32 exec_lo, exec_lo, s16
	s_and_saveexec_b32 s16, s23
	s_cbranch_execnz .LBB6_9989
	s_branch .LBB6_9990
.LBB6_10524:                            ;   in Loop: Header=BB6_7994 Depth=3
	s_or_saveexec_b32 s23, s23
	v_mov_b32_e32 v72, 0x7f800001
	s_xor_b32 exec_lo, exec_lo, s23
	s_cbranch_execz .LBB6_10002
.LBB6_10525:                            ;   in Loop: Header=BB6_7994 Depth=3
	v_cmp_ne_u16_sdwa s72, v63, v2 src0_sel:BYTE_3 src1_sel:DWORD
	v_mov_b32_e32 v72, 0
	s_andn2_b32 s16, s16, exec_lo
	s_and_b32 s72, s72, exec_lo
	s_or_b32 s16, s16, s72
	s_or_b32 exec_lo, exec_lo, s23
	s_and_saveexec_b32 s23, s16
	s_cbranch_execnz .LBB6_10003
	s_branch .LBB6_10004
.LBB6_10526:                            ;   in Loop: Header=BB6_7994 Depth=3
	s_or_saveexec_b32 s23, s23
	v_mov_b32_e32 v63, 0x7f800001
	s_xor_b32 exec_lo, exec_lo, s23
	s_cbranch_execz .LBB6_10008
.LBB6_10527:                            ;   in Loop: Header=BB6_7994 Depth=3
	v_cmp_ne_u16_sdwa s72, v9, v2 src0_sel:BYTE_3 src1_sel:DWORD
	v_mov_b32_e32 v63, 0
	s_andn2_b32 s16, s16, exec_lo
	s_and_b32 s72, s72, exec_lo
	s_or_b32 s16, s16, s72
	s_or_b32 exec_lo, exec_lo, s23
	s_and_saveexec_b32 s23, s16
	s_cbranch_execnz .LBB6_10009
	s_branch .LBB6_10010
.LBB6_10528:                            ;   in Loop: Header=BB6_7994 Depth=3
	s_or_saveexec_b32 s16, s16
	v_mov_b32_e32 v52, 0x7f800001
	s_xor_b32 exec_lo, exec_lo, s16
	s_cbranch_execz .LBB6_10022
.LBB6_10529:                            ;   in Loop: Header=BB6_7994 Depth=3
	v_cmp_ne_u16_sdwa s72, v72, v2 src0_sel:BYTE_0 src1_sel:DWORD
	v_mov_b32_e32 v52, 0
	s_andn2_b32 s23, s23, exec_lo
	s_and_b32 s72, s72, exec_lo
	s_or_b32 s23, s23, s72
	s_or_b32 exec_lo, exec_lo, s16
	s_and_saveexec_b32 s16, s23
	s_cbranch_execnz .LBB6_10023
	s_branch .LBB6_10024
.LBB6_10530:                            ;   in Loop: Header=BB6_7994 Depth=3
	s_or_saveexec_b32 s16, s16
	v_mov_b32_e32 v63, 0x7f800001
	s_xor_b32 exec_lo, exec_lo, s16
	s_cbranch_execz .LBB6_10028
.LBB6_10531:                            ;   in Loop: Header=BB6_7994 Depth=3
	v_cmp_ne_u16_sdwa s72, v10, v2 src0_sel:BYTE_0 src1_sel:DWORD
	v_mov_b32_e32 v63, 0
	s_andn2_b32 s23, s23, exec_lo
	s_and_b32 s72, s72, exec_lo
	s_or_b32 s23, s23, s72
	s_or_b32 exec_lo, exec_lo, s16
	s_and_saveexec_b32 s16, s23
	s_cbranch_execnz .LBB6_10029
	s_branch .LBB6_10030
.LBB6_10532:                            ;   in Loop: Header=BB6_7994 Depth=3
	s_or_saveexec_b32 s23, s23
	v_mov_b32_e32 v63, 0x7f800001
	s_xor_b32 exec_lo, exec_lo, s23
	s_cbranch_execz .LBB6_10042
.LBB6_10533:                            ;   in Loop: Header=BB6_7994 Depth=3
	v_cmp_ne_u16_sdwa s72, v72, v2 src0_sel:BYTE_1 src1_sel:DWORD
	v_mov_b32_e32 v63, 0
	s_andn2_b32 s16, s16, exec_lo
	s_and_b32 s72, s72, exec_lo
	s_or_b32 s16, s16, s72
	s_or_b32 exec_lo, exec_lo, s23
	s_and_saveexec_b32 s23, s16
	s_cbranch_execnz .LBB6_10043
	s_branch .LBB6_10044
.LBB6_10534:                            ;   in Loop: Header=BB6_7994 Depth=3
	s_or_saveexec_b32 s23, s23
	v_mov_b32_e32 v73, 0x7f800001
	s_xor_b32 exec_lo, exec_lo, s23
	s_cbranch_execz .LBB6_10048
.LBB6_10535:                            ;   in Loop: Header=BB6_7994 Depth=3
	v_cmp_ne_u16_sdwa s72, v10, v2 src0_sel:BYTE_1 src1_sel:DWORD
	v_mov_b32_e32 v73, 0
	s_andn2_b32 s16, s16, exec_lo
	s_and_b32 s72, s72, exec_lo
	s_or_b32 s16, s16, s72
	s_or_b32 exec_lo, exec_lo, s23
	s_and_saveexec_b32 s23, s16
	s_cbranch_execnz .LBB6_10049
	s_branch .LBB6_10050
.LBB6_10536:                            ;   in Loop: Header=BB6_7994 Depth=3
	s_or_saveexec_b32 s16, s16
	v_mov_b32_e32 v29, 0x7f800001
	s_xor_b32 exec_lo, exec_lo, s16
	s_cbranch_execz .LBB6_10062
.LBB6_10537:                            ;   in Loop: Header=BB6_7994 Depth=3
	v_cmp_ne_u16_sdwa s72, v73, v2 src0_sel:BYTE_0 src1_sel:DWORD
	v_mov_b32_e32 v29, 0
	s_andn2_b32 s23, s23, exec_lo
	s_and_b32 s72, s72, exec_lo
	s_or_b32 s23, s23, s72
	s_or_b32 exec_lo, exec_lo, s16
	v_lshl_or_b32 v72, v73, 16, v72
	s_and_saveexec_b32 s16, s23
	s_cbranch_execnz .LBB6_10063
	s_branch .LBB6_10064
.LBB6_10538:                            ;   in Loop: Header=BB6_7994 Depth=3
	s_or_saveexec_b32 s16, s16
	v_mov_b32_e32 v73, 0x7f800001
	s_xor_b32 exec_lo, exec_lo, s16
	s_cbranch_execz .LBB6_10068
.LBB6_10539:                            ;   in Loop: Header=BB6_7994 Depth=3
	v_cmp_ne_u16_e32 vcc_lo, 0, v74
	v_mov_b32_e32 v73, 0
	s_andn2_b32 s23, s23, exec_lo
	s_and_b32 s72, vcc_lo, exec_lo
	s_or_b32 s23, s23, s72
	s_or_b32 exec_lo, exec_lo, s16
	s_and_saveexec_b32 s16, s23
	s_cbranch_execnz .LBB6_10069
	s_branch .LBB6_10070
.LBB6_10540:                            ;   in Loop: Header=BB6_7994 Depth=3
	s_or_saveexec_b32 s23, s23
	v_mov_b32_e32 v73, 0x7f800001
	s_xor_b32 exec_lo, exec_lo, s23
	s_cbranch_execz .LBB6_10082
.LBB6_10541:                            ;   in Loop: Header=BB6_7994 Depth=3
	v_cmp_ne_u16_sdwa s72, v72, v2 src0_sel:BYTE_3 src1_sel:DWORD
	v_mov_b32_e32 v73, 0
	s_andn2_b32 s16, s16, exec_lo
	s_and_b32 s72, s72, exec_lo
	s_or_b32 s16, s16, s72
	s_or_b32 exec_lo, exec_lo, s23
	s_and_saveexec_b32 s23, s16
	s_cbranch_execnz .LBB6_10083
	s_branch .LBB6_10084
.LBB6_10542:                            ;   in Loop: Header=BB6_7994 Depth=3
	s_or_saveexec_b32 s23, s23
	v_mov_b32_e32 v72, 0x7f800001
	s_xor_b32 exec_lo, exec_lo, s23
	s_cbranch_execz .LBB6_10088
.LBB6_10543:                            ;   in Loop: Header=BB6_7994 Depth=3
	v_cmp_ne_u16_sdwa s72, v10, v2 src0_sel:BYTE_3 src1_sel:DWORD
	v_mov_b32_e32 v72, 0
	s_andn2_b32 s16, s16, exec_lo
	s_and_b32 s72, s72, exec_lo
	s_or_b32 s16, s16, s72
	s_or_b32 exec_lo, exec_lo, s23
	s_and_saveexec_b32 s23, s16
	s_cbranch_execnz .LBB6_10089
	s_branch .LBB6_10090
.LBB6_10544:                            ;   in Loop: Header=BB6_7994 Depth=3
	s_or_saveexec_b32 s16, s16
	v_mov_b32_e32 v26, 0x7f800001
	s_xor_b32 exec_lo, exec_lo, s16
	s_cbranch_execz .LBB6_10102
.LBB6_10545:                            ;   in Loop: Header=BB6_7994 Depth=3
	v_cmp_ne_u16_sdwa s72, v72, v2 src0_sel:BYTE_0 src1_sel:DWORD
	v_mov_b32_e32 v26, 0
	s_andn2_b32 s23, s23, exec_lo
	s_and_b32 s72, s72, exec_lo
	s_or_b32 s23, s23, s72
	s_or_b32 exec_lo, exec_lo, s16
	s_and_saveexec_b32 s16, s23
	s_cbranch_execnz .LBB6_10103
	s_branch .LBB6_10104
.LBB6_10546:                            ;   in Loop: Header=BB6_7994 Depth=3
	s_or_saveexec_b32 s16, s16
	v_mov_b32_e32 v30, 0x7f800001
	s_xor_b32 exec_lo, exec_lo, s16
	s_cbranch_execz .LBB6_10108
.LBB6_10547:                            ;   in Loop: Header=BB6_7994 Depth=3
	v_cmp_ne_u16_sdwa s72, v11, v2 src0_sel:BYTE_0 src1_sel:DWORD
	v_mov_b32_e32 v30, 0
	s_andn2_b32 s23, s23, exec_lo
	s_and_b32 s72, s72, exec_lo
	s_or_b32 s23, s23, s72
	s_or_b32 exec_lo, exec_lo, s16
	s_and_saveexec_b32 s16, s23
	s_cbranch_execnz .LBB6_10109
	s_branch .LBB6_10110
.LBB6_10548:                            ;   in Loop: Header=BB6_7994 Depth=3
	s_or_saveexec_b32 s23, s23
	v_mov_b32_e32 v30, 0x7f800001
	s_xor_b32 exec_lo, exec_lo, s23
	s_cbranch_execz .LBB6_10122
.LBB6_10549:                            ;   in Loop: Header=BB6_7994 Depth=3
	v_cmp_ne_u16_sdwa s72, v72, v2 src0_sel:BYTE_1 src1_sel:DWORD
	v_mov_b32_e32 v30, 0
	s_andn2_b32 s16, s16, exec_lo
	s_and_b32 s72, s72, exec_lo
	s_or_b32 s16, s16, s72
	s_or_b32 exec_lo, exec_lo, s23
	s_and_saveexec_b32 s23, s16
	s_cbranch_execnz .LBB6_10123
	s_branch .LBB6_10124
.LBB6_10550:                            ;   in Loop: Header=BB6_7994 Depth=3
	s_or_saveexec_b32 s23, s23
	v_mov_b32_e32 v73, 0x7f800001
	s_xor_b32 exec_lo, exec_lo, s23
	s_cbranch_execz .LBB6_10128
.LBB6_10551:                            ;   in Loop: Header=BB6_7994 Depth=3
	v_cmp_ne_u16_sdwa s72, v11, v2 src0_sel:BYTE_1 src1_sel:DWORD
	v_mov_b32_e32 v73, 0
	s_andn2_b32 s16, s16, exec_lo
	s_and_b32 s72, s72, exec_lo
	s_or_b32 s16, s16, s72
	s_or_b32 exec_lo, exec_lo, s23
	s_and_saveexec_b32 s23, s16
	s_cbranch_execnz .LBB6_10129
	s_branch .LBB6_10130
.LBB6_10552:                            ;   in Loop: Header=BB6_7994 Depth=3
	s_or_saveexec_b32 s16, s16
	v_mov_b32_e32 v25, 0x7f800001
	s_xor_b32 exec_lo, exec_lo, s16
	s_cbranch_execz .LBB6_10142
.LBB6_10553:                            ;   in Loop: Header=BB6_7994 Depth=3
	v_cmp_ne_u16_sdwa s72, v28, v2 src0_sel:BYTE_0 src1_sel:DWORD
	v_mov_b32_e32 v25, 0
	s_andn2_b32 s23, s23, exec_lo
	s_and_b32 s72, s72, exec_lo
	s_or_b32 s23, s23, s72
	s_or_b32 exec_lo, exec_lo, s16
	v_lshl_or_b32 v28, v28, 16, v72
	s_and_saveexec_b32 s16, s23
	s_cbranch_execnz .LBB6_10143
	s_branch .LBB6_10144
.LBB6_10554:                            ;   in Loop: Header=BB6_7994 Depth=3
	s_or_saveexec_b32 s16, s16
	v_mov_b32_e32 v72, 0x7f800001
	s_xor_b32 exec_lo, exec_lo, s16
	s_cbranch_execz .LBB6_10148
.LBB6_10555:                            ;   in Loop: Header=BB6_7994 Depth=3
	v_cmp_ne_u16_e32 vcc_lo, 0, v73
	v_mov_b32_e32 v72, 0
	s_andn2_b32 s23, s23, exec_lo
	s_and_b32 s72, vcc_lo, exec_lo
	s_or_b32 s23, s23, s72
	s_or_b32 exec_lo, exec_lo, s16
	s_and_saveexec_b32 s16, s23
	s_cbranch_execnz .LBB6_10149
	s_branch .LBB6_10150
.LBB6_10556:                            ;   in Loop: Header=BB6_7994 Depth=3
	s_or_saveexec_b32 s23, s23
	v_mov_b32_e32 v72, 0x7f800001
	s_xor_b32 exec_lo, exec_lo, s23
	s_cbranch_execz .LBB6_10162
.LBB6_10557:                            ;   in Loop: Header=BB6_7994 Depth=3
	v_cmp_ne_u16_sdwa s72, v28, v2 src0_sel:BYTE_3 src1_sel:DWORD
	v_mov_b32_e32 v72, 0
	s_andn2_b32 s16, s16, exec_lo
	s_and_b32 s72, s72, exec_lo
	s_or_b32 s16, s16, s72
	s_or_b32 exec_lo, exec_lo, s23
	s_and_saveexec_b32 s23, s16
	s_cbranch_execnz .LBB6_10163
	s_branch .LBB6_10164
.LBB6_10558:                            ;   in Loop: Header=BB6_7994 Depth=3
	s_or_saveexec_b32 s23, s23
	v_mov_b32_e32 v28, 0x7f800001
	s_xor_b32 exec_lo, exec_lo, s23
	s_cbranch_execz .LBB6_10168
.LBB6_10559:                            ;   in Loop: Header=BB6_7994 Depth=3
	v_cmp_ne_u16_sdwa s72, v11, v2 src0_sel:BYTE_3 src1_sel:DWORD
	v_mov_b32_e32 v28, 0
	s_andn2_b32 s16, s16, exec_lo
	s_and_b32 s72, s72, exec_lo
	s_or_b32 s16, s16, s72
	s_or_b32 exec_lo, exec_lo, s23
	s_and_saveexec_b32 s23, s16
	s_cbranch_execnz .LBB6_10169
	s_branch .LBB6_10170
.LBB6_10560:                            ;   in Loop: Header=BB6_7909 Depth=2
	s_or_b32 exec_lo, exec_lo, s18
	buffer_load_dword v1, off, s[0:3], s33 offset:280 ; 4-byte Folded Reload
.LBB6_10561:                            ;   in Loop: Header=BB6_7909 Depth=2
	s_or_b32 exec_lo, exec_lo, s17
	s_waitcnt vmcnt(0)
	v_lshlrev_b32_e32 v0, 11, v1
	buffer_load_dword v1, off, s[0:3], s33 offset:260 ; 4-byte Folded Reload
	s_mov_b32 s16, 0
                                        ; implicit-def: $vgpr4
                                        ; implicit-def: $vgpr5
	s_waitcnt vmcnt(0)
	v_cmp_ne_u32_e32 vcc_lo, v1, v0
	v_mov_b32_e32 v1, 0
	s_and_saveexec_b32 s19, vcc_lo
	s_cbranch_execz .LBB6_11217
; %bb.10562:                            ;   in Loop: Header=BB6_7909 Depth=2
	s_clause 0x1
	buffer_load_dword v4, off, s[0:3], s33 offset:420
	buffer_load_dword v5, off, s[0:3], s33 offset:260
	v_lshlrev_b32_e32 v1, 5, v79
	s_mov_b32 s72, exec_lo
	s_waitcnt vmcnt(1)
	v_sub_nc_u32_e32 v1, v4, v1
	s_waitcnt vmcnt(0)
	v_sub_nc_u32_e32 v6, v5, v0
	v_ashrrev_i32_e32 v4, 31, v1
	v_ashrrev_i32_e32 v5, 31, v6
	v_lshrrev_b32_e32 v4, 27, v4
	v_lshrrev_b32_e32 v5, 23, v5
	v_add_nc_u32_e32 v4, v1, v4
	v_add_nc_u32_e32 v8, v6, v5
	v_and_b32_e32 v7, 0xffffffe0, v4
	v_ashrrev_i32_e32 v9, 5, v4
	v_ashrrev_i32_e32 v10, 9, v8
	v_sub_nc_u32_e32 v5, v1, v7
	v_and_b32_e32 v1, 0xfffffe00, v8
	v_lshlrev_b32_e32 v7, 4, v5
	v_sub_nc_u32_e32 v4, v6, v1
	v_lshl_add_u32 v8, v9, 9, v7
	v_cmp_lt_i32_e64 s16, 15, v4
	v_sub_nc_u32_e32 v7, v6, v8
	v_add_co_ci_u32_e64 v10, null, 0, v10, s16
	v_sub_nc_u32_e32 v6, v10, v9
	v_cmpx_lt_i32_e32 15, v7
	s_cbranch_execz .LBB6_11216
; %bb.10563:                            ;   in Loop: Header=BB6_7909 Depth=2
	s_trap 2
	ds_read_b64 v[9:10], v0
	s_clause 0x1
	buffer_load_dword v12, off, s[0:3], s33 offset:264
	buffer_load_dword v13, off, s[0:3], s33 offset:268
	v_add_nc_u32_e32 v8, v8, v0
	v_ashrrev_i32_e32 v11, 31, v8
	s_waitcnt lgkmcnt(0)
	v_readfirstlane_b32 s17, v9
	s_and_b32 s18, s17, 3
	s_bfe_u32 s73, s17, 0x50002
	s_flbit_i32_b32 s22, s18
	s_min_u32 s22, s22, 32
	s_sub_i32 s23, s22, 29
	s_sub_i32 s22, 30, s22
	s_lshl_b32 s23, s17, s23
	s_and_b32 s23, s23, 3
	s_cmp_eq_u32 s73, 0
	s_cselect_b32 s22, s22, s73
	s_cselect_b32 s18, s23, s18
	s_lshl_b32 s23, s17, 24
	s_lshl_b32 s22, s22, 23
	s_and_b32 s23, s23, 0x80000000
	s_add_i32 s22, s22, 0x37800000
	s_lshl_b32 s18, s18, 21
	s_or_b32 s22, s23, s22
	s_mov_b32 s73, 0
	s_or_b32 s74, s22, s18
	s_and_b32 s75, s17, 0xff
	s_waitcnt vmcnt(1)
	v_add_co_u32 v16, vcc_lo, v8, v12
	s_waitcnt vmcnt(0)
	v_add_co_ci_u32_e64 v17, null, v11, v13, vcc_lo
	v_add_co_u32 v18, vcc_lo, v8, v82
	v_add_co_ci_u32_e64 v19, null, v11, v83, vcc_lo
	v_add_co_u32 v12, vcc_lo, v8, v69
	;; [unrolled: 2-line block ×3, first 2 shown]
	v_add_co_ci_u32_e64 v15, null, v10, v11, vcc_lo
.LBB6_10564:                            ;   Parent Loop BB6_47 Depth=1
                                        ;     Parent Loop BB6_7909 Depth=2
                                        ; =>    This Loop Header: Depth=3
                                        ;         Child Loop BB6_11117 Depth 4
	s_cmpk_lt_i32 s75, 0x80
	s_cbranch_scc1 .LBB6_10568
; %bb.10565:                            ;   in Loop: Header=BB6_10564 Depth=3
	s_and_b32 s17, 0xffff, s75
	s_cmpk_eq_i32 s17, 0x80
	s_mov_b32 s17, -1
	s_cbranch_scc0 .LBB6_10567
; %bb.10566:                            ;   in Loop: Header=BB6_10564 Depth=3
	s_mov_b32 s17, 0
.LBB6_10567:                            ;   in Loop: Header=BB6_10564 Depth=3
	s_mov_b32 s18, 0x7f800001
	s_branch .LBB6_10570
.LBB6_10568:                            ;   in Loop: Header=BB6_10564 Depth=3
	s_mov_b32 s17, 0
	s_mov_b32 s18, 0x7f800001
	s_cbranch_execz .LBB6_10570
; %bb.10569:                            ;   in Loop: Header=BB6_10564 Depth=3
	s_and_b32 s17, 0xffff, s75
	s_mov_b32 s18, 0
	s_cmp_lg_u32 s17, 0
	s_cselect_b32 s17, -1, 0
.LBB6_10570:                            ;   in Loop: Header=BB6_10564 Depth=3
	s_andn2_b32 vcc_lo, exec_lo, s17
	s_cbranch_vccnz .LBB6_10572
; %bb.10571:                            ;   in Loop: Header=BB6_10564 Depth=3
	s_mov_b32 s18, s74
.LBB6_10572:                            ;   in Loop: Header=BB6_10564 Depth=3
	global_load_dwordx4 v[8:11], v[12:13], off slc
	s_mov_b32 s17, 0
	s_waitcnt vmcnt(0)
	v_cmp_gt_i16_sdwa s22, v8, v116 src0_sel:BYTE_0 src1_sel:DWORD
	s_and_saveexec_b32 s23, s22
	s_xor_b32 s22, exec_lo, s23
	s_cbranch_execz .LBB6_11119
; %bb.10573:                            ;   in Loop: Header=BB6_10564 Depth=3
	v_cmp_eq_u16_sdwa s76, v8, v117 src0_sel:BYTE_0 src1_sel:DWORD
	s_mov_b32 s17, -1
	s_and_saveexec_b32 s23, s76
; %bb.10574:                            ;   in Loop: Header=BB6_10564 Depth=3
	s_xor_b32 s17, exec_lo, -1
; %bb.10575:                            ;   in Loop: Header=BB6_10564 Depth=3
	s_or_b32 exec_lo, exec_lo, s23
	s_and_b32 s17, s17, exec_lo
	s_or_saveexec_b32 s22, s22
	v_mov_b32_e32 v20, 0x7f800001
	s_xor_b32 exec_lo, exec_lo, s22
	s_cbranch_execnz .LBB6_11120
.LBB6_10576:                            ;   in Loop: Header=BB6_10564 Depth=3
	s_or_b32 exec_lo, exec_lo, s22
	s_and_saveexec_b32 s22, s17
	s_cbranch_execz .LBB6_10578
.LBB6_10577:                            ;   in Loop: Header=BB6_10564 Depth=3
	v_and_b32_e32 v20, 3, v8
	v_bfe_u32 v23, v8, 2, 5
	v_lshlrev_b32_e32 v24, 24, v8
	v_ffbh_u32_e32 v21, v20
	v_cmp_eq_u32_e32 vcc_lo, 0, v23
	v_min_u32_e32 v21, 32, v21
	v_subrev_nc_u32_e32 v22, 29, v21
	v_sub_nc_u32_e32 v21, 30, v21
	v_lshlrev_b32_e32 v22, v22, v8
	v_cndmask_b32_e32 v21, v23, v21, vcc_lo
	v_and_b32_e32 v22, 3, v22
	v_lshl_add_u32 v21, v21, 23, 0x37800000
	v_cndmask_b32_e32 v20, v20, v22, vcc_lo
	v_and_b32_e32 v22, 0x80000000, v24
	v_lshlrev_b32_e32 v20, 21, v20
	v_or3_b32 v20, v22, v21, v20
.LBB6_10578:                            ;   in Loop: Header=BB6_10564 Depth=3
	s_or_b32 exec_lo, exec_lo, s22
	v_mul_f32_e32 v21, s18, v20
	v_and_b32_e32 v20, 0x7f800000, v21
	v_cmp_ne_u32_e32 vcc_lo, 0x7f800000, v20
	v_mov_b32_e32 v20, 0x80
	s_and_saveexec_b32 s22, vcc_lo
	s_cbranch_execz .LBB6_10586
; %bb.10579:                            ;   in Loop: Header=BB6_10564 Depth=3
	v_mov_b32_e32 v20, 0
	s_mov_b32 s23, exec_lo
	v_cmpx_ne_u32_e32 0, v21
	s_cbranch_execz .LBB6_10585
; %bb.10580:                            ;   in Loop: Header=BB6_10564 Depth=3
	v_bfe_u32 v20, v21, 23, 8
	v_and_b32_e32 v22, 0x7fffff, v21
	v_sub_nc_u32_e32 v23, 0x70, v20
	v_cmp_gt_u32_e32 vcc_lo, 0x71, v20
	v_or_b32_e32 v24, 0x800000, v22
	v_cndmask_b32_e32 v23, 0, v23, vcc_lo
	v_cmp_eq_u32_e32 vcc_lo, 0, v20
	v_add_nc_u32_e32 v20, 0xffffff91, v20
	v_cndmask_b32_e64 v23, v23, 0x6f, vcc_lo
	v_cndmask_b32_e32 v22, v24, v22, vcc_lo
	v_cndmask_b32_e64 v20, v20, 0xffffff92, vcc_lo
	v_lshl_add_u32 v24, 0x200000, v23, -1
	v_lshrrev_b32_e32 v25, v23, v22
	v_lshlrev_b32_e64 v27, v23, 0x100000
	v_add_nc_u32_e32 v23, v23, v20
	v_and_b32_e32 v22, v24, v22
	v_bfe_u32 v26, v25, 21, 1
	v_cmp_eq_u32_e64 s17, v22, v27
	v_add_nc_u32_e32 v24, -1, v26
	v_cndmask_b32_e64 v22, 0, v24, s17
	v_lshrrev_b32_e32 v24, 23, v25
	s_mov_b32 s17, exec_lo
	v_add_nc_u32_e32 v22, v22, v25
	v_xor_b32_e32 v24, 1, v24
	v_and_b32_e32 v20, 0x1fffff, v22
	v_add_nc_u32_e32 v22, v20, v25
                                        ; implicit-def: $vgpr20
	v_cmpx_ne_u32_e64 v23, v24
	s_xor_b32 s17, exec_lo, s17
; %bb.10581:                            ;   in Loop: Header=BB6_10564 Depth=3
	v_cmp_lt_u32_e32 vcc_lo, 0xffffff, v22
	v_sub_nc_u32_e32 v20, v23, v24
	v_cndmask_b32_e64 v23, 0, 1, vcc_lo
	v_add_co_ci_u32_e64 v20, null, 0, v20, vcc_lo
	v_lshrrev_b32_e32 v22, v23, v22
; %bb.10582:                            ;   in Loop: Header=BB6_10564 Depth=3
	s_andn2_saveexec_b32 s17, s17
; %bb.10583:                            ;   in Loop: Header=BB6_10564 Depth=3
	v_bfe_u32 v20, v22, 23, 1
; %bb.10584:                            ;   in Loop: Header=BB6_10564 Depth=3
	s_or_b32 exec_lo, exec_lo, s17
	v_lshrrev_b32_e32 v22, 21, v22
	v_min_i32_e32 v23, 31, v20
	v_cmp_gt_i32_e32 vcc_lo, 32, v20
	v_and_b32_sdwa v21, v21, v117 dst_sel:DWORD dst_unused:UNUSED_PAD src0_sel:BYTE_3 src1_sel:DWORD
	v_lshlrev_b32_e32 v23, 2, v23
	v_cndmask_b32_e32 v22, 3, v22, vcc_lo
	v_and_b32_e32 v23, 0xfc, v23
	v_and_b32_e32 v24, 3, v22
	v_or_b32_e32 v20, v20, v22
	v_or3_b32 v21, v23, v21, v24
	v_cmp_ne_u32_e32 vcc_lo, 0, v20
	v_cndmask_b32_e32 v20, 0, v21, vcc_lo
.LBB6_10585:                            ;   in Loop: Header=BB6_10564 Depth=3
	s_or_b32 exec_lo, exec_lo, s23
.LBB6_10586:                            ;   in Loop: Header=BB6_10564 Depth=3
	s_or_b32 exec_lo, exec_lo, s22
	v_cmp_gt_i16_sdwa s22, v8, v116 src0_sel:BYTE_1 src1_sel:DWORD
	s_mov_b32 s17, 0
	s_and_saveexec_b32 s23, s22
	s_xor_b32 s22, exec_lo, s23
	s_cbranch_execz .LBB6_11121
; %bb.10587:                            ;   in Loop: Header=BB6_10564 Depth=3
	v_cmp_eq_u16_sdwa s76, v8, v117 src0_sel:BYTE_1 src1_sel:DWORD
	s_mov_b32 s17, -1
	s_and_saveexec_b32 s23, s76
; %bb.10588:                            ;   in Loop: Header=BB6_10564 Depth=3
	s_xor_b32 s17, exec_lo, -1
; %bb.10589:                            ;   in Loop: Header=BB6_10564 Depth=3
	s_or_b32 exec_lo, exec_lo, s23
	s_and_b32 s17, s17, exec_lo
	s_or_saveexec_b32 s22, s22
	v_mov_b32_e32 v21, 0x7f800001
	s_xor_b32 exec_lo, exec_lo, s22
	s_cbranch_execnz .LBB6_11122
.LBB6_10590:                            ;   in Loop: Header=BB6_10564 Depth=3
	s_or_b32 exec_lo, exec_lo, s22
	s_and_saveexec_b32 s22, s17
	s_cbranch_execz .LBB6_10592
.LBB6_10591:                            ;   in Loop: Header=BB6_10564 Depth=3
	v_and_b32_sdwa v21, v118, v8 dst_sel:DWORD dst_unused:UNUSED_PAD src0_sel:DWORD src1_sel:BYTE_1
	v_and_b32_e32 v22, 3, v21
	v_bfe_u32 v25, v21, 2, 5
	v_ffbh_u32_e32 v23, v22
	v_cmp_eq_u32_e32 vcc_lo, 0, v25
	v_min_u32_e32 v23, 32, v23
	v_subrev_nc_u32_e32 v24, 29, v23
	v_sub_nc_u32_e32 v23, 30, v23
	v_lshlrev_b32_e32 v21, v24, v21
	v_lshlrev_b32_sdwa v24, v119, v8 dst_sel:DWORD dst_unused:UNUSED_PAD src0_sel:DWORD src1_sel:BYTE_1
	v_cndmask_b32_e32 v23, v25, v23, vcc_lo
	v_and_b32_e32 v21, 3, v21
	v_lshl_add_u32 v23, v23, 23, 0x37800000
	v_cndmask_b32_e32 v21, v22, v21, vcc_lo
	v_and_b32_e32 v22, 0x80000000, v24
	v_lshlrev_b32_e32 v21, 21, v21
	v_or3_b32 v21, v22, v23, v21
.LBB6_10592:                            ;   in Loop: Header=BB6_10564 Depth=3
	s_or_b32 exec_lo, exec_lo, s22
	v_mul_f32_e32 v21, s18, v21
	v_mov_b32_e32 v23, 0x8000
	s_mov_b32 s22, exec_lo
	v_and_b32_e32 v22, 0x7f800000, v21
	v_cmpx_ne_u32_e32 0x7f800000, v22
	s_cbranch_execz .LBB6_10600
; %bb.10593:                            ;   in Loop: Header=BB6_10564 Depth=3
	v_mov_b32_e32 v23, 0
	s_mov_b32 s23, exec_lo
	v_cmpx_ne_u32_e32 0, v21
	s_cbranch_execz .LBB6_10599
; %bb.10594:                            ;   in Loop: Header=BB6_10564 Depth=3
	v_bfe_u32 v22, v21, 23, 8
	v_and_b32_e32 v23, 0x7fffff, v21
	v_sub_nc_u32_e32 v24, 0x70, v22
	v_cmp_gt_u32_e32 vcc_lo, 0x71, v22
	v_or_b32_e32 v25, 0x800000, v23
	v_cndmask_b32_e32 v24, 0, v24, vcc_lo
	v_cmp_eq_u32_e32 vcc_lo, 0, v22
	v_add_nc_u32_e32 v22, 0xffffff91, v22
	v_cndmask_b32_e64 v24, v24, 0x6f, vcc_lo
	v_cndmask_b32_e32 v23, v25, v23, vcc_lo
	v_cndmask_b32_e64 v22, v22, 0xffffff92, vcc_lo
	v_lshl_add_u32 v25, 0x200000, v24, -1
	v_lshrrev_b32_e32 v26, v24, v23
	v_lshlrev_b32_e64 v28, v24, 0x100000
	v_add_nc_u32_e32 v24, v24, v22
	v_and_b32_e32 v23, v25, v23
	v_bfe_u32 v27, v26, 21, 1
	v_cmp_eq_u32_e64 s17, v23, v28
	v_add_nc_u32_e32 v25, -1, v27
	v_cndmask_b32_e64 v23, 0, v25, s17
	v_lshrrev_b32_e32 v25, 23, v26
	s_mov_b32 s17, exec_lo
	v_add_nc_u32_e32 v23, v23, v26
	v_xor_b32_e32 v25, 1, v25
	v_and_b32_e32 v22, 0x1fffff, v23
	v_add_nc_u32_e32 v23, v22, v26
                                        ; implicit-def: $vgpr22
	v_cmpx_ne_u32_e64 v24, v25
	s_xor_b32 s17, exec_lo, s17
; %bb.10595:                            ;   in Loop: Header=BB6_10564 Depth=3
	v_cmp_lt_u32_e32 vcc_lo, 0xffffff, v23
	v_sub_nc_u32_e32 v22, v24, v25
	v_cndmask_b32_e64 v24, 0, 1, vcc_lo
	v_add_co_ci_u32_e64 v22, null, 0, v22, vcc_lo
	v_lshrrev_b32_e32 v23, v24, v23
; %bb.10596:                            ;   in Loop: Header=BB6_10564 Depth=3
	s_andn2_saveexec_b32 s17, s17
; %bb.10597:                            ;   in Loop: Header=BB6_10564 Depth=3
	v_bfe_u32 v22, v23, 23, 1
; %bb.10598:                            ;   in Loop: Header=BB6_10564 Depth=3
	s_or_b32 exec_lo, exec_lo, s17
	v_lshrrev_b32_e32 v23, 21, v23
	v_min_i32_e32 v24, 31, v22
	v_cmp_gt_i32_e32 vcc_lo, 32, v22
	v_and_b32_sdwa v21, v21, v117 dst_sel:DWORD dst_unused:UNUSED_PAD src0_sel:BYTE_3 src1_sel:DWORD
	v_lshlrev_b32_e32 v24, 2, v24
	v_cndmask_b32_e32 v23, 3, v23, vcc_lo
	v_and_b32_e32 v24, 0xfc, v24
	v_and_b32_e32 v25, 3, v23
	v_or_b32_e32 v22, v22, v23
	v_or3_b32 v21, v21, v24, v25
	v_cmp_ne_u32_e32 vcc_lo, 0, v22
	v_lshlrev_b32_e32 v21, 8, v21
	v_cndmask_b32_e32 v23, 0, v21, vcc_lo
.LBB6_10599:                            ;   in Loop: Header=BB6_10564 Depth=3
	s_or_b32 exec_lo, exec_lo, s23
.LBB6_10600:                            ;   in Loop: Header=BB6_10564 Depth=3
	s_or_b32 exec_lo, exec_lo, s22
	v_and_b32_sdwa v22, v8, v40 dst_sel:DWORD dst_unused:UNUSED_PAD src0_sel:WORD_1 src1_sel:DWORD
	s_mov_b32 s17, 0
	s_mov_b32 s22, exec_lo
	v_cmpx_lt_i16_e32 0x7f, v22
	s_xor_b32 s22, exec_lo, s22
	s_cbranch_execz .LBB6_11123
; %bb.10601:                            ;   in Loop: Header=BB6_10564 Depth=3
	s_mov_b32 s17, -1
	s_mov_b32 s23, exec_lo
	v_cmpx_eq_u16_e32 0x80, v22
; %bb.10602:                            ;   in Loop: Header=BB6_10564 Depth=3
	s_xor_b32 s17, exec_lo, -1
; %bb.10603:                            ;   in Loop: Header=BB6_10564 Depth=3
	s_or_b32 exec_lo, exec_lo, s23
	s_and_b32 s17, s17, exec_lo
                                        ; implicit-def: $vgpr22
	s_or_saveexec_b32 s22, s22
	v_mov_b32_e32 v21, 0x7f800001
	s_xor_b32 exec_lo, exec_lo, s22
	s_cbranch_execnz .LBB6_11124
.LBB6_10604:                            ;   in Loop: Header=BB6_10564 Depth=3
	s_or_b32 exec_lo, exec_lo, s22
	s_and_saveexec_b32 s22, s17
	s_cbranch_execz .LBB6_10606
.LBB6_10605:                            ;   in Loop: Header=BB6_10564 Depth=3
	v_bfe_u32 v21, v8, 16, 2
	v_bfe_u32 v25, v8, 18, 5
	v_lshlrev_b32_e32 v26, 8, v8
	v_ffbh_u32_e32 v22, v21
	v_cmp_eq_u32_e32 vcc_lo, 0, v25
	v_min_u32_e32 v22, 32, v22
	v_subrev_nc_u32_e32 v24, 29, v22
	v_sub_nc_u32_e32 v22, 30, v22
	v_lshlrev_b32_sdwa v24, v24, v8 dst_sel:DWORD dst_unused:UNUSED_PAD src0_sel:DWORD src1_sel:WORD_1
	v_cndmask_b32_e32 v22, v25, v22, vcc_lo
	v_and_b32_e32 v24, 3, v24
	v_lshl_add_u32 v22, v22, 23, 0x37800000
	v_cndmask_b32_e32 v21, v21, v24, vcc_lo
	v_and_b32_e32 v24, 0x80000000, v26
	v_lshlrev_b32_e32 v21, 21, v21
	v_or3_b32 v21, v24, v22, v21
.LBB6_10606:                            ;   in Loop: Header=BB6_10564 Depth=3
	s_or_b32 exec_lo, exec_lo, s22
	v_mul_f32_e32 v21, s18, v21
	v_mov_b32_e32 v28, 0x80
	s_mov_b32 s22, exec_lo
	v_and_b32_e32 v22, 0x7f800000, v21
	v_cmpx_ne_u32_e32 0x7f800000, v22
	s_cbranch_execz .LBB6_10614
; %bb.10607:                            ;   in Loop: Header=BB6_10564 Depth=3
	v_mov_b32_e32 v28, 0
	s_mov_b32 s23, exec_lo
	v_cmpx_ne_u32_e32 0, v21
	s_cbranch_execz .LBB6_10613
; %bb.10608:                            ;   in Loop: Header=BB6_10564 Depth=3
	v_bfe_u32 v22, v21, 23, 8
	v_and_b32_e32 v24, 0x7fffff, v21
	v_sub_nc_u32_e32 v25, 0x70, v22
	v_cmp_gt_u32_e32 vcc_lo, 0x71, v22
	v_or_b32_e32 v26, 0x800000, v24
	v_cndmask_b32_e32 v25, 0, v25, vcc_lo
	v_cmp_eq_u32_e32 vcc_lo, 0, v22
	v_add_nc_u32_e32 v22, 0xffffff91, v22
	v_cndmask_b32_e64 v25, v25, 0x6f, vcc_lo
	v_cndmask_b32_e32 v24, v26, v24, vcc_lo
	v_cndmask_b32_e64 v22, v22, 0xffffff92, vcc_lo
	v_lshl_add_u32 v26, 0x200000, v25, -1
	v_lshrrev_b32_e32 v27, v25, v24
	v_lshlrev_b32_e64 v29, v25, 0x100000
	v_add_nc_u32_e32 v25, v25, v22
	v_and_b32_e32 v24, v26, v24
	v_bfe_u32 v28, v27, 21, 1
	v_cmp_eq_u32_e64 s17, v24, v29
	v_add_nc_u32_e32 v26, -1, v28
	v_cndmask_b32_e64 v24, 0, v26, s17
	v_lshrrev_b32_e32 v26, 23, v27
	s_mov_b32 s17, exec_lo
	v_add_nc_u32_e32 v24, v24, v27
	v_xor_b32_e32 v26, 1, v26
	v_and_b32_e32 v22, 0x1fffff, v24
	v_add_nc_u32_e32 v24, v22, v27
                                        ; implicit-def: $vgpr22
	v_cmpx_ne_u32_e64 v25, v26
	s_xor_b32 s17, exec_lo, s17
; %bb.10609:                            ;   in Loop: Header=BB6_10564 Depth=3
	v_cmp_lt_u32_e32 vcc_lo, 0xffffff, v24
	v_sub_nc_u32_e32 v22, v25, v26
	v_cndmask_b32_e64 v25, 0, 1, vcc_lo
	v_add_co_ci_u32_e64 v22, null, 0, v22, vcc_lo
	v_lshrrev_b32_e32 v24, v25, v24
; %bb.10610:                            ;   in Loop: Header=BB6_10564 Depth=3
	s_andn2_saveexec_b32 s17, s17
; %bb.10611:                            ;   in Loop: Header=BB6_10564 Depth=3
	v_bfe_u32 v22, v24, 23, 1
; %bb.10612:                            ;   in Loop: Header=BB6_10564 Depth=3
	s_or_b32 exec_lo, exec_lo, s17
	v_lshrrev_b32_e32 v24, 21, v24
	v_min_i32_e32 v25, 31, v22
	v_cmp_gt_i32_e32 vcc_lo, 32, v22
	v_and_b32_sdwa v21, v21, v117 dst_sel:DWORD dst_unused:UNUSED_PAD src0_sel:BYTE_3 src1_sel:DWORD
	v_lshlrev_b32_e32 v25, 2, v25
	v_cndmask_b32_e32 v24, 3, v24, vcc_lo
	v_and_b32_e32 v25, 0xfc, v25
	v_and_b32_e32 v26, 3, v24
	v_or_b32_e32 v22, v22, v24
	v_or3_b32 v21, v25, v21, v26
	v_cmp_ne_u32_e32 vcc_lo, 0, v22
	v_cndmask_b32_e32 v28, 0, v21, vcc_lo
.LBB6_10613:                            ;   in Loop: Header=BB6_10564 Depth=3
	s_or_b32 exec_lo, exec_lo, s23
.LBB6_10614:                            ;   in Loop: Header=BB6_10564 Depth=3
	s_or_b32 exec_lo, exec_lo, s22
	v_cmp_gt_i16_sdwa s22, v8, v116 src0_sel:BYTE_3 src1_sel:DWORD
	s_mov_b32 s17, 0
	s_and_saveexec_b32 s23, s22
	s_xor_b32 s22, exec_lo, s23
	s_cbranch_execz .LBB6_11125
; %bb.10615:                            ;   in Loop: Header=BB6_10564 Depth=3
	v_cmp_eq_u16_sdwa s76, v8, v117 src0_sel:BYTE_3 src1_sel:DWORD
	s_mov_b32 s17, -1
	s_and_saveexec_b32 s23, s76
; %bb.10616:                            ;   in Loop: Header=BB6_10564 Depth=3
	s_xor_b32 s17, exec_lo, -1
; %bb.10617:                            ;   in Loop: Header=BB6_10564 Depth=3
	s_or_b32 exec_lo, exec_lo, s23
	s_and_b32 s17, s17, exec_lo
	s_or_saveexec_b32 s22, s22
	v_mov_b32_e32 v21, 0x7f800001
	s_xor_b32 exec_lo, exec_lo, s22
	s_cbranch_execnz .LBB6_11126
.LBB6_10618:                            ;   in Loop: Header=BB6_10564 Depth=3
	s_or_b32 exec_lo, exec_lo, s22
	s_and_saveexec_b32 s22, s17
	s_cbranch_execz .LBB6_10620
.LBB6_10619:                            ;   in Loop: Header=BB6_10564 Depth=3
	v_bfe_u32 v21, v8, 24, 2
	v_bfe_u32 v25, v8, 26, 5
	v_ffbh_u32_e32 v22, v21
	v_cmp_eq_u32_e32 vcc_lo, 0, v25
	v_min_u32_e32 v22, 32, v22
	v_subrev_nc_u32_e32 v24, 29, v22
	v_sub_nc_u32_e32 v22, 30, v22
	v_lshlrev_b32_sdwa v24, v24, v8 dst_sel:DWORD dst_unused:UNUSED_PAD src0_sel:DWORD src1_sel:BYTE_3
	v_cndmask_b32_e32 v22, v25, v22, vcc_lo
	v_and_b32_e32 v8, 0x80000000, v8
	v_and_b32_e32 v24, 3, v24
	v_lshl_add_u32 v22, v22, 23, 0x37800000
	v_cndmask_b32_e32 v21, v21, v24, vcc_lo
	v_lshlrev_b32_e32 v21, 21, v21
	v_or3_b32 v21, v8, v22, v21
.LBB6_10620:                            ;   in Loop: Header=BB6_10564 Depth=3
	s_or_b32 exec_lo, exec_lo, s22
	v_mul_f32_e32 v8, s18, v21
	v_mov_b32_e32 v51, 0x8000
	s_mov_b32 s22, exec_lo
	v_and_b32_e32 v21, 0x7f800000, v8
	v_cmpx_ne_u32_e32 0x7f800000, v21
	s_cbranch_execz .LBB6_10628
; %bb.10621:                            ;   in Loop: Header=BB6_10564 Depth=3
	v_mov_b32_e32 v51, 0
	s_mov_b32 s23, exec_lo
	v_cmpx_ne_u32_e32 0, v8
	s_cbranch_execz .LBB6_10627
; %bb.10622:                            ;   in Loop: Header=BB6_10564 Depth=3
	v_bfe_u32 v21, v8, 23, 8
	v_and_b32_e32 v22, 0x7fffff, v8
	v_sub_nc_u32_e32 v24, 0x70, v21
	v_cmp_gt_u32_e32 vcc_lo, 0x71, v21
	v_or_b32_e32 v25, 0x800000, v22
	v_cndmask_b32_e32 v24, 0, v24, vcc_lo
	v_cmp_eq_u32_e32 vcc_lo, 0, v21
	v_add_nc_u32_e32 v21, 0xffffff91, v21
	v_cndmask_b32_e64 v24, v24, 0x6f, vcc_lo
	v_cndmask_b32_e32 v22, v25, v22, vcc_lo
	v_cndmask_b32_e64 v21, v21, 0xffffff92, vcc_lo
	v_lshl_add_u32 v25, 0x200000, v24, -1
	v_lshrrev_b32_e32 v26, v24, v22
	v_lshlrev_b32_e64 v29, v24, 0x100000
	v_add_nc_u32_e32 v24, v24, v21
	v_and_b32_e32 v22, v25, v22
	v_bfe_u32 v27, v26, 21, 1
	v_cmp_eq_u32_e64 s17, v22, v29
	v_add_nc_u32_e32 v25, -1, v27
	v_cndmask_b32_e64 v22, 0, v25, s17
	v_lshrrev_b32_e32 v25, 23, v26
	s_mov_b32 s17, exec_lo
	v_add_nc_u32_e32 v22, v22, v26
	v_xor_b32_e32 v25, 1, v25
	v_and_b32_e32 v21, 0x1fffff, v22
	v_add_nc_u32_e32 v22, v21, v26
                                        ; implicit-def: $vgpr21
	v_cmpx_ne_u32_e64 v24, v25
	s_xor_b32 s17, exec_lo, s17
; %bb.10623:                            ;   in Loop: Header=BB6_10564 Depth=3
	v_cmp_lt_u32_e32 vcc_lo, 0xffffff, v22
	v_sub_nc_u32_e32 v21, v24, v25
	v_cndmask_b32_e64 v24, 0, 1, vcc_lo
	v_add_co_ci_u32_e64 v21, null, 0, v21, vcc_lo
	v_lshrrev_b32_e32 v22, v24, v22
; %bb.10624:                            ;   in Loop: Header=BB6_10564 Depth=3
	s_andn2_saveexec_b32 s17, s17
; %bb.10625:                            ;   in Loop: Header=BB6_10564 Depth=3
	v_bfe_u32 v21, v22, 23, 1
; %bb.10626:                            ;   in Loop: Header=BB6_10564 Depth=3
	s_or_b32 exec_lo, exec_lo, s17
	v_lshrrev_b32_e32 v22, 21, v22
	v_min_i32_e32 v24, 31, v21
	v_cmp_gt_i32_e32 vcc_lo, 32, v21
	v_and_b32_sdwa v8, v8, v117 dst_sel:DWORD dst_unused:UNUSED_PAD src0_sel:BYTE_3 src1_sel:DWORD
	v_lshlrev_b32_e32 v24, 2, v24
	v_cndmask_b32_e32 v22, 3, v22, vcc_lo
	v_and_b32_e32 v24, 0xfc, v24
	v_and_b32_e32 v25, 3, v22
	v_or_b32_e32 v21, v21, v22
	v_or3_b32 v8, v8, v24, v25
	v_cmp_ne_u32_e32 vcc_lo, 0, v21
	v_lshlrev_b32_e32 v8, 8, v8
	v_cndmask_b32_e32 v51, 0, v8, vcc_lo
.LBB6_10627:                            ;   in Loop: Header=BB6_10564 Depth=3
	s_or_b32 exec_lo, exec_lo, s23
.LBB6_10628:                            ;   in Loop: Header=BB6_10564 Depth=3
	s_or_b32 exec_lo, exec_lo, s22
	v_cmp_gt_i16_sdwa s22, v9, v116 src0_sel:BYTE_0 src1_sel:DWORD
	s_mov_b32 s17, 0
	s_and_saveexec_b32 s23, s22
	s_xor_b32 s22, exec_lo, s23
	s_cbranch_execz .LBB6_11127
; %bb.10629:                            ;   in Loop: Header=BB6_10564 Depth=3
	v_cmp_eq_u16_sdwa s76, v9, v117 src0_sel:BYTE_0 src1_sel:DWORD
	s_mov_b32 s17, -1
	s_and_saveexec_b32 s23, s76
; %bb.10630:                            ;   in Loop: Header=BB6_10564 Depth=3
	s_xor_b32 s17, exec_lo, -1
; %bb.10631:                            ;   in Loop: Header=BB6_10564 Depth=3
	s_or_b32 exec_lo, exec_lo, s23
	s_and_b32 s17, s17, exec_lo
	s_or_saveexec_b32 s22, s22
	v_mov_b32_e32 v8, 0x7f800001
	s_xor_b32 exec_lo, exec_lo, s22
	s_cbranch_execnz .LBB6_11128
.LBB6_10632:                            ;   in Loop: Header=BB6_10564 Depth=3
	s_or_b32 exec_lo, exec_lo, s22
	s_and_saveexec_b32 s22, s17
	s_cbranch_execz .LBB6_10634
.LBB6_10633:                            ;   in Loop: Header=BB6_10564 Depth=3
	v_and_b32_e32 v8, 3, v9
	v_bfe_u32 v24, v9, 2, 5
	v_lshlrev_b32_e32 v25, 24, v9
	v_ffbh_u32_e32 v21, v8
	v_cmp_eq_u32_e32 vcc_lo, 0, v24
	v_min_u32_e32 v21, 32, v21
	v_subrev_nc_u32_e32 v22, 29, v21
	v_sub_nc_u32_e32 v21, 30, v21
	v_lshlrev_b32_e32 v22, v22, v9
	v_cndmask_b32_e32 v21, v24, v21, vcc_lo
	v_and_b32_e32 v22, 3, v22
	v_lshl_add_u32 v21, v21, 23, 0x37800000
	v_cndmask_b32_e32 v8, v8, v22, vcc_lo
	v_and_b32_e32 v22, 0x80000000, v25
	v_lshlrev_b32_e32 v8, 21, v8
	v_or3_b32 v8, v22, v21, v8
.LBB6_10634:                            ;   in Loop: Header=BB6_10564 Depth=3
	s_or_b32 exec_lo, exec_lo, s22
	v_mul_f32_e32 v8, s18, v8
	v_mov_b32_e32 v36, 0x80
	s_mov_b32 s22, exec_lo
	v_and_b32_e32 v21, 0x7f800000, v8
	v_cmpx_ne_u32_e32 0x7f800000, v21
	s_cbranch_execz .LBB6_10642
; %bb.10635:                            ;   in Loop: Header=BB6_10564 Depth=3
	v_mov_b32_e32 v36, 0
	s_mov_b32 s23, exec_lo
	v_cmpx_ne_u32_e32 0, v8
	s_cbranch_execz .LBB6_10641
; %bb.10636:                            ;   in Loop: Header=BB6_10564 Depth=3
	v_bfe_u32 v21, v8, 23, 8
	v_and_b32_e32 v22, 0x7fffff, v8
	v_sub_nc_u32_e32 v24, 0x70, v21
	v_cmp_gt_u32_e32 vcc_lo, 0x71, v21
	v_or_b32_e32 v25, 0x800000, v22
	v_cndmask_b32_e32 v24, 0, v24, vcc_lo
	v_cmp_eq_u32_e32 vcc_lo, 0, v21
	v_add_nc_u32_e32 v21, 0xffffff91, v21
	v_cndmask_b32_e64 v24, v24, 0x6f, vcc_lo
	v_cndmask_b32_e32 v22, v25, v22, vcc_lo
	v_cndmask_b32_e64 v21, v21, 0xffffff92, vcc_lo
	v_lshl_add_u32 v25, 0x200000, v24, -1
	v_lshrrev_b32_e32 v26, v24, v22
	v_lshlrev_b32_e64 v29, v24, 0x100000
	v_add_nc_u32_e32 v24, v24, v21
	v_and_b32_e32 v22, v25, v22
	v_bfe_u32 v27, v26, 21, 1
	v_cmp_eq_u32_e64 s17, v22, v29
	v_add_nc_u32_e32 v25, -1, v27
	v_cndmask_b32_e64 v22, 0, v25, s17
	v_lshrrev_b32_e32 v25, 23, v26
	s_mov_b32 s17, exec_lo
	v_add_nc_u32_e32 v22, v22, v26
	v_xor_b32_e32 v25, 1, v25
	v_and_b32_e32 v21, 0x1fffff, v22
	v_add_nc_u32_e32 v22, v21, v26
                                        ; implicit-def: $vgpr21
	v_cmpx_ne_u32_e64 v24, v25
	s_xor_b32 s17, exec_lo, s17
; %bb.10637:                            ;   in Loop: Header=BB6_10564 Depth=3
	v_cmp_lt_u32_e32 vcc_lo, 0xffffff, v22
	v_sub_nc_u32_e32 v21, v24, v25
	v_cndmask_b32_e64 v24, 0, 1, vcc_lo
	v_add_co_ci_u32_e64 v21, null, 0, v21, vcc_lo
	v_lshrrev_b32_e32 v22, v24, v22
; %bb.10638:                            ;   in Loop: Header=BB6_10564 Depth=3
	s_andn2_saveexec_b32 s17, s17
; %bb.10639:                            ;   in Loop: Header=BB6_10564 Depth=3
	v_bfe_u32 v21, v22, 23, 1
; %bb.10640:                            ;   in Loop: Header=BB6_10564 Depth=3
	s_or_b32 exec_lo, exec_lo, s17
	v_lshrrev_b32_e32 v22, 21, v22
	v_min_i32_e32 v24, 31, v21
	v_cmp_gt_i32_e32 vcc_lo, 32, v21
	v_and_b32_sdwa v8, v8, v117 dst_sel:DWORD dst_unused:UNUSED_PAD src0_sel:BYTE_3 src1_sel:DWORD
	v_lshlrev_b32_e32 v24, 2, v24
	v_cndmask_b32_e32 v22, 3, v22, vcc_lo
	v_and_b32_e32 v24, 0xfc, v24
	v_and_b32_e32 v25, 3, v22
	v_or_b32_e32 v21, v21, v22
	v_or3_b32 v8, v24, v8, v25
	v_cmp_ne_u32_e32 vcc_lo, 0, v21
	v_cndmask_b32_e32 v36, 0, v8, vcc_lo
.LBB6_10641:                            ;   in Loop: Header=BB6_10564 Depth=3
	s_or_b32 exec_lo, exec_lo, s23
.LBB6_10642:                            ;   in Loop: Header=BB6_10564 Depth=3
	s_or_b32 exec_lo, exec_lo, s22
	v_cmp_gt_i16_sdwa s22, v9, v116 src0_sel:BYTE_1 src1_sel:DWORD
	s_mov_b32 s17, 0
	s_and_saveexec_b32 s23, s22
	s_xor_b32 s22, exec_lo, s23
	s_cbranch_execz .LBB6_11129
; %bb.10643:                            ;   in Loop: Header=BB6_10564 Depth=3
	v_cmp_eq_u16_sdwa s76, v9, v117 src0_sel:BYTE_1 src1_sel:DWORD
	s_mov_b32 s17, -1
	s_and_saveexec_b32 s23, s76
; %bb.10644:                            ;   in Loop: Header=BB6_10564 Depth=3
	s_xor_b32 s17, exec_lo, -1
; %bb.10645:                            ;   in Loop: Header=BB6_10564 Depth=3
	s_or_b32 exec_lo, exec_lo, s23
	s_and_b32 s17, s17, exec_lo
	s_or_saveexec_b32 s22, s22
	v_mov_b32_e32 v8, 0x7f800001
	s_xor_b32 exec_lo, exec_lo, s22
	s_cbranch_execnz .LBB6_11130
.LBB6_10646:                            ;   in Loop: Header=BB6_10564 Depth=3
	s_or_b32 exec_lo, exec_lo, s22
	s_and_saveexec_b32 s22, s17
	s_cbranch_execz .LBB6_10648
.LBB6_10647:                            ;   in Loop: Header=BB6_10564 Depth=3
	v_and_b32_sdwa v8, v118, v9 dst_sel:DWORD dst_unused:UNUSED_PAD src0_sel:DWORD src1_sel:BYTE_1
	v_and_b32_e32 v21, 3, v8
	v_bfe_u32 v25, v8, 2, 5
	v_ffbh_u32_e32 v22, v21
	v_cmp_eq_u32_e32 vcc_lo, 0, v25
	v_min_u32_e32 v22, 32, v22
	v_subrev_nc_u32_e32 v24, 29, v22
	v_sub_nc_u32_e32 v22, 30, v22
	v_lshlrev_b32_e32 v8, v24, v8
	v_lshlrev_b32_sdwa v24, v119, v9 dst_sel:DWORD dst_unused:UNUSED_PAD src0_sel:DWORD src1_sel:BYTE_1
	v_cndmask_b32_e32 v22, v25, v22, vcc_lo
	v_and_b32_e32 v8, 3, v8
	v_lshl_add_u32 v22, v22, 23, 0x37800000
	v_cndmask_b32_e32 v8, v21, v8, vcc_lo
	v_and_b32_e32 v21, 0x80000000, v24
	v_lshlrev_b32_e32 v8, 21, v8
	v_or3_b32 v8, v21, v22, v8
.LBB6_10648:                            ;   in Loop: Header=BB6_10564 Depth=3
	s_or_b32 exec_lo, exec_lo, s22
	v_mul_f32_e32 v8, s18, v8
	v_mov_b32_e32 v50, 0x8000
	s_mov_b32 s22, exec_lo
	v_and_b32_e32 v21, 0x7f800000, v8
	v_cmpx_ne_u32_e32 0x7f800000, v21
	s_cbranch_execz .LBB6_10656
; %bb.10649:                            ;   in Loop: Header=BB6_10564 Depth=3
	v_mov_b32_e32 v50, 0
	s_mov_b32 s23, exec_lo
	v_cmpx_ne_u32_e32 0, v8
	s_cbranch_execz .LBB6_10655
; %bb.10650:                            ;   in Loop: Header=BB6_10564 Depth=3
	v_bfe_u32 v21, v8, 23, 8
	v_and_b32_e32 v22, 0x7fffff, v8
	v_sub_nc_u32_e32 v24, 0x70, v21
	v_cmp_gt_u32_e32 vcc_lo, 0x71, v21
	v_or_b32_e32 v25, 0x800000, v22
	v_cndmask_b32_e32 v24, 0, v24, vcc_lo
	v_cmp_eq_u32_e32 vcc_lo, 0, v21
	v_add_nc_u32_e32 v21, 0xffffff91, v21
	v_cndmask_b32_e64 v24, v24, 0x6f, vcc_lo
	v_cndmask_b32_e32 v22, v25, v22, vcc_lo
	v_cndmask_b32_e64 v21, v21, 0xffffff92, vcc_lo
	v_lshl_add_u32 v25, 0x200000, v24, -1
	v_lshrrev_b32_e32 v26, v24, v22
	v_lshlrev_b32_e64 v29, v24, 0x100000
	v_add_nc_u32_e32 v24, v24, v21
	v_and_b32_e32 v22, v25, v22
	v_bfe_u32 v27, v26, 21, 1
	v_cmp_eq_u32_e64 s17, v22, v29
	v_add_nc_u32_e32 v25, -1, v27
	v_cndmask_b32_e64 v22, 0, v25, s17
	v_lshrrev_b32_e32 v25, 23, v26
	s_mov_b32 s17, exec_lo
	v_add_nc_u32_e32 v22, v22, v26
	v_xor_b32_e32 v25, 1, v25
	v_and_b32_e32 v21, 0x1fffff, v22
	v_add_nc_u32_e32 v22, v21, v26
                                        ; implicit-def: $vgpr21
	v_cmpx_ne_u32_e64 v24, v25
	s_xor_b32 s17, exec_lo, s17
; %bb.10651:                            ;   in Loop: Header=BB6_10564 Depth=3
	v_cmp_lt_u32_e32 vcc_lo, 0xffffff, v22
	v_sub_nc_u32_e32 v21, v24, v25
	v_cndmask_b32_e64 v24, 0, 1, vcc_lo
	v_add_co_ci_u32_e64 v21, null, 0, v21, vcc_lo
	v_lshrrev_b32_e32 v22, v24, v22
; %bb.10652:                            ;   in Loop: Header=BB6_10564 Depth=3
	s_andn2_saveexec_b32 s17, s17
; %bb.10653:                            ;   in Loop: Header=BB6_10564 Depth=3
	v_bfe_u32 v21, v22, 23, 1
; %bb.10654:                            ;   in Loop: Header=BB6_10564 Depth=3
	s_or_b32 exec_lo, exec_lo, s17
	v_lshrrev_b32_e32 v22, 21, v22
	v_min_i32_e32 v24, 31, v21
	v_cmp_gt_i32_e32 vcc_lo, 32, v21
	v_and_b32_sdwa v8, v8, v117 dst_sel:DWORD dst_unused:UNUSED_PAD src0_sel:BYTE_3 src1_sel:DWORD
	v_lshlrev_b32_e32 v24, 2, v24
	v_cndmask_b32_e32 v22, 3, v22, vcc_lo
	v_and_b32_e32 v24, 0xfc, v24
	v_and_b32_e32 v25, 3, v22
	v_or_b32_e32 v21, v21, v22
	v_or3_b32 v8, v8, v24, v25
	v_cmp_ne_u32_e32 vcc_lo, 0, v21
	v_lshlrev_b32_e32 v8, 8, v8
	v_cndmask_b32_e32 v50, 0, v8, vcc_lo
.LBB6_10655:                            ;   in Loop: Header=BB6_10564 Depth=3
	s_or_b32 exec_lo, exec_lo, s23
.LBB6_10656:                            ;   in Loop: Header=BB6_10564 Depth=3
	s_or_b32 exec_lo, exec_lo, s22
	v_and_b32_sdwa v21, v9, v40 dst_sel:DWORD dst_unused:UNUSED_PAD src0_sel:WORD_1 src1_sel:DWORD
	s_mov_b32 s17, 0
	s_mov_b32 s22, exec_lo
	v_cmpx_lt_i16_e32 0x7f, v21
	s_xor_b32 s22, exec_lo, s22
	s_cbranch_execz .LBB6_11131
; %bb.10657:                            ;   in Loop: Header=BB6_10564 Depth=3
	s_mov_b32 s17, -1
	s_mov_b32 s23, exec_lo
	v_cmpx_eq_u16_e32 0x80, v21
; %bb.10658:                            ;   in Loop: Header=BB6_10564 Depth=3
	s_xor_b32 s17, exec_lo, -1
; %bb.10659:                            ;   in Loop: Header=BB6_10564 Depth=3
	s_or_b32 exec_lo, exec_lo, s23
	s_and_b32 s17, s17, exec_lo
                                        ; implicit-def: $vgpr21
	s_or_saveexec_b32 s22, s22
	v_mov_b32_e32 v8, 0x7f800001
	s_xor_b32 exec_lo, exec_lo, s22
	s_cbranch_execnz .LBB6_11132
.LBB6_10660:                            ;   in Loop: Header=BB6_10564 Depth=3
	s_or_b32 exec_lo, exec_lo, s22
	s_and_saveexec_b32 s22, s17
	s_cbranch_execz .LBB6_10662
.LBB6_10661:                            ;   in Loop: Header=BB6_10564 Depth=3
	v_bfe_u32 v8, v9, 16, 2
	v_bfe_u32 v24, v9, 18, 5
	v_lshlrev_b32_e32 v25, 8, v9
	v_ffbh_u32_e32 v21, v8
	v_cmp_eq_u32_e32 vcc_lo, 0, v24
	v_min_u32_e32 v21, 32, v21
	v_subrev_nc_u32_e32 v22, 29, v21
	v_sub_nc_u32_e32 v21, 30, v21
	v_lshlrev_b32_sdwa v22, v22, v9 dst_sel:DWORD dst_unused:UNUSED_PAD src0_sel:DWORD src1_sel:WORD_1
	v_cndmask_b32_e32 v21, v24, v21, vcc_lo
	v_and_b32_e32 v22, 3, v22
	v_lshl_add_u32 v21, v21, 23, 0x37800000
	v_cndmask_b32_e32 v8, v8, v22, vcc_lo
	v_and_b32_e32 v22, 0x80000000, v25
	v_lshlrev_b32_e32 v8, 21, v8
	v_or3_b32 v8, v22, v21, v8
.LBB6_10662:                            ;   in Loop: Header=BB6_10564 Depth=3
	s_or_b32 exec_lo, exec_lo, s22
	v_mul_f32_e32 v8, s18, v8
	v_mov_b32_e32 v30, 0x80
	s_mov_b32 s22, exec_lo
	v_and_b32_e32 v21, 0x7f800000, v8
	v_cmpx_ne_u32_e32 0x7f800000, v21
	s_cbranch_execz .LBB6_10670
; %bb.10663:                            ;   in Loop: Header=BB6_10564 Depth=3
	v_mov_b32_e32 v30, 0
	s_mov_b32 s23, exec_lo
	v_cmpx_ne_u32_e32 0, v8
	s_cbranch_execz .LBB6_10669
; %bb.10664:                            ;   in Loop: Header=BB6_10564 Depth=3
	v_bfe_u32 v21, v8, 23, 8
	v_and_b32_e32 v22, 0x7fffff, v8
	v_sub_nc_u32_e32 v24, 0x70, v21
	v_cmp_gt_u32_e32 vcc_lo, 0x71, v21
	v_or_b32_e32 v25, 0x800000, v22
	v_cndmask_b32_e32 v24, 0, v24, vcc_lo
	v_cmp_eq_u32_e32 vcc_lo, 0, v21
	v_add_nc_u32_e32 v21, 0xffffff91, v21
	v_cndmask_b32_e64 v24, v24, 0x6f, vcc_lo
	v_cndmask_b32_e32 v22, v25, v22, vcc_lo
	v_cndmask_b32_e64 v21, v21, 0xffffff92, vcc_lo
	v_lshl_add_u32 v25, 0x200000, v24, -1
	v_lshrrev_b32_e32 v26, v24, v22
	v_lshlrev_b32_e64 v29, v24, 0x100000
	v_add_nc_u32_e32 v24, v24, v21
	v_and_b32_e32 v22, v25, v22
	v_bfe_u32 v27, v26, 21, 1
	v_cmp_eq_u32_e64 s17, v22, v29
	v_add_nc_u32_e32 v25, -1, v27
	v_cndmask_b32_e64 v22, 0, v25, s17
	v_lshrrev_b32_e32 v25, 23, v26
	s_mov_b32 s17, exec_lo
	v_add_nc_u32_e32 v22, v22, v26
	v_xor_b32_e32 v25, 1, v25
	v_and_b32_e32 v21, 0x1fffff, v22
	v_add_nc_u32_e32 v22, v21, v26
                                        ; implicit-def: $vgpr21
	v_cmpx_ne_u32_e64 v24, v25
	s_xor_b32 s17, exec_lo, s17
; %bb.10665:                            ;   in Loop: Header=BB6_10564 Depth=3
	v_cmp_lt_u32_e32 vcc_lo, 0xffffff, v22
	v_sub_nc_u32_e32 v21, v24, v25
	v_cndmask_b32_e64 v24, 0, 1, vcc_lo
	v_add_co_ci_u32_e64 v21, null, 0, v21, vcc_lo
	v_lshrrev_b32_e32 v22, v24, v22
; %bb.10666:                            ;   in Loop: Header=BB6_10564 Depth=3
	s_andn2_saveexec_b32 s17, s17
; %bb.10667:                            ;   in Loop: Header=BB6_10564 Depth=3
	v_bfe_u32 v21, v22, 23, 1
; %bb.10668:                            ;   in Loop: Header=BB6_10564 Depth=3
	s_or_b32 exec_lo, exec_lo, s17
	v_lshrrev_b32_e32 v22, 21, v22
	v_min_i32_e32 v24, 31, v21
	v_cmp_gt_i32_e32 vcc_lo, 32, v21
	v_and_b32_sdwa v8, v8, v117 dst_sel:DWORD dst_unused:UNUSED_PAD src0_sel:BYTE_3 src1_sel:DWORD
	v_lshlrev_b32_e32 v24, 2, v24
	v_cndmask_b32_e32 v22, 3, v22, vcc_lo
	v_and_b32_e32 v24, 0xfc, v24
	v_and_b32_e32 v25, 3, v22
	v_or_b32_e32 v21, v21, v22
	v_or3_b32 v8, v24, v8, v25
	v_cmp_ne_u32_e32 vcc_lo, 0, v21
	v_cndmask_b32_e32 v30, 0, v8, vcc_lo
.LBB6_10669:                            ;   in Loop: Header=BB6_10564 Depth=3
	s_or_b32 exec_lo, exec_lo, s23
.LBB6_10670:                            ;   in Loop: Header=BB6_10564 Depth=3
	s_or_b32 exec_lo, exec_lo, s22
	v_cmp_gt_i16_sdwa s22, v9, v116 src0_sel:BYTE_3 src1_sel:DWORD
	s_mov_b32 s17, 0
	s_and_saveexec_b32 s23, s22
	s_xor_b32 s22, exec_lo, s23
	s_cbranch_execz .LBB6_11133
; %bb.10671:                            ;   in Loop: Header=BB6_10564 Depth=3
	v_cmp_eq_u16_sdwa s76, v9, v117 src0_sel:BYTE_3 src1_sel:DWORD
	s_mov_b32 s17, -1
	s_and_saveexec_b32 s23, s76
; %bb.10672:                            ;   in Loop: Header=BB6_10564 Depth=3
	s_xor_b32 s17, exec_lo, -1
; %bb.10673:                            ;   in Loop: Header=BB6_10564 Depth=3
	s_or_b32 exec_lo, exec_lo, s23
	s_and_b32 s17, s17, exec_lo
	s_or_saveexec_b32 s22, s22
	v_mov_b32_e32 v8, 0x7f800001
	s_xor_b32 exec_lo, exec_lo, s22
	s_cbranch_execnz .LBB6_11134
.LBB6_10674:                            ;   in Loop: Header=BB6_10564 Depth=3
	s_or_b32 exec_lo, exec_lo, s22
	s_and_saveexec_b32 s22, s17
	s_cbranch_execz .LBB6_10676
.LBB6_10675:                            ;   in Loop: Header=BB6_10564 Depth=3
	v_bfe_u32 v8, v9, 24, 2
	v_bfe_u32 v24, v9, 26, 5
	v_ffbh_u32_e32 v21, v8
	v_cmp_eq_u32_e32 vcc_lo, 0, v24
	v_min_u32_e32 v21, 32, v21
	v_subrev_nc_u32_e32 v22, 29, v21
	v_sub_nc_u32_e32 v21, 30, v21
	v_lshlrev_b32_sdwa v22, v22, v9 dst_sel:DWORD dst_unused:UNUSED_PAD src0_sel:DWORD src1_sel:BYTE_3
	v_cndmask_b32_e32 v21, v24, v21, vcc_lo
	v_and_b32_e32 v9, 0x80000000, v9
	v_and_b32_e32 v22, 3, v22
	v_lshl_add_u32 v21, v21, 23, 0x37800000
	v_cndmask_b32_e32 v8, v8, v22, vcc_lo
	v_lshlrev_b32_e32 v8, 21, v8
	v_or3_b32 v8, v9, v21, v8
.LBB6_10676:                            ;   in Loop: Header=BB6_10564 Depth=3
	s_or_b32 exec_lo, exec_lo, s22
	v_mul_f32_e32 v8, s18, v8
	v_mov_b32_e32 v37, 0x8000
	s_mov_b32 s22, exec_lo
	v_and_b32_e32 v9, 0x7f800000, v8
	v_cmpx_ne_u32_e32 0x7f800000, v9
	s_cbranch_execz .LBB6_10684
; %bb.10677:                            ;   in Loop: Header=BB6_10564 Depth=3
	v_mov_b32_e32 v37, 0
	s_mov_b32 s23, exec_lo
	v_cmpx_ne_u32_e32 0, v8
	s_cbranch_execz .LBB6_10683
; %bb.10678:                            ;   in Loop: Header=BB6_10564 Depth=3
	v_bfe_u32 v9, v8, 23, 8
	v_and_b32_e32 v21, 0x7fffff, v8
	v_sub_nc_u32_e32 v22, 0x70, v9
	v_cmp_gt_u32_e32 vcc_lo, 0x71, v9
	v_or_b32_e32 v24, 0x800000, v21
	v_cndmask_b32_e32 v22, 0, v22, vcc_lo
	v_cmp_eq_u32_e32 vcc_lo, 0, v9
	v_add_nc_u32_e32 v9, 0xffffff91, v9
	v_cndmask_b32_e64 v22, v22, 0x6f, vcc_lo
	v_cndmask_b32_e32 v21, v24, v21, vcc_lo
	v_cndmask_b32_e64 v9, v9, 0xffffff92, vcc_lo
	v_lshl_add_u32 v24, 0x200000, v22, -1
	v_lshrrev_b32_e32 v25, v22, v21
	v_lshlrev_b32_e64 v27, v22, 0x100000
	v_add_nc_u32_e32 v22, v22, v9
	v_and_b32_e32 v21, v24, v21
	v_bfe_u32 v26, v25, 21, 1
	v_cmp_eq_u32_e64 s17, v21, v27
	v_add_nc_u32_e32 v24, -1, v26
	v_cndmask_b32_e64 v21, 0, v24, s17
	v_lshrrev_b32_e32 v24, 23, v25
	s_mov_b32 s17, exec_lo
	v_add_nc_u32_e32 v21, v21, v25
	v_xor_b32_e32 v24, 1, v24
	v_and_b32_e32 v9, 0x1fffff, v21
	v_add_nc_u32_e32 v21, v9, v25
                                        ; implicit-def: $vgpr9
	v_cmpx_ne_u32_e64 v22, v24
	s_xor_b32 s17, exec_lo, s17
; %bb.10679:                            ;   in Loop: Header=BB6_10564 Depth=3
	v_cmp_lt_u32_e32 vcc_lo, 0xffffff, v21
	v_sub_nc_u32_e32 v9, v22, v24
	v_cndmask_b32_e64 v22, 0, 1, vcc_lo
	v_add_co_ci_u32_e64 v9, null, 0, v9, vcc_lo
	v_lshrrev_b32_e32 v21, v22, v21
; %bb.10680:                            ;   in Loop: Header=BB6_10564 Depth=3
	s_andn2_saveexec_b32 s17, s17
; %bb.10681:                            ;   in Loop: Header=BB6_10564 Depth=3
	v_bfe_u32 v9, v21, 23, 1
; %bb.10682:                            ;   in Loop: Header=BB6_10564 Depth=3
	s_or_b32 exec_lo, exec_lo, s17
	v_lshrrev_b32_e32 v21, 21, v21
	v_min_i32_e32 v22, 31, v9
	v_cmp_gt_i32_e32 vcc_lo, 32, v9
	v_and_b32_sdwa v8, v8, v117 dst_sel:DWORD dst_unused:UNUSED_PAD src0_sel:BYTE_3 src1_sel:DWORD
	v_lshlrev_b32_e32 v22, 2, v22
	v_cndmask_b32_e32 v21, 3, v21, vcc_lo
	v_and_b32_e32 v22, 0xfc, v22
	v_and_b32_e32 v24, 3, v21
	v_or_b32_e32 v9, v9, v21
	v_or3_b32 v8, v8, v22, v24
	v_cmp_ne_u32_e32 vcc_lo, 0, v9
	v_lshlrev_b32_e32 v8, 8, v8
	v_cndmask_b32_e32 v37, 0, v8, vcc_lo
.LBB6_10683:                            ;   in Loop: Header=BB6_10564 Depth=3
	s_or_b32 exec_lo, exec_lo, s23
.LBB6_10684:                            ;   in Loop: Header=BB6_10564 Depth=3
	s_or_b32 exec_lo, exec_lo, s22
	v_cmp_gt_i16_sdwa s22, v10, v116 src0_sel:BYTE_0 src1_sel:DWORD
	s_mov_b32 s17, 0
	s_and_saveexec_b32 s23, s22
	s_xor_b32 s22, exec_lo, s23
	s_cbranch_execz .LBB6_11135
; %bb.10685:                            ;   in Loop: Header=BB6_10564 Depth=3
	v_cmp_eq_u16_sdwa s76, v10, v117 src0_sel:BYTE_0 src1_sel:DWORD
	s_mov_b32 s17, -1
	s_and_saveexec_b32 s23, s76
; %bb.10686:                            ;   in Loop: Header=BB6_10564 Depth=3
	s_xor_b32 s17, exec_lo, -1
; %bb.10687:                            ;   in Loop: Header=BB6_10564 Depth=3
	s_or_b32 exec_lo, exec_lo, s23
	s_and_b32 s17, s17, exec_lo
	s_or_saveexec_b32 s22, s22
	v_mov_b32_e32 v8, 0x7f800001
	s_xor_b32 exec_lo, exec_lo, s22
	s_cbranch_execnz .LBB6_11136
.LBB6_10688:                            ;   in Loop: Header=BB6_10564 Depth=3
	s_or_b32 exec_lo, exec_lo, s22
	s_and_saveexec_b32 s22, s17
	s_cbranch_execz .LBB6_10690
.LBB6_10689:                            ;   in Loop: Header=BB6_10564 Depth=3
	v_and_b32_e32 v8, 3, v10
	v_bfe_u32 v22, v10, 2, 5
	v_lshlrev_b32_e32 v24, 24, v10
	v_ffbh_u32_e32 v9, v8
	v_cmp_eq_u32_e32 vcc_lo, 0, v22
	v_min_u32_e32 v9, 32, v9
	v_subrev_nc_u32_e32 v21, 29, v9
	v_sub_nc_u32_e32 v9, 30, v9
	v_lshlrev_b32_e32 v21, v21, v10
	v_cndmask_b32_e32 v9, v22, v9, vcc_lo
	v_and_b32_e32 v21, 3, v21
	v_lshl_add_u32 v9, v9, 23, 0x37800000
	v_cndmask_b32_e32 v8, v8, v21, vcc_lo
	v_and_b32_e32 v21, 0x80000000, v24
	v_lshlrev_b32_e32 v8, 21, v8
	v_or3_b32 v8, v21, v9, v8
.LBB6_10690:                            ;   in Loop: Header=BB6_10564 Depth=3
	s_or_b32 exec_lo, exec_lo, s22
	v_mul_f32_e32 v8, s18, v8
	v_mov_b32_e32 v27, 0x80
	s_mov_b32 s22, exec_lo
	v_and_b32_e32 v9, 0x7f800000, v8
	v_cmpx_ne_u32_e32 0x7f800000, v9
	s_cbranch_execz .LBB6_10698
; %bb.10691:                            ;   in Loop: Header=BB6_10564 Depth=3
	v_mov_b32_e32 v27, 0
	s_mov_b32 s23, exec_lo
	v_cmpx_ne_u32_e32 0, v8
	s_cbranch_execz .LBB6_10697
; %bb.10692:                            ;   in Loop: Header=BB6_10564 Depth=3
	v_bfe_u32 v9, v8, 23, 8
	v_and_b32_e32 v21, 0x7fffff, v8
	v_sub_nc_u32_e32 v22, 0x70, v9
	v_cmp_gt_u32_e32 vcc_lo, 0x71, v9
	v_or_b32_e32 v24, 0x800000, v21
	v_cndmask_b32_e32 v22, 0, v22, vcc_lo
	v_cmp_eq_u32_e32 vcc_lo, 0, v9
	v_add_nc_u32_e32 v9, 0xffffff91, v9
	v_cndmask_b32_e64 v22, v22, 0x6f, vcc_lo
	v_cndmask_b32_e32 v21, v24, v21, vcc_lo
	v_cndmask_b32_e64 v9, v9, 0xffffff92, vcc_lo
	v_lshl_add_u32 v24, 0x200000, v22, -1
	v_lshrrev_b32_e32 v25, v22, v21
	v_lshlrev_b32_e64 v27, v22, 0x100000
	v_add_nc_u32_e32 v22, v22, v9
	v_and_b32_e32 v21, v24, v21
	v_bfe_u32 v26, v25, 21, 1
	v_cmp_eq_u32_e64 s17, v21, v27
	v_add_nc_u32_e32 v24, -1, v26
	v_cndmask_b32_e64 v21, 0, v24, s17
	v_lshrrev_b32_e32 v24, 23, v25
	s_mov_b32 s17, exec_lo
	v_add_nc_u32_e32 v21, v21, v25
	v_xor_b32_e32 v24, 1, v24
	v_and_b32_e32 v9, 0x1fffff, v21
	v_add_nc_u32_e32 v21, v9, v25
                                        ; implicit-def: $vgpr9
	v_cmpx_ne_u32_e64 v22, v24
	s_xor_b32 s17, exec_lo, s17
; %bb.10693:                            ;   in Loop: Header=BB6_10564 Depth=3
	v_cmp_lt_u32_e32 vcc_lo, 0xffffff, v21
	v_sub_nc_u32_e32 v9, v22, v24
	v_cndmask_b32_e64 v22, 0, 1, vcc_lo
	v_add_co_ci_u32_e64 v9, null, 0, v9, vcc_lo
	v_lshrrev_b32_e32 v21, v22, v21
; %bb.10694:                            ;   in Loop: Header=BB6_10564 Depth=3
	s_andn2_saveexec_b32 s17, s17
; %bb.10695:                            ;   in Loop: Header=BB6_10564 Depth=3
	v_bfe_u32 v9, v21, 23, 1
; %bb.10696:                            ;   in Loop: Header=BB6_10564 Depth=3
	s_or_b32 exec_lo, exec_lo, s17
	v_lshrrev_b32_e32 v21, 21, v21
	v_min_i32_e32 v22, 31, v9
	v_cmp_gt_i32_e32 vcc_lo, 32, v9
	v_and_b32_sdwa v8, v8, v117 dst_sel:DWORD dst_unused:UNUSED_PAD src0_sel:BYTE_3 src1_sel:DWORD
	v_lshlrev_b32_e32 v22, 2, v22
	v_cndmask_b32_e32 v21, 3, v21, vcc_lo
	v_and_b32_e32 v22, 0xfc, v22
	v_and_b32_e32 v24, 3, v21
	v_or_b32_e32 v9, v9, v21
	v_or3_b32 v8, v22, v8, v24
	v_cmp_ne_u32_e32 vcc_lo, 0, v9
	v_cndmask_b32_e32 v27, 0, v8, vcc_lo
.LBB6_10697:                            ;   in Loop: Header=BB6_10564 Depth=3
	s_or_b32 exec_lo, exec_lo, s23
.LBB6_10698:                            ;   in Loop: Header=BB6_10564 Depth=3
	s_or_b32 exec_lo, exec_lo, s22
	v_cmp_gt_i16_sdwa s22, v10, v116 src0_sel:BYTE_1 src1_sel:DWORD
	s_mov_b32 s17, 0
	s_and_saveexec_b32 s23, s22
	s_xor_b32 s22, exec_lo, s23
	s_cbranch_execz .LBB6_11137
; %bb.10699:                            ;   in Loop: Header=BB6_10564 Depth=3
	v_cmp_eq_u16_sdwa s76, v10, v117 src0_sel:BYTE_1 src1_sel:DWORD
	s_mov_b32 s17, -1
	s_and_saveexec_b32 s23, s76
; %bb.10700:                            ;   in Loop: Header=BB6_10564 Depth=3
	s_xor_b32 s17, exec_lo, -1
; %bb.10701:                            ;   in Loop: Header=BB6_10564 Depth=3
	s_or_b32 exec_lo, exec_lo, s23
	s_and_b32 s17, s17, exec_lo
	s_or_saveexec_b32 s22, s22
	v_mov_b32_e32 v8, 0x7f800001
	s_xor_b32 exec_lo, exec_lo, s22
	s_cbranch_execnz .LBB6_11138
.LBB6_10702:                            ;   in Loop: Header=BB6_10564 Depth=3
	s_or_b32 exec_lo, exec_lo, s22
	s_and_saveexec_b32 s22, s17
	s_cbranch_execz .LBB6_10704
.LBB6_10703:                            ;   in Loop: Header=BB6_10564 Depth=3
	v_and_b32_sdwa v8, v118, v10 dst_sel:DWORD dst_unused:UNUSED_PAD src0_sel:DWORD src1_sel:BYTE_1
	v_and_b32_e32 v9, 3, v8
	v_bfe_u32 v24, v8, 2, 5
	v_ffbh_u32_e32 v21, v9
	v_cmp_eq_u32_e32 vcc_lo, 0, v24
	v_min_u32_e32 v21, 32, v21
	v_subrev_nc_u32_e32 v22, 29, v21
	v_sub_nc_u32_e32 v21, 30, v21
	v_lshlrev_b32_e32 v8, v22, v8
	v_lshlrev_b32_sdwa v22, v119, v10 dst_sel:DWORD dst_unused:UNUSED_PAD src0_sel:DWORD src1_sel:BYTE_1
	v_cndmask_b32_e32 v21, v24, v21, vcc_lo
	v_and_b32_e32 v8, 3, v8
	v_lshl_add_u32 v21, v21, 23, 0x37800000
	v_cndmask_b32_e32 v8, v9, v8, vcc_lo
	v_and_b32_e32 v9, 0x80000000, v22
	v_lshlrev_b32_e32 v8, 21, v8
	v_or3_b32 v8, v9, v21, v8
.LBB6_10704:                            ;   in Loop: Header=BB6_10564 Depth=3
	s_or_b32 exec_lo, exec_lo, s22
	v_mul_f32_e32 v8, s18, v8
	v_mov_b32_e32 v31, 0x8000
	s_mov_b32 s22, exec_lo
	v_and_b32_e32 v9, 0x7f800000, v8
	v_cmpx_ne_u32_e32 0x7f800000, v9
	s_cbranch_execz .LBB6_10712
; %bb.10705:                            ;   in Loop: Header=BB6_10564 Depth=3
	v_mov_b32_e32 v31, 0
	s_mov_b32 s23, exec_lo
	v_cmpx_ne_u32_e32 0, v8
	s_cbranch_execz .LBB6_10711
; %bb.10706:                            ;   in Loop: Header=BB6_10564 Depth=3
	v_bfe_u32 v9, v8, 23, 8
	v_and_b32_e32 v21, 0x7fffff, v8
	v_sub_nc_u32_e32 v22, 0x70, v9
	v_cmp_gt_u32_e32 vcc_lo, 0x71, v9
	v_or_b32_e32 v24, 0x800000, v21
	v_cndmask_b32_e32 v22, 0, v22, vcc_lo
	v_cmp_eq_u32_e32 vcc_lo, 0, v9
	v_add_nc_u32_e32 v9, 0xffffff91, v9
	v_cndmask_b32_e64 v22, v22, 0x6f, vcc_lo
	v_cndmask_b32_e32 v21, v24, v21, vcc_lo
	v_cndmask_b32_e64 v9, v9, 0xffffff92, vcc_lo
	v_lshl_add_u32 v24, 0x200000, v22, -1
	v_lshrrev_b32_e32 v25, v22, v21
	v_lshlrev_b32_e64 v29, v22, 0x100000
	v_add_nc_u32_e32 v22, v22, v9
	v_and_b32_e32 v21, v24, v21
	v_bfe_u32 v26, v25, 21, 1
	v_cmp_eq_u32_e64 s17, v21, v29
	v_add_nc_u32_e32 v24, -1, v26
	v_cndmask_b32_e64 v21, 0, v24, s17
	v_lshrrev_b32_e32 v24, 23, v25
	s_mov_b32 s17, exec_lo
	v_add_nc_u32_e32 v21, v21, v25
	v_xor_b32_e32 v24, 1, v24
	v_and_b32_e32 v9, 0x1fffff, v21
	v_add_nc_u32_e32 v21, v9, v25
                                        ; implicit-def: $vgpr9
	v_cmpx_ne_u32_e64 v22, v24
	s_xor_b32 s17, exec_lo, s17
; %bb.10707:                            ;   in Loop: Header=BB6_10564 Depth=3
	v_cmp_lt_u32_e32 vcc_lo, 0xffffff, v21
	v_sub_nc_u32_e32 v9, v22, v24
	v_cndmask_b32_e64 v22, 0, 1, vcc_lo
	v_add_co_ci_u32_e64 v9, null, 0, v9, vcc_lo
	v_lshrrev_b32_e32 v21, v22, v21
; %bb.10708:                            ;   in Loop: Header=BB6_10564 Depth=3
	s_andn2_saveexec_b32 s17, s17
; %bb.10709:                            ;   in Loop: Header=BB6_10564 Depth=3
	v_bfe_u32 v9, v21, 23, 1
; %bb.10710:                            ;   in Loop: Header=BB6_10564 Depth=3
	s_or_b32 exec_lo, exec_lo, s17
	v_lshrrev_b32_e32 v21, 21, v21
	v_min_i32_e32 v22, 31, v9
	v_cmp_gt_i32_e32 vcc_lo, 32, v9
	v_and_b32_sdwa v8, v8, v117 dst_sel:DWORD dst_unused:UNUSED_PAD src0_sel:BYTE_3 src1_sel:DWORD
	v_lshlrev_b32_e32 v22, 2, v22
	v_cndmask_b32_e32 v21, 3, v21, vcc_lo
	v_and_b32_e32 v22, 0xfc, v22
	v_and_b32_e32 v24, 3, v21
	v_or_b32_e32 v9, v9, v21
	v_or3_b32 v8, v8, v22, v24
	v_cmp_ne_u32_e32 vcc_lo, 0, v9
	v_lshlrev_b32_e32 v8, 8, v8
	v_cndmask_b32_e32 v31, 0, v8, vcc_lo
.LBB6_10711:                            ;   in Loop: Header=BB6_10564 Depth=3
	s_or_b32 exec_lo, exec_lo, s23
.LBB6_10712:                            ;   in Loop: Header=BB6_10564 Depth=3
	s_or_b32 exec_lo, exec_lo, s22
	v_and_b32_sdwa v9, v10, v40 dst_sel:DWORD dst_unused:UNUSED_PAD src0_sel:WORD_1 src1_sel:DWORD
	s_mov_b32 s17, 0
	s_mov_b32 s22, exec_lo
	v_cmpx_lt_i16_e32 0x7f, v9
	s_xor_b32 s22, exec_lo, s22
	s_cbranch_execz .LBB6_11139
; %bb.10713:                            ;   in Loop: Header=BB6_10564 Depth=3
	s_mov_b32 s17, -1
	s_mov_b32 s23, exec_lo
	v_cmpx_eq_u16_e32 0x80, v9
; %bb.10714:                            ;   in Loop: Header=BB6_10564 Depth=3
	s_xor_b32 s17, exec_lo, -1
; %bb.10715:                            ;   in Loop: Header=BB6_10564 Depth=3
	s_or_b32 exec_lo, exec_lo, s23
	s_and_b32 s17, s17, exec_lo
                                        ; implicit-def: $vgpr9
	s_or_saveexec_b32 s22, s22
	v_mov_b32_e32 v8, 0x7f800001
	s_xor_b32 exec_lo, exec_lo, s22
	s_cbranch_execnz .LBB6_11140
.LBB6_10716:                            ;   in Loop: Header=BB6_10564 Depth=3
	s_or_b32 exec_lo, exec_lo, s22
	s_and_saveexec_b32 s22, s17
	s_cbranch_execz .LBB6_10718
.LBB6_10717:                            ;   in Loop: Header=BB6_10564 Depth=3
	v_bfe_u32 v8, v10, 16, 2
	v_bfe_u32 v22, v10, 18, 5
	v_lshlrev_b32_e32 v24, 8, v10
	v_ffbh_u32_e32 v9, v8
	v_cmp_eq_u32_e32 vcc_lo, 0, v22
	v_min_u32_e32 v9, 32, v9
	v_subrev_nc_u32_e32 v21, 29, v9
	v_sub_nc_u32_e32 v9, 30, v9
	v_lshlrev_b32_sdwa v21, v21, v10 dst_sel:DWORD dst_unused:UNUSED_PAD src0_sel:DWORD src1_sel:WORD_1
	v_cndmask_b32_e32 v9, v22, v9, vcc_lo
	v_and_b32_e32 v21, 3, v21
	v_lshl_add_u32 v9, v9, 23, 0x37800000
	v_cndmask_b32_e32 v8, v8, v21, vcc_lo
	v_and_b32_e32 v21, 0x80000000, v24
	v_lshlrev_b32_e32 v8, 21, v8
	v_or3_b32 v8, v21, v9, v8
.LBB6_10718:                            ;   in Loop: Header=BB6_10564 Depth=3
	s_or_b32 exec_lo, exec_lo, s22
	v_mul_f32_e32 v8, s18, v8
	v_mov_b32_e32 v25, 0x80
	s_mov_b32 s22, exec_lo
	v_and_b32_e32 v9, 0x7f800000, v8
	v_cmpx_ne_u32_e32 0x7f800000, v9
	s_cbranch_execz .LBB6_10726
; %bb.10719:                            ;   in Loop: Header=BB6_10564 Depth=3
	v_mov_b32_e32 v25, 0
	s_mov_b32 s23, exec_lo
	v_cmpx_ne_u32_e32 0, v8
	s_cbranch_execz .LBB6_10725
; %bb.10720:                            ;   in Loop: Header=BB6_10564 Depth=3
	v_bfe_u32 v9, v8, 23, 8
	v_and_b32_e32 v21, 0x7fffff, v8
	v_sub_nc_u32_e32 v22, 0x70, v9
	v_cmp_gt_u32_e32 vcc_lo, 0x71, v9
	v_or_b32_e32 v24, 0x800000, v21
	v_cndmask_b32_e32 v22, 0, v22, vcc_lo
	v_cmp_eq_u32_e32 vcc_lo, 0, v9
	v_add_nc_u32_e32 v9, 0xffffff91, v9
	v_cndmask_b32_e64 v22, v22, 0x6f, vcc_lo
	v_cndmask_b32_e32 v21, v24, v21, vcc_lo
	v_cndmask_b32_e64 v9, v9, 0xffffff92, vcc_lo
	v_lshl_add_u32 v24, 0x200000, v22, -1
	v_lshrrev_b32_e32 v25, v22, v21
	v_lshlrev_b32_e64 v29, v22, 0x100000
	v_add_nc_u32_e32 v22, v22, v9
	v_and_b32_e32 v21, v24, v21
	v_bfe_u32 v26, v25, 21, 1
	v_cmp_eq_u32_e64 s17, v21, v29
	v_add_nc_u32_e32 v24, -1, v26
	v_cndmask_b32_e64 v21, 0, v24, s17
	v_lshrrev_b32_e32 v24, 23, v25
	s_mov_b32 s17, exec_lo
	v_add_nc_u32_e32 v21, v21, v25
	v_xor_b32_e32 v24, 1, v24
	v_and_b32_e32 v9, 0x1fffff, v21
	v_add_nc_u32_e32 v21, v9, v25
                                        ; implicit-def: $vgpr9
	v_cmpx_ne_u32_e64 v22, v24
	s_xor_b32 s17, exec_lo, s17
; %bb.10721:                            ;   in Loop: Header=BB6_10564 Depth=3
	v_cmp_lt_u32_e32 vcc_lo, 0xffffff, v21
	v_sub_nc_u32_e32 v9, v22, v24
	v_cndmask_b32_e64 v22, 0, 1, vcc_lo
	v_add_co_ci_u32_e64 v9, null, 0, v9, vcc_lo
	v_lshrrev_b32_e32 v21, v22, v21
; %bb.10722:                            ;   in Loop: Header=BB6_10564 Depth=3
	s_andn2_saveexec_b32 s17, s17
; %bb.10723:                            ;   in Loop: Header=BB6_10564 Depth=3
	v_bfe_u32 v9, v21, 23, 1
; %bb.10724:                            ;   in Loop: Header=BB6_10564 Depth=3
	s_or_b32 exec_lo, exec_lo, s17
	v_lshrrev_b32_e32 v21, 21, v21
	v_min_i32_e32 v22, 31, v9
	v_cmp_gt_i32_e32 vcc_lo, 32, v9
	v_and_b32_sdwa v8, v8, v117 dst_sel:DWORD dst_unused:UNUSED_PAD src0_sel:BYTE_3 src1_sel:DWORD
	v_lshlrev_b32_e32 v22, 2, v22
	v_cndmask_b32_e32 v21, 3, v21, vcc_lo
	v_and_b32_e32 v22, 0xfc, v22
	v_and_b32_e32 v24, 3, v21
	v_or_b32_e32 v9, v9, v21
	v_or3_b32 v8, v22, v8, v24
	v_cmp_ne_u32_e32 vcc_lo, 0, v9
	v_cndmask_b32_e32 v25, 0, v8, vcc_lo
.LBB6_10725:                            ;   in Loop: Header=BB6_10564 Depth=3
	s_or_b32 exec_lo, exec_lo, s23
.LBB6_10726:                            ;   in Loop: Header=BB6_10564 Depth=3
	s_or_b32 exec_lo, exec_lo, s22
	v_cmp_gt_i16_sdwa s22, v10, v116 src0_sel:BYTE_3 src1_sel:DWORD
	s_mov_b32 s17, 0
	s_and_saveexec_b32 s23, s22
	s_xor_b32 s22, exec_lo, s23
	s_cbranch_execz .LBB6_11141
; %bb.10727:                            ;   in Loop: Header=BB6_10564 Depth=3
	v_cmp_eq_u16_sdwa s76, v10, v117 src0_sel:BYTE_3 src1_sel:DWORD
	s_mov_b32 s17, -1
	s_and_saveexec_b32 s23, s76
; %bb.10728:                            ;   in Loop: Header=BB6_10564 Depth=3
	s_xor_b32 s17, exec_lo, -1
; %bb.10729:                            ;   in Loop: Header=BB6_10564 Depth=3
	s_or_b32 exec_lo, exec_lo, s23
	s_and_b32 s17, s17, exec_lo
	s_or_saveexec_b32 s22, s22
	v_mov_b32_e32 v8, 0x7f800001
	s_xor_b32 exec_lo, exec_lo, s22
	s_cbranch_execnz .LBB6_11142
.LBB6_10730:                            ;   in Loop: Header=BB6_10564 Depth=3
	s_or_b32 exec_lo, exec_lo, s22
	s_and_saveexec_b32 s22, s17
	s_cbranch_execz .LBB6_10732
.LBB6_10731:                            ;   in Loop: Header=BB6_10564 Depth=3
	v_bfe_u32 v8, v10, 24, 2
	v_bfe_u32 v22, v10, 26, 5
	v_ffbh_u32_e32 v9, v8
	v_cmp_eq_u32_e32 vcc_lo, 0, v22
	v_min_u32_e32 v9, 32, v9
	v_subrev_nc_u32_e32 v21, 29, v9
	v_sub_nc_u32_e32 v9, 30, v9
	v_lshlrev_b32_sdwa v21, v21, v10 dst_sel:DWORD dst_unused:UNUSED_PAD src0_sel:DWORD src1_sel:BYTE_3
	v_cndmask_b32_e32 v9, v22, v9, vcc_lo
	v_and_b32_e32 v10, 0x80000000, v10
	v_and_b32_e32 v21, 3, v21
	v_lshl_add_u32 v9, v9, 23, 0x37800000
	v_cndmask_b32_e32 v8, v8, v21, vcc_lo
	v_lshlrev_b32_e32 v8, 21, v8
	v_or3_b32 v8, v10, v9, v8
.LBB6_10732:                            ;   in Loop: Header=BB6_10564 Depth=3
	s_or_b32 exec_lo, exec_lo, s22
	v_mul_f32_e32 v8, s18, v8
	v_mov_b32_e32 v29, 0x8000
	s_mov_b32 s22, exec_lo
	v_and_b32_e32 v9, 0x7f800000, v8
	v_cmpx_ne_u32_e32 0x7f800000, v9
	s_cbranch_execz .LBB6_10740
; %bb.10733:                            ;   in Loop: Header=BB6_10564 Depth=3
	v_mov_b32_e32 v29, 0
	s_mov_b32 s23, exec_lo
	v_cmpx_ne_u32_e32 0, v8
	s_cbranch_execz .LBB6_10739
; %bb.10734:                            ;   in Loop: Header=BB6_10564 Depth=3
	v_bfe_u32 v9, v8, 23, 8
	v_and_b32_e32 v10, 0x7fffff, v8
	v_sub_nc_u32_e32 v21, 0x70, v9
	v_cmp_gt_u32_e32 vcc_lo, 0x71, v9
	v_or_b32_e32 v22, 0x800000, v10
	v_cndmask_b32_e32 v21, 0, v21, vcc_lo
	v_cmp_eq_u32_e32 vcc_lo, 0, v9
	v_add_nc_u32_e32 v9, 0xffffff91, v9
	v_cndmask_b32_e64 v21, v21, 0x6f, vcc_lo
	v_cndmask_b32_e32 v10, v22, v10, vcc_lo
	v_cndmask_b32_e64 v9, v9, 0xffffff92, vcc_lo
	v_lshl_add_u32 v22, 0x200000, v21, -1
	v_lshrrev_b32_e32 v24, v21, v10
	v_lshlrev_b32_e64 v29, v21, 0x100000
	v_add_nc_u32_e32 v21, v21, v9
	v_and_b32_e32 v10, v22, v10
	v_bfe_u32 v26, v24, 21, 1
	v_cmp_eq_u32_e64 s17, v10, v29
	v_add_nc_u32_e32 v22, -1, v26
	v_cndmask_b32_e64 v10, 0, v22, s17
	v_lshrrev_b32_e32 v22, 23, v24
	s_mov_b32 s17, exec_lo
	v_add_nc_u32_e32 v10, v10, v24
	v_xor_b32_e32 v22, 1, v22
	v_and_b32_e32 v9, 0x1fffff, v10
	v_add_nc_u32_e32 v10, v9, v24
                                        ; implicit-def: $vgpr9
	v_cmpx_ne_u32_e64 v21, v22
	s_xor_b32 s17, exec_lo, s17
; %bb.10735:                            ;   in Loop: Header=BB6_10564 Depth=3
	v_cmp_lt_u32_e32 vcc_lo, 0xffffff, v10
	v_sub_nc_u32_e32 v9, v21, v22
	v_cndmask_b32_e64 v21, 0, 1, vcc_lo
	v_add_co_ci_u32_e64 v9, null, 0, v9, vcc_lo
	v_lshrrev_b32_e32 v10, v21, v10
; %bb.10736:                            ;   in Loop: Header=BB6_10564 Depth=3
	s_andn2_saveexec_b32 s17, s17
; %bb.10737:                            ;   in Loop: Header=BB6_10564 Depth=3
	v_bfe_u32 v9, v10, 23, 1
; %bb.10738:                            ;   in Loop: Header=BB6_10564 Depth=3
	s_or_b32 exec_lo, exec_lo, s17
	v_lshrrev_b32_e32 v10, 21, v10
	v_min_i32_e32 v21, 31, v9
	v_cmp_gt_i32_e32 vcc_lo, 32, v9
	v_and_b32_sdwa v8, v8, v117 dst_sel:DWORD dst_unused:UNUSED_PAD src0_sel:BYTE_3 src1_sel:DWORD
	v_lshlrev_b32_e32 v21, 2, v21
	v_cndmask_b32_e32 v10, 3, v10, vcc_lo
	v_and_b32_e32 v21, 0xfc, v21
	v_and_b32_e32 v22, 3, v10
	v_or_b32_e32 v9, v9, v10
	v_or3_b32 v8, v8, v21, v22
	v_cmp_ne_u32_e32 vcc_lo, 0, v9
	v_lshlrev_b32_e32 v8, 8, v8
	v_cndmask_b32_e32 v29, 0, v8, vcc_lo
.LBB6_10739:                            ;   in Loop: Header=BB6_10564 Depth=3
	s_or_b32 exec_lo, exec_lo, s23
.LBB6_10740:                            ;   in Loop: Header=BB6_10564 Depth=3
	s_or_b32 exec_lo, exec_lo, s22
	v_cmp_gt_i16_sdwa s22, v11, v116 src0_sel:BYTE_0 src1_sel:DWORD
	s_mov_b32 s17, 0
	s_and_saveexec_b32 s23, s22
	s_xor_b32 s22, exec_lo, s23
	s_cbranch_execz .LBB6_11143
; %bb.10741:                            ;   in Loop: Header=BB6_10564 Depth=3
	v_cmp_eq_u16_sdwa s76, v11, v117 src0_sel:BYTE_0 src1_sel:DWORD
	s_mov_b32 s17, -1
	s_and_saveexec_b32 s23, s76
; %bb.10742:                            ;   in Loop: Header=BB6_10564 Depth=3
	s_xor_b32 s17, exec_lo, -1
; %bb.10743:                            ;   in Loop: Header=BB6_10564 Depth=3
	s_or_b32 exec_lo, exec_lo, s23
	s_and_b32 s17, s17, exec_lo
	s_or_saveexec_b32 s22, s22
	v_mov_b32_e32 v8, 0x7f800001
	s_xor_b32 exec_lo, exec_lo, s22
	s_cbranch_execnz .LBB6_11144
.LBB6_10744:                            ;   in Loop: Header=BB6_10564 Depth=3
	s_or_b32 exec_lo, exec_lo, s22
	s_and_saveexec_b32 s22, s17
	s_cbranch_execz .LBB6_10746
.LBB6_10745:                            ;   in Loop: Header=BB6_10564 Depth=3
	v_and_b32_e32 v8, 3, v11
	v_bfe_u32 v21, v11, 2, 5
	v_lshlrev_b32_e32 v22, 24, v11
	v_ffbh_u32_e32 v9, v8
	v_cmp_eq_u32_e32 vcc_lo, 0, v21
	v_min_u32_e32 v9, 32, v9
	v_subrev_nc_u32_e32 v10, 29, v9
	v_sub_nc_u32_e32 v9, 30, v9
	v_lshlrev_b32_e32 v10, v10, v11
	v_cndmask_b32_e32 v9, v21, v9, vcc_lo
	v_and_b32_e32 v10, 3, v10
	v_lshl_add_u32 v9, v9, 23, 0x37800000
	v_cndmask_b32_e32 v8, v8, v10, vcc_lo
	v_and_b32_e32 v10, 0x80000000, v22
	v_lshlrev_b32_e32 v8, 21, v8
	v_or3_b32 v8, v10, v9, v8
.LBB6_10746:                            ;   in Loop: Header=BB6_10564 Depth=3
	s_or_b32 exec_lo, exec_lo, s22
	v_mul_f32_e32 v8, s18, v8
	v_mov_b32_e32 v22, 0x80
	s_mov_b32 s22, exec_lo
	v_and_b32_e32 v9, 0x7f800000, v8
	v_cmpx_ne_u32_e32 0x7f800000, v9
	s_cbranch_execz .LBB6_10754
; %bb.10747:                            ;   in Loop: Header=BB6_10564 Depth=3
	v_mov_b32_e32 v22, 0
	s_mov_b32 s23, exec_lo
	v_cmpx_ne_u32_e32 0, v8
	s_cbranch_execz .LBB6_10753
; %bb.10748:                            ;   in Loop: Header=BB6_10564 Depth=3
	v_bfe_u32 v9, v8, 23, 8
	v_and_b32_e32 v10, 0x7fffff, v8
	v_sub_nc_u32_e32 v21, 0x70, v9
	v_cmp_gt_u32_e32 vcc_lo, 0x71, v9
	v_or_b32_e32 v22, 0x800000, v10
	v_cndmask_b32_e32 v21, 0, v21, vcc_lo
	v_cmp_eq_u32_e32 vcc_lo, 0, v9
	v_add_nc_u32_e32 v9, 0xffffff91, v9
	v_cndmask_b32_e64 v21, v21, 0x6f, vcc_lo
	v_cndmask_b32_e32 v10, v22, v10, vcc_lo
	v_cndmask_b32_e64 v9, v9, 0xffffff92, vcc_lo
	v_lshl_add_u32 v22, 0x200000, v21, -1
	v_lshrrev_b32_e32 v24, v21, v10
	v_lshlrev_b32_e64 v52, v21, 0x100000
	v_add_nc_u32_e32 v21, v21, v9
	v_and_b32_e32 v10, v22, v10
	v_bfe_u32 v26, v24, 21, 1
	v_cmp_eq_u32_e64 s17, v10, v52
	v_add_nc_u32_e32 v22, -1, v26
	v_cndmask_b32_e64 v10, 0, v22, s17
	v_lshrrev_b32_e32 v22, 23, v24
	s_mov_b32 s17, exec_lo
	v_add_nc_u32_e32 v10, v10, v24
	v_xor_b32_e32 v22, 1, v22
	v_and_b32_e32 v9, 0x1fffff, v10
	v_add_nc_u32_e32 v10, v9, v24
                                        ; implicit-def: $vgpr9
	v_cmpx_ne_u32_e64 v21, v22
	s_xor_b32 s17, exec_lo, s17
; %bb.10749:                            ;   in Loop: Header=BB6_10564 Depth=3
	v_cmp_lt_u32_e32 vcc_lo, 0xffffff, v10
	v_sub_nc_u32_e32 v9, v21, v22
	v_cndmask_b32_e64 v21, 0, 1, vcc_lo
	v_add_co_ci_u32_e64 v9, null, 0, v9, vcc_lo
	v_lshrrev_b32_e32 v10, v21, v10
; %bb.10750:                            ;   in Loop: Header=BB6_10564 Depth=3
	s_andn2_saveexec_b32 s17, s17
; %bb.10751:                            ;   in Loop: Header=BB6_10564 Depth=3
	v_bfe_u32 v9, v10, 23, 1
; %bb.10752:                            ;   in Loop: Header=BB6_10564 Depth=3
	s_or_b32 exec_lo, exec_lo, s17
	v_lshrrev_b32_e32 v10, 21, v10
	v_min_i32_e32 v21, 31, v9
	v_cmp_gt_i32_e32 vcc_lo, 32, v9
	v_and_b32_sdwa v8, v8, v117 dst_sel:DWORD dst_unused:UNUSED_PAD src0_sel:BYTE_3 src1_sel:DWORD
	v_lshlrev_b32_e32 v21, 2, v21
	v_cndmask_b32_e32 v10, 3, v10, vcc_lo
	v_and_b32_e32 v21, 0xfc, v21
	v_and_b32_e32 v22, 3, v10
	v_or_b32_e32 v9, v9, v10
	v_or3_b32 v8, v21, v8, v22
	v_cmp_ne_u32_e32 vcc_lo, 0, v9
	v_cndmask_b32_e32 v22, 0, v8, vcc_lo
.LBB6_10753:                            ;   in Loop: Header=BB6_10564 Depth=3
	s_or_b32 exec_lo, exec_lo, s23
.LBB6_10754:                            ;   in Loop: Header=BB6_10564 Depth=3
	s_or_b32 exec_lo, exec_lo, s22
	v_cmp_gt_i16_sdwa s22, v11, v116 src0_sel:BYTE_1 src1_sel:DWORD
	s_mov_b32 s17, 0
	s_and_saveexec_b32 s23, s22
	s_xor_b32 s22, exec_lo, s23
	s_cbranch_execz .LBB6_11145
; %bb.10755:                            ;   in Loop: Header=BB6_10564 Depth=3
	v_cmp_eq_u16_sdwa s76, v11, v117 src0_sel:BYTE_1 src1_sel:DWORD
	s_mov_b32 s17, -1
	s_and_saveexec_b32 s23, s76
; %bb.10756:                            ;   in Loop: Header=BB6_10564 Depth=3
	s_xor_b32 s17, exec_lo, -1
; %bb.10757:                            ;   in Loop: Header=BB6_10564 Depth=3
	s_or_b32 exec_lo, exec_lo, s23
	s_and_b32 s17, s17, exec_lo
	s_or_saveexec_b32 s22, s22
	v_mov_b32_e32 v8, 0x7f800001
	s_xor_b32 exec_lo, exec_lo, s22
	s_cbranch_execnz .LBB6_11146
.LBB6_10758:                            ;   in Loop: Header=BB6_10564 Depth=3
	s_or_b32 exec_lo, exec_lo, s22
	s_and_saveexec_b32 s22, s17
	s_cbranch_execz .LBB6_10760
.LBB6_10759:                            ;   in Loop: Header=BB6_10564 Depth=3
	v_and_b32_sdwa v8, v118, v11 dst_sel:DWORD dst_unused:UNUSED_PAD src0_sel:DWORD src1_sel:BYTE_1
	v_and_b32_e32 v9, 3, v8
	v_bfe_u32 v24, v8, 2, 5
	v_ffbh_u32_e32 v10, v9
	v_cmp_eq_u32_e32 vcc_lo, 0, v24
	v_min_u32_e32 v10, 32, v10
	v_subrev_nc_u32_e32 v21, 29, v10
	v_sub_nc_u32_e32 v10, 30, v10
	v_lshlrev_b32_e32 v8, v21, v8
	v_lshlrev_b32_sdwa v21, v119, v11 dst_sel:DWORD dst_unused:UNUSED_PAD src0_sel:DWORD src1_sel:BYTE_1
	v_cndmask_b32_e32 v10, v24, v10, vcc_lo
	v_and_b32_e32 v8, 3, v8
	v_lshl_add_u32 v10, v10, 23, 0x37800000
	v_cndmask_b32_e32 v8, v9, v8, vcc_lo
	v_and_b32_e32 v9, 0x80000000, v21
	v_lshlrev_b32_e32 v8, 21, v8
	v_or3_b32 v8, v9, v10, v8
.LBB6_10760:                            ;   in Loop: Header=BB6_10564 Depth=3
	s_or_b32 exec_lo, exec_lo, s22
	v_mul_f32_e32 v8, s18, v8
	v_mov_b32_e32 v26, 0x8000
	s_mov_b32 s22, exec_lo
	v_and_b32_e32 v9, 0x7f800000, v8
	v_cmpx_ne_u32_e32 0x7f800000, v9
	s_cbranch_execz .LBB6_10768
; %bb.10761:                            ;   in Loop: Header=BB6_10564 Depth=3
	v_mov_b32_e32 v26, 0
	s_mov_b32 s23, exec_lo
	v_cmpx_ne_u32_e32 0, v8
	s_cbranch_execz .LBB6_10767
; %bb.10762:                            ;   in Loop: Header=BB6_10564 Depth=3
	v_bfe_u32 v9, v8, 23, 8
	v_and_b32_e32 v10, 0x7fffff, v8
	v_sub_nc_u32_e32 v21, 0x70, v9
	v_cmp_gt_u32_e32 vcc_lo, 0x71, v9
	v_or_b32_e32 v24, 0x800000, v10
	v_cndmask_b32_e32 v21, 0, v21, vcc_lo
	v_cmp_eq_u32_e32 vcc_lo, 0, v9
	v_add_nc_u32_e32 v9, 0xffffff91, v9
	v_cndmask_b32_e64 v21, v21, 0x6f, vcc_lo
	v_cndmask_b32_e32 v10, v24, v10, vcc_lo
	v_cndmask_b32_e64 v9, v9, 0xffffff92, vcc_lo
	v_lshl_add_u32 v24, 0x200000, v21, -1
	v_lshrrev_b32_e32 v26, v21, v10
	v_lshlrev_b32_e64 v53, v21, 0x100000
	v_add_nc_u32_e32 v21, v21, v9
	v_and_b32_e32 v10, v24, v10
	v_bfe_u32 v52, v26, 21, 1
	v_cmp_eq_u32_e64 s17, v10, v53
	v_add_nc_u32_e32 v24, -1, v52
	v_cndmask_b32_e64 v10, 0, v24, s17
	v_lshrrev_b32_e32 v24, 23, v26
	s_mov_b32 s17, exec_lo
	v_add_nc_u32_e32 v10, v10, v26
	v_xor_b32_e32 v24, 1, v24
	v_and_b32_e32 v9, 0x1fffff, v10
	v_add_nc_u32_e32 v10, v9, v26
                                        ; implicit-def: $vgpr9
	v_cmpx_ne_u32_e64 v21, v24
	s_xor_b32 s17, exec_lo, s17
; %bb.10763:                            ;   in Loop: Header=BB6_10564 Depth=3
	v_cmp_lt_u32_e32 vcc_lo, 0xffffff, v10
	v_sub_nc_u32_e32 v9, v21, v24
	v_cndmask_b32_e64 v21, 0, 1, vcc_lo
	v_add_co_ci_u32_e64 v9, null, 0, v9, vcc_lo
	v_lshrrev_b32_e32 v10, v21, v10
; %bb.10764:                            ;   in Loop: Header=BB6_10564 Depth=3
	s_andn2_saveexec_b32 s17, s17
; %bb.10765:                            ;   in Loop: Header=BB6_10564 Depth=3
	v_bfe_u32 v9, v10, 23, 1
; %bb.10766:                            ;   in Loop: Header=BB6_10564 Depth=3
	s_or_b32 exec_lo, exec_lo, s17
	v_lshrrev_b32_e32 v10, 21, v10
	v_min_i32_e32 v21, 31, v9
	v_cmp_gt_i32_e32 vcc_lo, 32, v9
	v_and_b32_sdwa v8, v8, v117 dst_sel:DWORD dst_unused:UNUSED_PAD src0_sel:BYTE_3 src1_sel:DWORD
	v_lshlrev_b32_e32 v21, 2, v21
	v_cndmask_b32_e32 v10, 3, v10, vcc_lo
	v_and_b32_e32 v21, 0xfc, v21
	v_and_b32_e32 v24, 3, v10
	v_or_b32_e32 v9, v9, v10
	v_or3_b32 v8, v8, v21, v24
	v_cmp_ne_u32_e32 vcc_lo, 0, v9
	v_lshlrev_b32_e32 v8, 8, v8
	v_cndmask_b32_e32 v26, 0, v8, vcc_lo
.LBB6_10767:                            ;   in Loop: Header=BB6_10564 Depth=3
	s_or_b32 exec_lo, exec_lo, s23
.LBB6_10768:                            ;   in Loop: Header=BB6_10564 Depth=3
	s_or_b32 exec_lo, exec_lo, s22
	v_and_b32_sdwa v9, v11, v40 dst_sel:DWORD dst_unused:UNUSED_PAD src0_sel:WORD_1 src1_sel:DWORD
	s_mov_b32 s17, 0
	s_mov_b32 s22, exec_lo
	v_cmpx_lt_i16_e32 0x7f, v9
	s_xor_b32 s22, exec_lo, s22
	s_cbranch_execz .LBB6_11147
; %bb.10769:                            ;   in Loop: Header=BB6_10564 Depth=3
	s_mov_b32 s17, -1
	s_mov_b32 s23, exec_lo
	v_cmpx_eq_u16_e32 0x80, v9
; %bb.10770:                            ;   in Loop: Header=BB6_10564 Depth=3
	s_xor_b32 s17, exec_lo, -1
; %bb.10771:                            ;   in Loop: Header=BB6_10564 Depth=3
	s_or_b32 exec_lo, exec_lo, s23
	s_and_b32 s17, s17, exec_lo
                                        ; implicit-def: $vgpr9
	s_or_saveexec_b32 s22, s22
	v_mov_b32_e32 v8, 0x7f800001
	s_xor_b32 exec_lo, exec_lo, s22
	s_cbranch_execnz .LBB6_11148
.LBB6_10772:                            ;   in Loop: Header=BB6_10564 Depth=3
	s_or_b32 exec_lo, exec_lo, s22
	s_and_saveexec_b32 s22, s17
	s_cbranch_execz .LBB6_10774
.LBB6_10773:                            ;   in Loop: Header=BB6_10564 Depth=3
	v_bfe_u32 v8, v11, 16, 2
	v_bfe_u32 v21, v11, 18, 5
	v_lshlrev_b32_e32 v24, 8, v11
	v_ffbh_u32_e32 v9, v8
	v_cmp_eq_u32_e32 vcc_lo, 0, v21
	v_min_u32_e32 v9, 32, v9
	v_subrev_nc_u32_e32 v10, 29, v9
	v_sub_nc_u32_e32 v9, 30, v9
	v_lshlrev_b32_sdwa v10, v10, v11 dst_sel:DWORD dst_unused:UNUSED_PAD src0_sel:DWORD src1_sel:WORD_1
	v_cndmask_b32_e32 v9, v21, v9, vcc_lo
	v_and_b32_e32 v10, 3, v10
	v_lshl_add_u32 v9, v9, 23, 0x37800000
	v_cndmask_b32_e32 v8, v8, v10, vcc_lo
	v_and_b32_e32 v10, 0x80000000, v24
	v_lshlrev_b32_e32 v8, 21, v8
	v_or3_b32 v8, v10, v9, v8
.LBB6_10774:                            ;   in Loop: Header=BB6_10564 Depth=3
	s_or_b32 exec_lo, exec_lo, s22
	v_mul_f32_e32 v8, s18, v8
	v_mov_b32_e32 v21, 0x80
	s_mov_b32 s22, exec_lo
	v_and_b32_e32 v9, 0x7f800000, v8
	v_cmpx_ne_u32_e32 0x7f800000, v9
	s_cbranch_execz .LBB6_10782
; %bb.10775:                            ;   in Loop: Header=BB6_10564 Depth=3
	v_mov_b32_e32 v21, 0
	s_mov_b32 s23, exec_lo
	v_cmpx_ne_u32_e32 0, v8
	s_cbranch_execz .LBB6_10781
; %bb.10776:                            ;   in Loop: Header=BB6_10564 Depth=3
	v_bfe_u32 v9, v8, 23, 8
	v_and_b32_e32 v10, 0x7fffff, v8
	v_sub_nc_u32_e32 v21, 0x70, v9
	v_cmp_gt_u32_e32 vcc_lo, 0x71, v9
	v_or_b32_e32 v24, 0x800000, v10
	v_cndmask_b32_e32 v21, 0, v21, vcc_lo
	v_cmp_eq_u32_e32 vcc_lo, 0, v9
	v_add_nc_u32_e32 v9, 0xffffff91, v9
	v_cndmask_b32_e64 v21, v21, 0x6f, vcc_lo
	v_cndmask_b32_e32 v10, v24, v10, vcc_lo
	v_cndmask_b32_e64 v9, v9, 0xffffff92, vcc_lo
	v_lshl_add_u32 v24, 0x200000, v21, -1
	v_lshrrev_b32_e32 v52, v21, v10
	v_lshlrev_b32_e64 v54, v21, 0x100000
	v_add_nc_u32_e32 v21, v21, v9
	v_and_b32_e32 v10, v24, v10
	v_bfe_u32 v53, v52, 21, 1
	v_cmp_eq_u32_e64 s17, v10, v54
	v_add_nc_u32_e32 v24, -1, v53
	v_cndmask_b32_e64 v10, 0, v24, s17
	v_lshrrev_b32_e32 v24, 23, v52
	s_mov_b32 s17, exec_lo
	v_add_nc_u32_e32 v10, v10, v52
	v_xor_b32_e32 v24, 1, v24
	v_and_b32_e32 v9, 0x1fffff, v10
	v_add_nc_u32_e32 v10, v9, v52
                                        ; implicit-def: $vgpr9
	v_cmpx_ne_u32_e64 v21, v24
	s_xor_b32 s17, exec_lo, s17
; %bb.10777:                            ;   in Loop: Header=BB6_10564 Depth=3
	v_cmp_lt_u32_e32 vcc_lo, 0xffffff, v10
	v_sub_nc_u32_e32 v9, v21, v24
	v_cndmask_b32_e64 v21, 0, 1, vcc_lo
	v_add_co_ci_u32_e64 v9, null, 0, v9, vcc_lo
	v_lshrrev_b32_e32 v10, v21, v10
; %bb.10778:                            ;   in Loop: Header=BB6_10564 Depth=3
	s_andn2_saveexec_b32 s17, s17
; %bb.10779:                            ;   in Loop: Header=BB6_10564 Depth=3
	v_bfe_u32 v9, v10, 23, 1
; %bb.10780:                            ;   in Loop: Header=BB6_10564 Depth=3
	s_or_b32 exec_lo, exec_lo, s17
	v_lshrrev_b32_e32 v10, 21, v10
	v_min_i32_e32 v21, 31, v9
	v_cmp_gt_i32_e32 vcc_lo, 32, v9
	v_and_b32_sdwa v8, v8, v117 dst_sel:DWORD dst_unused:UNUSED_PAD src0_sel:BYTE_3 src1_sel:DWORD
	v_lshlrev_b32_e32 v21, 2, v21
	v_cndmask_b32_e32 v10, 3, v10, vcc_lo
	v_and_b32_e32 v21, 0xfc, v21
	v_and_b32_e32 v24, 3, v10
	v_or_b32_e32 v9, v9, v10
	v_or3_b32 v8, v21, v8, v24
	v_cmp_ne_u32_e32 vcc_lo, 0, v9
	v_cndmask_b32_e32 v21, 0, v8, vcc_lo
.LBB6_10781:                            ;   in Loop: Header=BB6_10564 Depth=3
	s_or_b32 exec_lo, exec_lo, s23
.LBB6_10782:                            ;   in Loop: Header=BB6_10564 Depth=3
	s_or_b32 exec_lo, exec_lo, s22
	v_cmp_gt_i16_sdwa s22, v11, v116 src0_sel:BYTE_3 src1_sel:DWORD
	s_mov_b32 s17, 0
	s_and_saveexec_b32 s23, s22
	s_xor_b32 s22, exec_lo, s23
	s_cbranch_execz .LBB6_11149
; %bb.10783:                            ;   in Loop: Header=BB6_10564 Depth=3
	v_cmp_eq_u16_sdwa s76, v11, v117 src0_sel:BYTE_3 src1_sel:DWORD
	s_mov_b32 s17, -1
	s_and_saveexec_b32 s23, s76
; %bb.10784:                            ;   in Loop: Header=BB6_10564 Depth=3
	s_xor_b32 s17, exec_lo, -1
; %bb.10785:                            ;   in Loop: Header=BB6_10564 Depth=3
	s_or_b32 exec_lo, exec_lo, s23
	s_and_b32 s17, s17, exec_lo
	s_or_saveexec_b32 s22, s22
	v_mov_b32_e32 v8, 0x7f800001
	s_xor_b32 exec_lo, exec_lo, s22
	s_cbranch_execnz .LBB6_11150
.LBB6_10786:                            ;   in Loop: Header=BB6_10564 Depth=3
	s_or_b32 exec_lo, exec_lo, s22
	s_and_saveexec_b32 s22, s17
	s_cbranch_execz .LBB6_10788
.LBB6_10787:                            ;   in Loop: Header=BB6_10564 Depth=3
	v_bfe_u32 v8, v11, 24, 2
	v_bfe_u32 v24, v11, 26, 5
	v_ffbh_u32_e32 v9, v8
	v_cmp_eq_u32_e32 vcc_lo, 0, v24
	v_min_u32_e32 v9, 32, v9
	v_subrev_nc_u32_e32 v10, 29, v9
	v_sub_nc_u32_e32 v9, 30, v9
	v_lshlrev_b32_sdwa v10, v10, v11 dst_sel:DWORD dst_unused:UNUSED_PAD src0_sel:DWORD src1_sel:BYTE_3
	v_cndmask_b32_e32 v9, v24, v9, vcc_lo
	v_and_b32_e32 v10, 3, v10
	v_lshl_add_u32 v9, v9, 23, 0x37800000
	v_cndmask_b32_e32 v8, v8, v10, vcc_lo
	v_and_b32_e32 v10, 0x80000000, v11
	v_lshlrev_b32_e32 v8, 21, v8
	v_or3_b32 v8, v10, v9, v8
.LBB6_10788:                            ;   in Loop: Header=BB6_10564 Depth=3
	s_or_b32 exec_lo, exec_lo, s22
	v_mul_f32_e32 v8, s18, v8
	v_mov_b32_e32 v24, 0x8000
	s_mov_b32 s18, exec_lo
	v_and_b32_e32 v9, 0x7f800000, v8
	v_cmpx_ne_u32_e32 0x7f800000, v9
	s_cbranch_execz .LBB6_10796
; %bb.10789:                            ;   in Loop: Header=BB6_10564 Depth=3
	v_mov_b32_e32 v24, 0
	s_mov_b32 s22, exec_lo
	v_cmpx_ne_u32_e32 0, v8
	s_cbranch_execz .LBB6_10795
; %bb.10790:                            ;   in Loop: Header=BB6_10564 Depth=3
	v_bfe_u32 v9, v8, 23, 8
	v_and_b32_e32 v10, 0x7fffff, v8
	v_sub_nc_u32_e32 v11, 0x70, v9
	v_cmp_gt_u32_e32 vcc_lo, 0x71, v9
	v_or_b32_e32 v24, 0x800000, v10
	v_cndmask_b32_e32 v11, 0, v11, vcc_lo
	v_cmp_eq_u32_e32 vcc_lo, 0, v9
	v_add_nc_u32_e32 v9, 0xffffff91, v9
	v_cndmask_b32_e64 v11, v11, 0x6f, vcc_lo
	v_cndmask_b32_e32 v10, v24, v10, vcc_lo
	v_cndmask_b32_e64 v9, v9, 0xffffff92, vcc_lo
	v_lshl_add_u32 v24, 0x200000, v11, -1
	v_lshrrev_b32_e32 v52, v11, v10
	v_lshlrev_b32_e64 v54, v11, 0x100000
	v_add_nc_u32_e32 v11, v11, v9
	v_and_b32_e32 v10, v24, v10
	v_bfe_u32 v53, v52, 21, 1
	v_cmp_eq_u32_e64 s17, v10, v54
	v_add_nc_u32_e32 v24, -1, v53
	v_cndmask_b32_e64 v10, 0, v24, s17
	v_lshrrev_b32_e32 v24, 23, v52
	s_mov_b32 s17, exec_lo
	v_add_nc_u32_e32 v10, v10, v52
	v_xor_b32_e32 v24, 1, v24
	v_and_b32_e32 v9, 0x1fffff, v10
	v_add_nc_u32_e32 v10, v9, v52
                                        ; implicit-def: $vgpr9
	v_cmpx_ne_u32_e64 v11, v24
	s_xor_b32 s17, exec_lo, s17
; %bb.10791:                            ;   in Loop: Header=BB6_10564 Depth=3
	v_cmp_lt_u32_e32 vcc_lo, 0xffffff, v10
	v_sub_nc_u32_e32 v9, v11, v24
	v_cndmask_b32_e64 v11, 0, 1, vcc_lo
	v_add_co_ci_u32_e64 v9, null, 0, v9, vcc_lo
	v_lshrrev_b32_e32 v10, v11, v10
; %bb.10792:                            ;   in Loop: Header=BB6_10564 Depth=3
	s_andn2_saveexec_b32 s17, s17
; %bb.10793:                            ;   in Loop: Header=BB6_10564 Depth=3
	v_bfe_u32 v9, v10, 23, 1
; %bb.10794:                            ;   in Loop: Header=BB6_10564 Depth=3
	s_or_b32 exec_lo, exec_lo, s17
	v_lshrrev_b32_e32 v10, 21, v10
	v_min_i32_e32 v11, 31, v9
	v_cmp_gt_i32_e32 vcc_lo, 32, v9
	v_and_b32_sdwa v8, v8, v117 dst_sel:DWORD dst_unused:UNUSED_PAD src0_sel:BYTE_3 src1_sel:DWORD
	v_lshlrev_b32_e32 v11, 2, v11
	v_cndmask_b32_e32 v10, 3, v10, vcc_lo
	v_and_b32_e32 v11, 0xfc, v11
	v_and_b32_e32 v24, 3, v10
	v_or_b32_e32 v9, v9, v10
	v_or3_b32 v8, v8, v11, v24
	v_cmp_ne_u32_e32 vcc_lo, 0, v9
	v_lshlrev_b32_e32 v8, 8, v8
	v_cndmask_b32_e32 v24, 0, v8, vcc_lo
.LBB6_10795:                            ;   in Loop: Header=BB6_10564 Depth=3
	s_or_b32 exec_lo, exec_lo, s22
.LBB6_10796:                            ;   in Loop: Header=BB6_10564 Depth=3
	s_or_b32 exec_lo, exec_lo, s18
	global_load_dwordx4 v[8:11], v[14:15], off slc
	v_or_b32_e32 v52, v23, v20
	s_mov_b32 s17, 0
	v_cmp_gt_i16_sdwa s18, v52, v116 src0_sel:BYTE_0 src1_sel:DWORD
	s_and_saveexec_b32 s22, s18
	s_xor_b32 s18, exec_lo, s22
	s_cbranch_execz .LBB6_11151
; %bb.10797:                            ;   in Loop: Header=BB6_10564 Depth=3
	v_cmp_eq_u16_sdwa s23, v52, v117 src0_sel:BYTE_0 src1_sel:DWORD
	s_mov_b32 s17, -1
	s_and_saveexec_b32 s22, s23
; %bb.10798:                            ;   in Loop: Header=BB6_10564 Depth=3
	s_xor_b32 s17, exec_lo, -1
; %bb.10799:                            ;   in Loop: Header=BB6_10564 Depth=3
	s_or_b32 exec_lo, exec_lo, s22
	s_and_b32 s17, s17, exec_lo
	s_or_saveexec_b32 s18, s18
	v_mov_b32_e32 v20, 0x7f800001
	s_xor_b32 exec_lo, exec_lo, s18
	s_cbranch_execnz .LBB6_11152
.LBB6_10800:                            ;   in Loop: Header=BB6_10564 Depth=3
	s_or_b32 exec_lo, exec_lo, s18
	s_and_saveexec_b32 s18, s17
	s_cbranch_execz .LBB6_10802
.LBB6_10801:                            ;   in Loop: Header=BB6_10564 Depth=3
	v_and_b32_e32 v20, 3, v52
	v_bfe_u32 v54, v52, 2, 5
	v_lshlrev_b32_e32 v55, 24, v52
	v_ffbh_u32_e32 v23, v20
	v_cmp_eq_u32_e32 vcc_lo, 0, v54
	v_min_u32_e32 v23, 32, v23
	v_subrev_nc_u32_e32 v53, 29, v23
	v_sub_nc_u32_e32 v23, 30, v23
	v_lshlrev_b32_e32 v53, v53, v52
	v_cndmask_b32_e32 v23, v54, v23, vcc_lo
	v_and_b32_e32 v53, 3, v53
	v_lshl_add_u32 v23, v23, 23, 0x37800000
	v_cndmask_b32_e32 v20, v20, v53, vcc_lo
	v_and_b32_e32 v53, 0x80000000, v55
	v_lshlrev_b32_e32 v20, 21, v20
	v_or3_b32 v20, v53, v23, v20
.LBB6_10802:                            ;   in Loop: Header=BB6_10564 Depth=3
	s_or_b32 exec_lo, exec_lo, s18
	s_waitcnt vmcnt(0)
	v_cmp_gt_i16_sdwa s18, v8, v116 src0_sel:BYTE_0 src1_sel:DWORD
	s_mov_b32 s17, 0
	s_and_saveexec_b32 s22, s18
	s_xor_b32 s18, exec_lo, s22
	s_cbranch_execz .LBB6_11153
; %bb.10803:                            ;   in Loop: Header=BB6_10564 Depth=3
	v_cmp_eq_u16_sdwa s23, v8, v117 src0_sel:BYTE_0 src1_sel:DWORD
	s_mov_b32 s17, -1
	s_and_saveexec_b32 s22, s23
; %bb.10804:                            ;   in Loop: Header=BB6_10564 Depth=3
	s_xor_b32 s17, exec_lo, -1
; %bb.10805:                            ;   in Loop: Header=BB6_10564 Depth=3
	s_or_b32 exec_lo, exec_lo, s22
	s_and_b32 s17, s17, exec_lo
	s_or_saveexec_b32 s18, s18
	v_mov_b32_e32 v23, 0x7f800001
	s_xor_b32 exec_lo, exec_lo, s18
	s_cbranch_execnz .LBB6_11154
.LBB6_10806:                            ;   in Loop: Header=BB6_10564 Depth=3
	s_or_b32 exec_lo, exec_lo, s18
	s_and_saveexec_b32 s18, s17
	s_cbranch_execz .LBB6_10808
.LBB6_10807:                            ;   in Loop: Header=BB6_10564 Depth=3
	v_and_b32_e32 v23, 3, v8
	v_bfe_u32 v55, v8, 2, 5
	v_lshlrev_b32_e32 v66, 24, v8
	v_ffbh_u32_e32 v53, v23
	v_cmp_eq_u32_e32 vcc_lo, 0, v55
	v_min_u32_e32 v53, 32, v53
	v_subrev_nc_u32_e32 v54, 29, v53
	v_sub_nc_u32_e32 v53, 30, v53
	v_lshlrev_b32_e32 v54, v54, v8
	v_cndmask_b32_e32 v53, v55, v53, vcc_lo
	v_and_b32_e32 v54, 3, v54
	v_lshl_add_u32 v53, v53, 23, 0x37800000
	v_cndmask_b32_e32 v23, v23, v54, vcc_lo
	v_and_b32_e32 v54, 0x80000000, v66
	v_lshlrev_b32_e32 v23, 21, v23
	v_or3_b32 v23, v54, v53, v23
.LBB6_10808:                            ;   in Loop: Header=BB6_10564 Depth=3
	s_or_b32 exec_lo, exec_lo, s18
	v_add_f32_e32 v23, v20, v23
	v_and_b32_e32 v20, 0x7f800000, v23
	v_cmp_ne_u32_e32 vcc_lo, 0x7f800000, v20
	v_mov_b32_e32 v20, 0x80
	s_and_saveexec_b32 s18, vcc_lo
	s_cbranch_execz .LBB6_10816
; %bb.10809:                            ;   in Loop: Header=BB6_10564 Depth=3
	v_mov_b32_e32 v20, 0
	s_mov_b32 s22, exec_lo
	v_cmpx_ne_u32_e32 0, v23
	s_cbranch_execz .LBB6_10815
; %bb.10810:                            ;   in Loop: Header=BB6_10564 Depth=3
	v_bfe_u32 v20, v23, 23, 8
	v_and_b32_e32 v53, 0x7fffff, v23
	v_sub_nc_u32_e32 v54, 0x70, v20
	v_cmp_gt_u32_e32 vcc_lo, 0x71, v20
	v_or_b32_e32 v55, 0x800000, v53
	v_cndmask_b32_e32 v54, 0, v54, vcc_lo
	v_cmp_eq_u32_e32 vcc_lo, 0, v20
	v_add_nc_u32_e32 v20, 0xffffff91, v20
	v_cndmask_b32_e64 v54, v54, 0x6f, vcc_lo
	v_cndmask_b32_e32 v53, v55, v53, vcc_lo
	v_cndmask_b32_e64 v20, v20, 0xffffff92, vcc_lo
	v_lshl_add_u32 v55, 0x200000, v54, -1
	v_lshrrev_b32_e32 v66, v54, v53
	v_lshlrev_b32_e64 v80, v54, 0x100000
	v_add_nc_u32_e32 v54, v54, v20
	v_and_b32_e32 v53, v55, v53
	v_bfe_u32 v67, v66, 21, 1
	v_cmp_eq_u32_e64 s17, v53, v80
	v_add_nc_u32_e32 v55, -1, v67
	v_cndmask_b32_e64 v53, 0, v55, s17
	v_lshrrev_b32_e32 v55, 23, v66
	s_mov_b32 s17, exec_lo
	v_add_nc_u32_e32 v53, v53, v66
	v_xor_b32_e32 v55, 1, v55
	v_and_b32_e32 v20, 0x1fffff, v53
	v_add_nc_u32_e32 v53, v20, v66
                                        ; implicit-def: $vgpr20
	v_cmpx_ne_u32_e64 v54, v55
	s_xor_b32 s17, exec_lo, s17
; %bb.10811:                            ;   in Loop: Header=BB6_10564 Depth=3
	v_cmp_lt_u32_e32 vcc_lo, 0xffffff, v53
	v_sub_nc_u32_e32 v20, v54, v55
	v_cndmask_b32_e64 v54, 0, 1, vcc_lo
	v_add_co_ci_u32_e64 v20, null, 0, v20, vcc_lo
	v_lshrrev_b32_e32 v53, v54, v53
; %bb.10812:                            ;   in Loop: Header=BB6_10564 Depth=3
	s_andn2_saveexec_b32 s17, s17
; %bb.10813:                            ;   in Loop: Header=BB6_10564 Depth=3
	v_bfe_u32 v20, v53, 23, 1
; %bb.10814:                            ;   in Loop: Header=BB6_10564 Depth=3
	s_or_b32 exec_lo, exec_lo, s17
	v_lshrrev_b32_e32 v53, 21, v53
	v_min_i32_e32 v54, 31, v20
	v_cmp_gt_i32_e32 vcc_lo, 32, v20
	v_and_b32_sdwa v23, v23, v117 dst_sel:DWORD dst_unused:UNUSED_PAD src0_sel:BYTE_3 src1_sel:DWORD
	v_lshlrev_b32_e32 v54, 2, v54
	v_cndmask_b32_e32 v53, 3, v53, vcc_lo
	v_and_b32_e32 v54, 0xfc, v54
	v_and_b32_e32 v55, 3, v53
	v_or_b32_e32 v20, v20, v53
	v_or3_b32 v23, v54, v23, v55
	v_cmp_ne_u32_e32 vcc_lo, 0, v20
	v_cndmask_b32_e32 v20, 0, v23, vcc_lo
.LBB6_10815:                            ;   in Loop: Header=BB6_10564 Depth=3
	s_or_b32 exec_lo, exec_lo, s22
.LBB6_10816:                            ;   in Loop: Header=BB6_10564 Depth=3
	s_or_b32 exec_lo, exec_lo, s18
	v_cmp_gt_i16_sdwa s18, v52, v116 src0_sel:BYTE_1 src1_sel:DWORD
	s_mov_b32 s17, 0
	s_and_saveexec_b32 s22, s18
	s_xor_b32 s18, exec_lo, s22
	s_cbranch_execz .LBB6_11155
; %bb.10817:                            ;   in Loop: Header=BB6_10564 Depth=3
	v_cmp_eq_u16_sdwa s23, v52, v117 src0_sel:BYTE_1 src1_sel:DWORD
	s_mov_b32 s17, -1
	s_and_saveexec_b32 s22, s23
; %bb.10818:                            ;   in Loop: Header=BB6_10564 Depth=3
	s_xor_b32 s17, exec_lo, -1
; %bb.10819:                            ;   in Loop: Header=BB6_10564 Depth=3
	s_or_b32 exec_lo, exec_lo, s22
	s_and_b32 s17, s17, exec_lo
	s_or_saveexec_b32 s18, s18
	v_mov_b32_e32 v23, 0x7f800001
	s_xor_b32 exec_lo, exec_lo, s18
	s_cbranch_execnz .LBB6_11156
.LBB6_10820:                            ;   in Loop: Header=BB6_10564 Depth=3
	s_or_b32 exec_lo, exec_lo, s18
	s_and_saveexec_b32 s18, s17
	s_cbranch_execz .LBB6_10822
.LBB6_10821:                            ;   in Loop: Header=BB6_10564 Depth=3
	v_and_b32_sdwa v23, v118, v52 dst_sel:DWORD dst_unused:UNUSED_PAD src0_sel:DWORD src1_sel:BYTE_1
	v_and_b32_e32 v53, 3, v23
	v_bfe_u32 v66, v23, 2, 5
	v_ffbh_u32_e32 v54, v53
	v_cmp_eq_u32_e32 vcc_lo, 0, v66
	v_min_u32_e32 v54, 32, v54
	v_subrev_nc_u32_e32 v55, 29, v54
	v_sub_nc_u32_e32 v54, 30, v54
	v_lshlrev_b32_e32 v23, v55, v23
	v_lshlrev_b32_sdwa v55, v119, v52 dst_sel:DWORD dst_unused:UNUSED_PAD src0_sel:DWORD src1_sel:BYTE_1
	v_cndmask_b32_e32 v54, v66, v54, vcc_lo
	v_and_b32_e32 v23, 3, v23
	v_lshl_add_u32 v54, v54, 23, 0x37800000
	v_cndmask_b32_e32 v23, v53, v23, vcc_lo
	v_and_b32_e32 v53, 0x80000000, v55
	v_lshlrev_b32_e32 v23, 21, v23
	v_or3_b32 v23, v53, v54, v23
.LBB6_10822:                            ;   in Loop: Header=BB6_10564 Depth=3
	s_or_b32 exec_lo, exec_lo, s18
	v_cmp_gt_i16_sdwa s18, v8, v116 src0_sel:BYTE_1 src1_sel:DWORD
	s_mov_b32 s17, 0
	s_and_saveexec_b32 s22, s18
	s_xor_b32 s18, exec_lo, s22
	s_cbranch_execz .LBB6_11157
; %bb.10823:                            ;   in Loop: Header=BB6_10564 Depth=3
	v_cmp_eq_u16_sdwa s23, v8, v117 src0_sel:BYTE_1 src1_sel:DWORD
	s_mov_b32 s17, -1
	s_and_saveexec_b32 s22, s23
; %bb.10824:                            ;   in Loop: Header=BB6_10564 Depth=3
	s_xor_b32 s17, exec_lo, -1
; %bb.10825:                            ;   in Loop: Header=BB6_10564 Depth=3
	s_or_b32 exec_lo, exec_lo, s22
	s_and_b32 s17, s17, exec_lo
	s_or_saveexec_b32 s18, s18
	v_mov_b32_e32 v53, 0x7f800001
	s_xor_b32 exec_lo, exec_lo, s18
	s_cbranch_execnz .LBB6_11158
.LBB6_10826:                            ;   in Loop: Header=BB6_10564 Depth=3
	s_or_b32 exec_lo, exec_lo, s18
	s_and_saveexec_b32 s18, s17
	s_cbranch_execz .LBB6_10828
.LBB6_10827:                            ;   in Loop: Header=BB6_10564 Depth=3
	v_and_b32_sdwa v53, v118, v8 dst_sel:DWORD dst_unused:UNUSED_PAD src0_sel:DWORD src1_sel:BYTE_1
	v_and_b32_e32 v54, 3, v53
	v_bfe_u32 v67, v53, 2, 5
	v_ffbh_u32_e32 v55, v54
	v_cmp_eq_u32_e32 vcc_lo, 0, v67
	v_min_u32_e32 v55, 32, v55
	v_subrev_nc_u32_e32 v66, 29, v55
	v_sub_nc_u32_e32 v55, 30, v55
	v_lshlrev_b32_e32 v53, v66, v53
	v_lshlrev_b32_sdwa v66, v119, v8 dst_sel:DWORD dst_unused:UNUSED_PAD src0_sel:DWORD src1_sel:BYTE_1
	v_cndmask_b32_e32 v55, v67, v55, vcc_lo
	v_and_b32_e32 v53, 3, v53
	v_lshl_add_u32 v55, v55, 23, 0x37800000
	v_cndmask_b32_e32 v53, v54, v53, vcc_lo
	v_and_b32_e32 v54, 0x80000000, v66
	v_lshlrev_b32_e32 v53, 21, v53
	v_or3_b32 v53, v54, v55, v53
.LBB6_10828:                            ;   in Loop: Header=BB6_10564 Depth=3
	s_or_b32 exec_lo, exec_lo, s18
	v_add_f32_e32 v53, v23, v53
	v_and_b32_e32 v23, 0x7f800000, v53
	v_cmp_ne_u32_e32 vcc_lo, 0x7f800000, v23
	v_mov_b32_e32 v23, 0x8000
	s_and_saveexec_b32 s18, vcc_lo
	s_cbranch_execz .LBB6_10836
; %bb.10829:                            ;   in Loop: Header=BB6_10564 Depth=3
	v_mov_b32_e32 v23, 0
	s_mov_b32 s22, exec_lo
	v_cmpx_ne_u32_e32 0, v53
	s_cbranch_execz .LBB6_10835
; %bb.10830:                            ;   in Loop: Header=BB6_10564 Depth=3
	v_bfe_u32 v23, v53, 23, 8
	v_and_b32_e32 v54, 0x7fffff, v53
	v_sub_nc_u32_e32 v55, 0x70, v23
	v_cmp_gt_u32_e32 vcc_lo, 0x71, v23
	v_or_b32_e32 v66, 0x800000, v54
	v_cndmask_b32_e32 v55, 0, v55, vcc_lo
	v_cmp_eq_u32_e32 vcc_lo, 0, v23
	v_add_nc_u32_e32 v23, 0xffffff91, v23
	v_cndmask_b32_e64 v55, v55, 0x6f, vcc_lo
	v_cndmask_b32_e32 v54, v66, v54, vcc_lo
	v_cndmask_b32_e64 v23, v23, 0xffffff92, vcc_lo
	v_lshl_add_u32 v66, 0x200000, v55, -1
	v_lshrrev_b32_e32 v67, v55, v54
	v_lshlrev_b32_e64 v81, v55, 0x100000
	v_add_nc_u32_e32 v55, v55, v23
	v_and_b32_e32 v54, v66, v54
	v_bfe_u32 v80, v67, 21, 1
	v_cmp_eq_u32_e64 s17, v54, v81
	v_add_nc_u32_e32 v66, -1, v80
	v_cndmask_b32_e64 v54, 0, v66, s17
	v_lshrrev_b32_e32 v66, 23, v67
	s_mov_b32 s17, exec_lo
	v_add_nc_u32_e32 v54, v54, v67
	v_xor_b32_e32 v66, 1, v66
	v_and_b32_e32 v23, 0x1fffff, v54
	v_add_nc_u32_e32 v54, v23, v67
                                        ; implicit-def: $vgpr23
	v_cmpx_ne_u32_e64 v55, v66
	s_xor_b32 s17, exec_lo, s17
; %bb.10831:                            ;   in Loop: Header=BB6_10564 Depth=3
	v_cmp_lt_u32_e32 vcc_lo, 0xffffff, v54
	v_sub_nc_u32_e32 v23, v55, v66
	v_cndmask_b32_e64 v55, 0, 1, vcc_lo
	v_add_co_ci_u32_e64 v23, null, 0, v23, vcc_lo
	v_lshrrev_b32_e32 v54, v55, v54
; %bb.10832:                            ;   in Loop: Header=BB6_10564 Depth=3
	s_andn2_saveexec_b32 s17, s17
; %bb.10833:                            ;   in Loop: Header=BB6_10564 Depth=3
	v_bfe_u32 v23, v54, 23, 1
; %bb.10834:                            ;   in Loop: Header=BB6_10564 Depth=3
	s_or_b32 exec_lo, exec_lo, s17
	v_lshrrev_b32_e32 v54, 21, v54
	v_min_i32_e32 v55, 31, v23
	v_cmp_gt_i32_e32 vcc_lo, 32, v23
	v_and_b32_sdwa v53, v53, v117 dst_sel:DWORD dst_unused:UNUSED_PAD src0_sel:BYTE_3 src1_sel:DWORD
	v_lshlrev_b32_e32 v55, 2, v55
	v_cndmask_b32_e32 v54, 3, v54, vcc_lo
	v_and_b32_e32 v55, 0xfc, v55
	v_and_b32_e32 v66, 3, v54
	v_or_b32_e32 v23, v23, v54
	v_or3_b32 v53, v53, v55, v66
	v_cmp_ne_u32_e32 vcc_lo, 0, v23
	v_lshlrev_b32_e32 v53, 8, v53
	v_cndmask_b32_e32 v23, 0, v53, vcc_lo
.LBB6_10835:                            ;   in Loop: Header=BB6_10564 Depth=3
	s_or_b32 exec_lo, exec_lo, s22
.LBB6_10836:                            ;   in Loop: Header=BB6_10564 Depth=3
	s_or_b32 exec_lo, exec_lo, s18
	v_or_b32_e32 v51, v51, v28
	s_mov_b32 s17, 0
	v_cmp_gt_i16_sdwa s18, v51, v116 src0_sel:BYTE_0 src1_sel:DWORD
	s_and_saveexec_b32 s22, s18
	s_xor_b32 s18, exec_lo, s22
	s_cbranch_execz .LBB6_11159
; %bb.10837:                            ;   in Loop: Header=BB6_10564 Depth=3
	v_cmp_eq_u16_sdwa s23, v51, v117 src0_sel:BYTE_0 src1_sel:DWORD
	s_mov_b32 s17, -1
	s_and_saveexec_b32 s22, s23
; %bb.10838:                            ;   in Loop: Header=BB6_10564 Depth=3
	s_xor_b32 s17, exec_lo, -1
; %bb.10839:                            ;   in Loop: Header=BB6_10564 Depth=3
	s_or_b32 exec_lo, exec_lo, s22
	s_and_b32 s17, s17, exec_lo
	s_or_saveexec_b32 s18, s18
	v_mov_b32_e32 v28, 0x7f800001
	s_xor_b32 exec_lo, exec_lo, s18
	s_cbranch_execnz .LBB6_11160
.LBB6_10840:                            ;   in Loop: Header=BB6_10564 Depth=3
	s_or_b32 exec_lo, exec_lo, s18
	v_lshl_or_b32 v51, v51, 16, v52
	s_and_saveexec_b32 s18, s17
	s_cbranch_execz .LBB6_10842
.LBB6_10841:                            ;   in Loop: Header=BB6_10564 Depth=3
	v_bfe_u32 v28, v51, 16, 2
	v_bfe_u32 v54, v51, 18, 5
	v_lshlrev_b32_e32 v55, 8, v51
	v_ffbh_u32_e32 v52, v28
	v_cmp_eq_u32_e32 vcc_lo, 0, v54
	v_min_u32_e32 v52, 32, v52
	v_subrev_nc_u32_e32 v53, 29, v52
	v_sub_nc_u32_e32 v52, 30, v52
	v_lshlrev_b32_sdwa v53, v53, v51 dst_sel:DWORD dst_unused:UNUSED_PAD src0_sel:DWORD src1_sel:WORD_1
	v_cndmask_b32_e32 v52, v54, v52, vcc_lo
	v_and_b32_e32 v53, 3, v53
	v_lshl_add_u32 v52, v52, 23, 0x37800000
	v_cndmask_b32_e32 v28, v28, v53, vcc_lo
	v_and_b32_e32 v53, 0x80000000, v55
	v_lshlrev_b32_e32 v28, 21, v28
	v_or3_b32 v28, v53, v52, v28
.LBB6_10842:                            ;   in Loop: Header=BB6_10564 Depth=3
	s_or_b32 exec_lo, exec_lo, s18
	v_and_b32_sdwa v53, v8, v40 dst_sel:DWORD dst_unused:UNUSED_PAD src0_sel:WORD_1 src1_sel:DWORD
	s_mov_b32 s17, 0
	s_mov_b32 s18, exec_lo
	v_cmpx_lt_i16_e32 0x7f, v53
	s_xor_b32 s18, exec_lo, s18
	s_cbranch_execz .LBB6_11161
; %bb.10843:                            ;   in Loop: Header=BB6_10564 Depth=3
	s_mov_b32 s17, -1
	s_mov_b32 s22, exec_lo
	v_cmpx_eq_u16_e32 0x80, v53
; %bb.10844:                            ;   in Loop: Header=BB6_10564 Depth=3
	s_xor_b32 s17, exec_lo, -1
; %bb.10845:                            ;   in Loop: Header=BB6_10564 Depth=3
	s_or_b32 exec_lo, exec_lo, s22
	s_and_b32 s17, s17, exec_lo
                                        ; implicit-def: $vgpr53
	s_or_saveexec_b32 s18, s18
	v_mov_b32_e32 v52, 0x7f800001
	s_xor_b32 exec_lo, exec_lo, s18
	s_cbranch_execnz .LBB6_11162
.LBB6_10846:                            ;   in Loop: Header=BB6_10564 Depth=3
	s_or_b32 exec_lo, exec_lo, s18
	s_and_saveexec_b32 s18, s17
	s_cbranch_execz .LBB6_10848
.LBB6_10847:                            ;   in Loop: Header=BB6_10564 Depth=3
	v_mov_b32_e32 v52, 3
	v_bfe_u32 v55, v8, 18, 5
	v_lshlrev_b32_sdwa v66, v119, v8 dst_sel:DWORD dst_unused:UNUSED_PAD src0_sel:DWORD src1_sel:WORD_1
	v_and_b32_sdwa v52, v8, v52 dst_sel:DWORD dst_unused:UNUSED_PAD src0_sel:WORD_1 src1_sel:DWORD
	v_cmp_eq_u32_e32 vcc_lo, 0, v55
	v_ffbh_u32_e32 v53, v52
	v_min_u32_e32 v53, 32, v53
	v_subrev_nc_u32_e32 v54, 29, v53
	v_sub_nc_u32_e32 v53, 30, v53
	v_lshlrev_b32_sdwa v54, v54, v8 dst_sel:DWORD dst_unused:UNUSED_PAD src0_sel:DWORD src1_sel:WORD_1
	v_cndmask_b32_e32 v53, v55, v53, vcc_lo
	v_and_b32_e32 v54, 3, v54
	v_lshl_add_u32 v53, v53, 23, 0x37800000
	v_cndmask_b32_e32 v52, v52, v54, vcc_lo
	v_and_b32_e32 v54, 0x80000000, v66
	v_lshlrev_b32_e32 v52, 21, v52
	v_or3_b32 v52, v54, v53, v52
.LBB6_10848:                            ;   in Loop: Header=BB6_10564 Depth=3
	s_or_b32 exec_lo, exec_lo, s18
	v_add_f32_e32 v52, v28, v52
	v_and_b32_e32 v28, 0x7f800000, v52
	v_cmp_ne_u32_e32 vcc_lo, 0x7f800000, v28
	v_mov_b32_e32 v28, 0x80
	s_and_saveexec_b32 s18, vcc_lo
	s_cbranch_execz .LBB6_10856
; %bb.10849:                            ;   in Loop: Header=BB6_10564 Depth=3
	v_mov_b32_e32 v28, 0
	s_mov_b32 s22, exec_lo
	v_cmpx_ne_u32_e32 0, v52
	s_cbranch_execz .LBB6_10855
; %bb.10850:                            ;   in Loop: Header=BB6_10564 Depth=3
	v_bfe_u32 v28, v52, 23, 8
	v_and_b32_e32 v53, 0x7fffff, v52
	v_sub_nc_u32_e32 v54, 0x70, v28
	v_cmp_gt_u32_e32 vcc_lo, 0x71, v28
	v_or_b32_e32 v55, 0x800000, v53
	v_cndmask_b32_e32 v54, 0, v54, vcc_lo
	v_cmp_eq_u32_e32 vcc_lo, 0, v28
	v_add_nc_u32_e32 v28, 0xffffff91, v28
	v_cndmask_b32_e64 v54, v54, 0x6f, vcc_lo
	v_cndmask_b32_e32 v53, v55, v53, vcc_lo
	v_cndmask_b32_e64 v28, v28, 0xffffff92, vcc_lo
	v_lshl_add_u32 v55, 0x200000, v54, -1
	v_lshrrev_b32_e32 v66, v54, v53
	v_lshlrev_b32_e64 v80, v54, 0x100000
	v_add_nc_u32_e32 v54, v54, v28
	v_and_b32_e32 v53, v55, v53
	v_bfe_u32 v67, v66, 21, 1
	v_cmp_eq_u32_e64 s17, v53, v80
	v_add_nc_u32_e32 v55, -1, v67
	v_cndmask_b32_e64 v53, 0, v55, s17
	v_lshrrev_b32_e32 v55, 23, v66
	s_mov_b32 s17, exec_lo
	v_add_nc_u32_e32 v53, v53, v66
	v_xor_b32_e32 v55, 1, v55
	v_and_b32_e32 v28, 0x1fffff, v53
	v_add_nc_u32_e32 v53, v28, v66
                                        ; implicit-def: $vgpr28
	v_cmpx_ne_u32_e64 v54, v55
	s_xor_b32 s17, exec_lo, s17
; %bb.10851:                            ;   in Loop: Header=BB6_10564 Depth=3
	v_cmp_lt_u32_e32 vcc_lo, 0xffffff, v53
	v_sub_nc_u32_e32 v28, v54, v55
	v_cndmask_b32_e64 v54, 0, 1, vcc_lo
	v_add_co_ci_u32_e64 v28, null, 0, v28, vcc_lo
	v_lshrrev_b32_e32 v53, v54, v53
; %bb.10852:                            ;   in Loop: Header=BB6_10564 Depth=3
	s_andn2_saveexec_b32 s17, s17
; %bb.10853:                            ;   in Loop: Header=BB6_10564 Depth=3
	v_bfe_u32 v28, v53, 23, 1
; %bb.10854:                            ;   in Loop: Header=BB6_10564 Depth=3
	s_or_b32 exec_lo, exec_lo, s17
	v_lshrrev_b32_e32 v53, 21, v53
	v_min_i32_e32 v54, 31, v28
	v_cmp_gt_i32_e32 vcc_lo, 32, v28
	v_and_b32_sdwa v52, v52, v117 dst_sel:DWORD dst_unused:UNUSED_PAD src0_sel:BYTE_3 src1_sel:DWORD
	v_lshlrev_b32_e32 v54, 2, v54
	v_cndmask_b32_e32 v53, 3, v53, vcc_lo
	v_and_b32_e32 v54, 0xfc, v54
	v_and_b32_e32 v55, 3, v53
	v_or_b32_e32 v28, v28, v53
	v_or3_b32 v52, v54, v52, v55
	v_cmp_ne_u32_e32 vcc_lo, 0, v28
	v_cndmask_b32_e32 v28, 0, v52, vcc_lo
.LBB6_10855:                            ;   in Loop: Header=BB6_10564 Depth=3
	s_or_b32 exec_lo, exec_lo, s22
.LBB6_10856:                            ;   in Loop: Header=BB6_10564 Depth=3
	s_or_b32 exec_lo, exec_lo, s18
	v_cmp_gt_i16_sdwa s18, v51, v116 src0_sel:BYTE_3 src1_sel:DWORD
	s_mov_b32 s17, 0
	s_and_saveexec_b32 s22, s18
	s_xor_b32 s18, exec_lo, s22
	s_cbranch_execz .LBB6_11163
; %bb.10857:                            ;   in Loop: Header=BB6_10564 Depth=3
	v_cmp_eq_u16_sdwa s23, v51, v117 src0_sel:BYTE_3 src1_sel:DWORD
	s_mov_b32 s17, -1
	s_and_saveexec_b32 s22, s23
; %bb.10858:                            ;   in Loop: Header=BB6_10564 Depth=3
	s_xor_b32 s17, exec_lo, -1
; %bb.10859:                            ;   in Loop: Header=BB6_10564 Depth=3
	s_or_b32 exec_lo, exec_lo, s22
	s_and_b32 s17, s17, exec_lo
	s_or_saveexec_b32 s18, s18
	v_mov_b32_e32 v52, 0x7f800001
	s_xor_b32 exec_lo, exec_lo, s18
	s_cbranch_execnz .LBB6_11164
.LBB6_10860:                            ;   in Loop: Header=BB6_10564 Depth=3
	s_or_b32 exec_lo, exec_lo, s18
	s_and_saveexec_b32 s18, s17
	s_cbranch_execz .LBB6_10862
.LBB6_10861:                            ;   in Loop: Header=BB6_10564 Depth=3
	v_bfe_u32 v52, v51, 24, 2
	v_bfe_u32 v55, v51, 26, 5
	v_ffbh_u32_e32 v53, v52
	v_cmp_eq_u32_e32 vcc_lo, 0, v55
	v_min_u32_e32 v53, 32, v53
	v_subrev_nc_u32_e32 v54, 29, v53
	v_sub_nc_u32_e32 v53, 30, v53
	v_lshlrev_b32_sdwa v54, v54, v51 dst_sel:DWORD dst_unused:UNUSED_PAD src0_sel:DWORD src1_sel:BYTE_3
	v_cndmask_b32_e32 v53, v55, v53, vcc_lo
	v_and_b32_e32 v51, 0x80000000, v51
	v_and_b32_e32 v54, 3, v54
	v_lshl_add_u32 v53, v53, 23, 0x37800000
	v_cndmask_b32_e32 v52, v52, v54, vcc_lo
	v_lshlrev_b32_e32 v52, 21, v52
	v_or3_b32 v52, v51, v53, v52
.LBB6_10862:                            ;   in Loop: Header=BB6_10564 Depth=3
	s_or_b32 exec_lo, exec_lo, s18
	v_cmp_gt_i16_sdwa s18, v8, v116 src0_sel:BYTE_3 src1_sel:DWORD
	s_mov_b32 s17, 0
	s_and_saveexec_b32 s22, s18
	s_xor_b32 s18, exec_lo, s22
	s_cbranch_execz .LBB6_11165
; %bb.10863:                            ;   in Loop: Header=BB6_10564 Depth=3
	v_cmp_eq_u16_sdwa s23, v8, v117 src0_sel:BYTE_3 src1_sel:DWORD
	s_mov_b32 s17, -1
	s_and_saveexec_b32 s22, s23
; %bb.10864:                            ;   in Loop: Header=BB6_10564 Depth=3
	s_xor_b32 s17, exec_lo, -1
; %bb.10865:                            ;   in Loop: Header=BB6_10564 Depth=3
	s_or_b32 exec_lo, exec_lo, s22
	s_and_b32 s17, s17, exec_lo
	s_or_saveexec_b32 s18, s18
	v_mov_b32_e32 v51, 0x7f800001
	s_xor_b32 exec_lo, exec_lo, s18
	s_cbranch_execnz .LBB6_11166
.LBB6_10866:                            ;   in Loop: Header=BB6_10564 Depth=3
	s_or_b32 exec_lo, exec_lo, s18
	s_and_saveexec_b32 s18, s17
	s_cbranch_execz .LBB6_10868
.LBB6_10867:                            ;   in Loop: Header=BB6_10564 Depth=3
	v_mov_b32_e32 v51, 3
	v_bfe_u32 v55, v8, 26, 5
	v_and_b32_sdwa v51, v8, v51 dst_sel:DWORD dst_unused:UNUSED_PAD src0_sel:BYTE_3 src1_sel:DWORD
	v_cmp_eq_u32_e32 vcc_lo, 0, v55
	v_ffbh_u32_e32 v53, v51
	v_min_u32_e32 v53, 32, v53
	v_subrev_nc_u32_e32 v54, 29, v53
	v_sub_nc_u32_e32 v53, 30, v53
	v_lshlrev_b32_sdwa v54, v54, v8 dst_sel:DWORD dst_unused:UNUSED_PAD src0_sel:DWORD src1_sel:BYTE_3
	v_cndmask_b32_e32 v53, v55, v53, vcc_lo
	v_and_b32_e32 v8, 0x80000000, v8
	v_and_b32_e32 v54, 3, v54
	v_lshl_add_u32 v53, v53, 23, 0x37800000
	v_cndmask_b32_e32 v51, v51, v54, vcc_lo
	v_lshlrev_b32_e32 v51, 21, v51
	v_or3_b32 v51, v8, v53, v51
.LBB6_10868:                            ;   in Loop: Header=BB6_10564 Depth=3
	s_or_b32 exec_lo, exec_lo, s18
	v_add_f32_e32 v51, v52, v51
	v_and_b32_e32 v8, 0x7f800000, v51
	v_cmp_ne_u32_e32 vcc_lo, 0x7f800000, v8
	v_mov_b32_e32 v8, 0x8000
	s_and_saveexec_b32 s18, vcc_lo
	s_cbranch_execz .LBB6_10876
; %bb.10869:                            ;   in Loop: Header=BB6_10564 Depth=3
	v_mov_b32_e32 v8, 0
	s_mov_b32 s22, exec_lo
	v_cmpx_ne_u32_e32 0, v51
	s_cbranch_execz .LBB6_10875
; %bb.10870:                            ;   in Loop: Header=BB6_10564 Depth=3
	v_bfe_u32 v8, v51, 23, 8
	v_and_b32_e32 v52, 0x7fffff, v51
	v_sub_nc_u32_e32 v53, 0x70, v8
	v_cmp_gt_u32_e32 vcc_lo, 0x71, v8
	v_or_b32_e32 v54, 0x800000, v52
	v_cndmask_b32_e32 v53, 0, v53, vcc_lo
	v_cmp_eq_u32_e32 vcc_lo, 0, v8
	v_add_nc_u32_e32 v8, 0xffffff91, v8
	v_cndmask_b32_e64 v53, v53, 0x6f, vcc_lo
	v_cndmask_b32_e32 v52, v54, v52, vcc_lo
	v_cndmask_b32_e64 v8, v8, 0xffffff92, vcc_lo
	v_lshl_add_u32 v54, 0x200000, v53, -1
	v_lshrrev_b32_e32 v55, v53, v52
	v_lshlrev_b32_e64 v67, v53, 0x100000
	v_add_nc_u32_e32 v53, v53, v8
	v_and_b32_e32 v52, v54, v52
	v_bfe_u32 v66, v55, 21, 1
	v_cmp_eq_u32_e64 s17, v52, v67
	v_add_nc_u32_e32 v54, -1, v66
	v_cndmask_b32_e64 v52, 0, v54, s17
	v_lshrrev_b32_e32 v54, 23, v55
	s_mov_b32 s17, exec_lo
	v_add_nc_u32_e32 v52, v52, v55
	v_xor_b32_e32 v54, 1, v54
	v_and_b32_e32 v8, 0x1fffff, v52
	v_add_nc_u32_e32 v52, v8, v55
                                        ; implicit-def: $vgpr8
	v_cmpx_ne_u32_e64 v53, v54
	s_xor_b32 s17, exec_lo, s17
; %bb.10871:                            ;   in Loop: Header=BB6_10564 Depth=3
	v_cmp_lt_u32_e32 vcc_lo, 0xffffff, v52
	v_sub_nc_u32_e32 v8, v53, v54
	v_cndmask_b32_e64 v53, 0, 1, vcc_lo
	v_add_co_ci_u32_e64 v8, null, 0, v8, vcc_lo
	v_lshrrev_b32_e32 v52, v53, v52
; %bb.10872:                            ;   in Loop: Header=BB6_10564 Depth=3
	s_andn2_saveexec_b32 s17, s17
; %bb.10873:                            ;   in Loop: Header=BB6_10564 Depth=3
	v_bfe_u32 v8, v52, 23, 1
; %bb.10874:                            ;   in Loop: Header=BB6_10564 Depth=3
	s_or_b32 exec_lo, exec_lo, s17
	v_lshrrev_b32_e32 v52, 21, v52
	v_min_i32_e32 v53, 31, v8
	v_cmp_gt_i32_e32 vcc_lo, 32, v8
	v_and_b32_sdwa v51, v51, v117 dst_sel:DWORD dst_unused:UNUSED_PAD src0_sel:BYTE_3 src1_sel:DWORD
	v_lshlrev_b32_e32 v53, 2, v53
	v_cndmask_b32_e32 v52, 3, v52, vcc_lo
	v_and_b32_e32 v53, 0xfc, v53
	v_and_b32_e32 v54, 3, v52
	v_or_b32_e32 v8, v8, v52
	v_or3_b32 v51, v51, v53, v54
	v_cmp_ne_u32_e32 vcc_lo, 0, v8
	v_lshlrev_b32_e32 v51, 8, v51
	v_cndmask_b32_e32 v8, 0, v51, vcc_lo
.LBB6_10875:                            ;   in Loop: Header=BB6_10564 Depth=3
	s_or_b32 exec_lo, exec_lo, s22
.LBB6_10876:                            ;   in Loop: Header=BB6_10564 Depth=3
	s_or_b32 exec_lo, exec_lo, s18
	v_or_b32_e32 v51, v50, v36
	s_mov_b32 s17, 0
	v_cmp_gt_i16_sdwa s18, v51, v116 src0_sel:BYTE_0 src1_sel:DWORD
	s_and_saveexec_b32 s22, s18
	s_xor_b32 s18, exec_lo, s22
	s_cbranch_execz .LBB6_11167
; %bb.10877:                            ;   in Loop: Header=BB6_10564 Depth=3
	v_cmp_eq_u16_sdwa s23, v51, v117 src0_sel:BYTE_0 src1_sel:DWORD
	s_mov_b32 s17, -1
	s_and_saveexec_b32 s22, s23
; %bb.10878:                            ;   in Loop: Header=BB6_10564 Depth=3
	s_xor_b32 s17, exec_lo, -1
; %bb.10879:                            ;   in Loop: Header=BB6_10564 Depth=3
	s_or_b32 exec_lo, exec_lo, s22
	s_and_b32 s17, s17, exec_lo
	s_or_saveexec_b32 s18, s18
	v_mov_b32_e32 v36, 0x7f800001
	s_xor_b32 exec_lo, exec_lo, s18
	s_cbranch_execnz .LBB6_11168
.LBB6_10880:                            ;   in Loop: Header=BB6_10564 Depth=3
	s_or_b32 exec_lo, exec_lo, s18
	s_and_saveexec_b32 s18, s17
	s_cbranch_execz .LBB6_10882
.LBB6_10881:                            ;   in Loop: Header=BB6_10564 Depth=3
	v_and_b32_e32 v36, 3, v51
	v_bfe_u32 v53, v51, 2, 5
	v_lshlrev_b32_e32 v54, 24, v51
	v_ffbh_u32_e32 v50, v36
	v_cmp_eq_u32_e32 vcc_lo, 0, v53
	v_min_u32_e32 v50, 32, v50
	v_subrev_nc_u32_e32 v52, 29, v50
	v_sub_nc_u32_e32 v50, 30, v50
	v_lshlrev_b32_e32 v52, v52, v51
	v_cndmask_b32_e32 v50, v53, v50, vcc_lo
	v_and_b32_e32 v52, 3, v52
	v_lshl_add_u32 v50, v50, 23, 0x37800000
	v_cndmask_b32_e32 v36, v36, v52, vcc_lo
	v_and_b32_e32 v52, 0x80000000, v54
	v_lshlrev_b32_e32 v36, 21, v36
	v_or3_b32 v36, v52, v50, v36
.LBB6_10882:                            ;   in Loop: Header=BB6_10564 Depth=3
	s_or_b32 exec_lo, exec_lo, s18
	v_cmp_gt_i16_sdwa s18, v9, v116 src0_sel:BYTE_0 src1_sel:DWORD
	s_mov_b32 s17, 0
	s_and_saveexec_b32 s22, s18
	s_xor_b32 s18, exec_lo, s22
	s_cbranch_execz .LBB6_11169
; %bb.10883:                            ;   in Loop: Header=BB6_10564 Depth=3
	v_cmp_eq_u16_sdwa s23, v9, v117 src0_sel:BYTE_0 src1_sel:DWORD
	s_mov_b32 s17, -1
	s_and_saveexec_b32 s22, s23
; %bb.10884:                            ;   in Loop: Header=BB6_10564 Depth=3
	s_xor_b32 s17, exec_lo, -1
; %bb.10885:                            ;   in Loop: Header=BB6_10564 Depth=3
	s_or_b32 exec_lo, exec_lo, s22
	s_and_b32 s17, s17, exec_lo
	s_or_saveexec_b32 s18, s18
	v_mov_b32_e32 v50, 0x7f800001
	s_xor_b32 exec_lo, exec_lo, s18
	s_cbranch_execnz .LBB6_11170
.LBB6_10886:                            ;   in Loop: Header=BB6_10564 Depth=3
	s_or_b32 exec_lo, exec_lo, s18
	s_and_saveexec_b32 s18, s17
	s_cbranch_execz .LBB6_10888
.LBB6_10887:                            ;   in Loop: Header=BB6_10564 Depth=3
	v_and_b32_e32 v50, 3, v9
	v_bfe_u32 v54, v9, 2, 5
	v_lshlrev_b32_e32 v55, 24, v9
	v_ffbh_u32_e32 v52, v50
	v_cmp_eq_u32_e32 vcc_lo, 0, v54
	v_min_u32_e32 v52, 32, v52
	v_subrev_nc_u32_e32 v53, 29, v52
	v_sub_nc_u32_e32 v52, 30, v52
	v_lshlrev_b32_e32 v53, v53, v9
	v_cndmask_b32_e32 v52, v54, v52, vcc_lo
	v_and_b32_e32 v53, 3, v53
	v_lshl_add_u32 v52, v52, 23, 0x37800000
	v_cndmask_b32_e32 v50, v50, v53, vcc_lo
	v_and_b32_e32 v53, 0x80000000, v55
	v_lshlrev_b32_e32 v50, 21, v50
	v_or3_b32 v50, v53, v52, v50
.LBB6_10888:                            ;   in Loop: Header=BB6_10564 Depth=3
	s_or_b32 exec_lo, exec_lo, s18
	v_add_f32_e32 v50, v36, v50
	v_and_b32_e32 v36, 0x7f800000, v50
	v_cmp_ne_u32_e32 vcc_lo, 0x7f800000, v36
	v_mov_b32_e32 v36, 0x80
	s_and_saveexec_b32 s18, vcc_lo
	s_cbranch_execz .LBB6_10896
; %bb.10889:                            ;   in Loop: Header=BB6_10564 Depth=3
	v_mov_b32_e32 v36, 0
	s_mov_b32 s22, exec_lo
	v_cmpx_ne_u32_e32 0, v50
	s_cbranch_execz .LBB6_10895
; %bb.10890:                            ;   in Loop: Header=BB6_10564 Depth=3
	v_bfe_u32 v36, v50, 23, 8
	v_and_b32_e32 v52, 0x7fffff, v50
	v_sub_nc_u32_e32 v53, 0x70, v36
	v_cmp_gt_u32_e32 vcc_lo, 0x71, v36
	v_or_b32_e32 v54, 0x800000, v52
	v_cndmask_b32_e32 v53, 0, v53, vcc_lo
	v_cmp_eq_u32_e32 vcc_lo, 0, v36
	v_add_nc_u32_e32 v36, 0xffffff91, v36
	v_cndmask_b32_e64 v53, v53, 0x6f, vcc_lo
	v_cndmask_b32_e32 v52, v54, v52, vcc_lo
	v_cndmask_b32_e64 v36, v36, 0xffffff92, vcc_lo
	v_lshl_add_u32 v54, 0x200000, v53, -1
	v_lshrrev_b32_e32 v55, v53, v52
	v_lshlrev_b32_e64 v67, v53, 0x100000
	v_add_nc_u32_e32 v53, v53, v36
	v_and_b32_e32 v52, v54, v52
	v_bfe_u32 v66, v55, 21, 1
	v_cmp_eq_u32_e64 s17, v52, v67
	v_add_nc_u32_e32 v54, -1, v66
	v_cndmask_b32_e64 v52, 0, v54, s17
	v_lshrrev_b32_e32 v54, 23, v55
	s_mov_b32 s17, exec_lo
	v_add_nc_u32_e32 v52, v52, v55
	v_xor_b32_e32 v54, 1, v54
	v_and_b32_e32 v36, 0x1fffff, v52
	v_add_nc_u32_e32 v52, v36, v55
                                        ; implicit-def: $vgpr36
	v_cmpx_ne_u32_e64 v53, v54
	s_xor_b32 s17, exec_lo, s17
; %bb.10891:                            ;   in Loop: Header=BB6_10564 Depth=3
	v_cmp_lt_u32_e32 vcc_lo, 0xffffff, v52
	v_sub_nc_u32_e32 v36, v53, v54
	v_cndmask_b32_e64 v53, 0, 1, vcc_lo
	v_add_co_ci_u32_e64 v36, null, 0, v36, vcc_lo
	v_lshrrev_b32_e32 v52, v53, v52
; %bb.10892:                            ;   in Loop: Header=BB6_10564 Depth=3
	s_andn2_saveexec_b32 s17, s17
; %bb.10893:                            ;   in Loop: Header=BB6_10564 Depth=3
	v_bfe_u32 v36, v52, 23, 1
; %bb.10894:                            ;   in Loop: Header=BB6_10564 Depth=3
	s_or_b32 exec_lo, exec_lo, s17
	v_lshrrev_b32_e32 v52, 21, v52
	v_min_i32_e32 v53, 31, v36
	v_cmp_gt_i32_e32 vcc_lo, 32, v36
	v_and_b32_sdwa v50, v50, v117 dst_sel:DWORD dst_unused:UNUSED_PAD src0_sel:BYTE_3 src1_sel:DWORD
	v_lshlrev_b32_e32 v53, 2, v53
	v_cndmask_b32_e32 v52, 3, v52, vcc_lo
	v_and_b32_e32 v53, 0xfc, v53
	v_and_b32_e32 v54, 3, v52
	v_or_b32_e32 v36, v36, v52
	v_or3_b32 v50, v53, v50, v54
	v_cmp_ne_u32_e32 vcc_lo, 0, v36
	v_cndmask_b32_e32 v36, 0, v50, vcc_lo
.LBB6_10895:                            ;   in Loop: Header=BB6_10564 Depth=3
	s_or_b32 exec_lo, exec_lo, s22
.LBB6_10896:                            ;   in Loop: Header=BB6_10564 Depth=3
	s_or_b32 exec_lo, exec_lo, s18
	v_cmp_gt_i16_sdwa s18, v51, v116 src0_sel:BYTE_1 src1_sel:DWORD
	s_mov_b32 s17, 0
	s_and_saveexec_b32 s22, s18
	s_xor_b32 s18, exec_lo, s22
	s_cbranch_execz .LBB6_11171
; %bb.10897:                            ;   in Loop: Header=BB6_10564 Depth=3
	v_cmp_eq_u16_sdwa s23, v51, v117 src0_sel:BYTE_1 src1_sel:DWORD
	s_mov_b32 s17, -1
	s_and_saveexec_b32 s22, s23
; %bb.10898:                            ;   in Loop: Header=BB6_10564 Depth=3
	s_xor_b32 s17, exec_lo, -1
; %bb.10899:                            ;   in Loop: Header=BB6_10564 Depth=3
	s_or_b32 exec_lo, exec_lo, s22
	s_and_b32 s17, s17, exec_lo
	s_or_saveexec_b32 s18, s18
	v_mov_b32_e32 v50, 0x7f800001
	s_xor_b32 exec_lo, exec_lo, s18
	s_cbranch_execnz .LBB6_11172
.LBB6_10900:                            ;   in Loop: Header=BB6_10564 Depth=3
	s_or_b32 exec_lo, exec_lo, s18
	s_and_saveexec_b32 s18, s17
	s_cbranch_execz .LBB6_10902
.LBB6_10901:                            ;   in Loop: Header=BB6_10564 Depth=3
	v_and_b32_sdwa v50, v118, v51 dst_sel:DWORD dst_unused:UNUSED_PAD src0_sel:DWORD src1_sel:BYTE_1
	v_and_b32_e32 v52, 3, v50
	v_bfe_u32 v55, v50, 2, 5
	v_ffbh_u32_e32 v53, v52
	v_cmp_eq_u32_e32 vcc_lo, 0, v55
	v_min_u32_e32 v53, 32, v53
	v_subrev_nc_u32_e32 v54, 29, v53
	v_sub_nc_u32_e32 v53, 30, v53
	v_lshlrev_b32_e32 v50, v54, v50
	v_lshlrev_b32_sdwa v54, v119, v51 dst_sel:DWORD dst_unused:UNUSED_PAD src0_sel:DWORD src1_sel:BYTE_1
	v_cndmask_b32_e32 v53, v55, v53, vcc_lo
	v_and_b32_e32 v50, 3, v50
	v_lshl_add_u32 v53, v53, 23, 0x37800000
	v_cndmask_b32_e32 v50, v52, v50, vcc_lo
	v_and_b32_e32 v52, 0x80000000, v54
	v_lshlrev_b32_e32 v50, 21, v50
	v_or3_b32 v50, v52, v53, v50
.LBB6_10902:                            ;   in Loop: Header=BB6_10564 Depth=3
	s_or_b32 exec_lo, exec_lo, s18
	v_cmp_gt_i16_sdwa s18, v9, v116 src0_sel:BYTE_1 src1_sel:DWORD
	s_mov_b32 s17, 0
	s_and_saveexec_b32 s22, s18
	s_xor_b32 s18, exec_lo, s22
	s_cbranch_execz .LBB6_11173
; %bb.10903:                            ;   in Loop: Header=BB6_10564 Depth=3
	v_cmp_eq_u16_sdwa s23, v9, v117 src0_sel:BYTE_1 src1_sel:DWORD
	s_mov_b32 s17, -1
	s_and_saveexec_b32 s22, s23
; %bb.10904:                            ;   in Loop: Header=BB6_10564 Depth=3
	s_xor_b32 s17, exec_lo, -1
; %bb.10905:                            ;   in Loop: Header=BB6_10564 Depth=3
	s_or_b32 exec_lo, exec_lo, s22
	s_and_b32 s17, s17, exec_lo
	s_or_saveexec_b32 s18, s18
	v_mov_b32_e32 v52, 0x7f800001
	s_xor_b32 exec_lo, exec_lo, s18
	s_cbranch_execnz .LBB6_11174
.LBB6_10906:                            ;   in Loop: Header=BB6_10564 Depth=3
	s_or_b32 exec_lo, exec_lo, s18
	s_and_saveexec_b32 s18, s17
	s_cbranch_execz .LBB6_10908
.LBB6_10907:                            ;   in Loop: Header=BB6_10564 Depth=3
	v_and_b32_sdwa v52, v118, v9 dst_sel:DWORD dst_unused:UNUSED_PAD src0_sel:DWORD src1_sel:BYTE_1
	v_and_b32_e32 v53, 3, v52
	v_bfe_u32 v66, v52, 2, 5
	v_ffbh_u32_e32 v54, v53
	v_cmp_eq_u32_e32 vcc_lo, 0, v66
	v_min_u32_e32 v54, 32, v54
	v_subrev_nc_u32_e32 v55, 29, v54
	v_sub_nc_u32_e32 v54, 30, v54
	v_lshlrev_b32_e32 v52, v55, v52
	v_lshlrev_b32_sdwa v55, v119, v9 dst_sel:DWORD dst_unused:UNUSED_PAD src0_sel:DWORD src1_sel:BYTE_1
	v_cndmask_b32_e32 v54, v66, v54, vcc_lo
	v_and_b32_e32 v52, 3, v52
	v_lshl_add_u32 v54, v54, 23, 0x37800000
	v_cndmask_b32_e32 v52, v53, v52, vcc_lo
	v_and_b32_e32 v53, 0x80000000, v55
	v_lshlrev_b32_e32 v52, 21, v52
	v_or3_b32 v52, v53, v54, v52
.LBB6_10908:                            ;   in Loop: Header=BB6_10564 Depth=3
	s_or_b32 exec_lo, exec_lo, s18
	v_add_f32_e32 v52, v50, v52
	v_and_b32_e32 v50, 0x7f800000, v52
	v_cmp_ne_u32_e32 vcc_lo, 0x7f800000, v50
	v_mov_b32_e32 v50, 0x8000
	s_and_saveexec_b32 s18, vcc_lo
	s_cbranch_execz .LBB6_10916
; %bb.10909:                            ;   in Loop: Header=BB6_10564 Depth=3
	v_mov_b32_e32 v50, 0
	s_mov_b32 s22, exec_lo
	v_cmpx_ne_u32_e32 0, v52
	s_cbranch_execz .LBB6_10915
; %bb.10910:                            ;   in Loop: Header=BB6_10564 Depth=3
	v_bfe_u32 v50, v52, 23, 8
	v_and_b32_e32 v53, 0x7fffff, v52
	v_sub_nc_u32_e32 v54, 0x70, v50
	v_cmp_gt_u32_e32 vcc_lo, 0x71, v50
	v_or_b32_e32 v55, 0x800000, v53
	v_cndmask_b32_e32 v54, 0, v54, vcc_lo
	v_cmp_eq_u32_e32 vcc_lo, 0, v50
	v_add_nc_u32_e32 v50, 0xffffff91, v50
	v_cndmask_b32_e64 v54, v54, 0x6f, vcc_lo
	v_cndmask_b32_e32 v53, v55, v53, vcc_lo
	v_cndmask_b32_e64 v50, v50, 0xffffff92, vcc_lo
	v_lshl_add_u32 v55, 0x200000, v54, -1
	v_lshrrev_b32_e32 v66, v54, v53
	v_lshlrev_b32_e64 v80, v54, 0x100000
	v_add_nc_u32_e32 v54, v54, v50
	v_and_b32_e32 v53, v55, v53
	v_bfe_u32 v67, v66, 21, 1
	v_cmp_eq_u32_e64 s17, v53, v80
	v_add_nc_u32_e32 v55, -1, v67
	v_cndmask_b32_e64 v53, 0, v55, s17
	v_lshrrev_b32_e32 v55, 23, v66
	s_mov_b32 s17, exec_lo
	v_add_nc_u32_e32 v53, v53, v66
	v_xor_b32_e32 v55, 1, v55
	v_and_b32_e32 v50, 0x1fffff, v53
	v_add_nc_u32_e32 v53, v50, v66
                                        ; implicit-def: $vgpr50
	v_cmpx_ne_u32_e64 v54, v55
	s_xor_b32 s17, exec_lo, s17
; %bb.10911:                            ;   in Loop: Header=BB6_10564 Depth=3
	v_cmp_lt_u32_e32 vcc_lo, 0xffffff, v53
	v_sub_nc_u32_e32 v50, v54, v55
	v_cndmask_b32_e64 v54, 0, 1, vcc_lo
	v_add_co_ci_u32_e64 v50, null, 0, v50, vcc_lo
	v_lshrrev_b32_e32 v53, v54, v53
; %bb.10912:                            ;   in Loop: Header=BB6_10564 Depth=3
	s_andn2_saveexec_b32 s17, s17
; %bb.10913:                            ;   in Loop: Header=BB6_10564 Depth=3
	v_bfe_u32 v50, v53, 23, 1
; %bb.10914:                            ;   in Loop: Header=BB6_10564 Depth=3
	s_or_b32 exec_lo, exec_lo, s17
	v_lshrrev_b32_e32 v53, 21, v53
	v_min_i32_e32 v54, 31, v50
	v_cmp_gt_i32_e32 vcc_lo, 32, v50
	v_and_b32_sdwa v52, v52, v117 dst_sel:DWORD dst_unused:UNUSED_PAD src0_sel:BYTE_3 src1_sel:DWORD
	v_lshlrev_b32_e32 v54, 2, v54
	v_cndmask_b32_e32 v53, 3, v53, vcc_lo
	v_and_b32_e32 v54, 0xfc, v54
	v_and_b32_e32 v55, 3, v53
	v_or_b32_e32 v50, v50, v53
	v_or3_b32 v52, v52, v54, v55
	v_cmp_ne_u32_e32 vcc_lo, 0, v50
	v_lshlrev_b32_e32 v52, 8, v52
	v_cndmask_b32_e32 v50, 0, v52, vcc_lo
.LBB6_10915:                            ;   in Loop: Header=BB6_10564 Depth=3
	s_or_b32 exec_lo, exec_lo, s22
.LBB6_10916:                            ;   in Loop: Header=BB6_10564 Depth=3
	s_or_b32 exec_lo, exec_lo, s18
	v_or_b32_e32 v37, v37, v30
	s_mov_b32 s17, 0
	v_cmp_gt_i16_sdwa s18, v37, v116 src0_sel:BYTE_0 src1_sel:DWORD
	s_and_saveexec_b32 s22, s18
	s_xor_b32 s18, exec_lo, s22
	s_cbranch_execz .LBB6_11175
; %bb.10917:                            ;   in Loop: Header=BB6_10564 Depth=3
	v_cmp_eq_u16_sdwa s23, v37, v117 src0_sel:BYTE_0 src1_sel:DWORD
	s_mov_b32 s17, -1
	s_and_saveexec_b32 s22, s23
; %bb.10918:                            ;   in Loop: Header=BB6_10564 Depth=3
	s_xor_b32 s17, exec_lo, -1
; %bb.10919:                            ;   in Loop: Header=BB6_10564 Depth=3
	s_or_b32 exec_lo, exec_lo, s22
	s_and_b32 s17, s17, exec_lo
	s_or_saveexec_b32 s18, s18
	v_mov_b32_e32 v30, 0x7f800001
	s_xor_b32 exec_lo, exec_lo, s18
	s_cbranch_execnz .LBB6_11176
.LBB6_10920:                            ;   in Loop: Header=BB6_10564 Depth=3
	s_or_b32 exec_lo, exec_lo, s18
	v_lshl_or_b32 v37, v37, 16, v51
	s_and_saveexec_b32 s18, s17
	s_cbranch_execz .LBB6_10922
.LBB6_10921:                            ;   in Loop: Header=BB6_10564 Depth=3
	v_bfe_u32 v30, v37, 16, 2
	v_bfe_u32 v53, v37, 18, 5
	v_lshlrev_b32_e32 v54, 8, v37
	v_ffbh_u32_e32 v51, v30
	v_cmp_eq_u32_e32 vcc_lo, 0, v53
	v_min_u32_e32 v51, 32, v51
	v_subrev_nc_u32_e32 v52, 29, v51
	v_sub_nc_u32_e32 v51, 30, v51
	v_lshlrev_b32_sdwa v52, v52, v37 dst_sel:DWORD dst_unused:UNUSED_PAD src0_sel:DWORD src1_sel:WORD_1
	v_cndmask_b32_e32 v51, v53, v51, vcc_lo
	v_and_b32_e32 v52, 3, v52
	v_lshl_add_u32 v51, v51, 23, 0x37800000
	v_cndmask_b32_e32 v30, v30, v52, vcc_lo
	v_and_b32_e32 v52, 0x80000000, v54
	v_lshlrev_b32_e32 v30, 21, v30
	v_or3_b32 v30, v52, v51, v30
.LBB6_10922:                            ;   in Loop: Header=BB6_10564 Depth=3
	s_or_b32 exec_lo, exec_lo, s18
	v_and_b32_sdwa v52, v9, v40 dst_sel:DWORD dst_unused:UNUSED_PAD src0_sel:WORD_1 src1_sel:DWORD
	s_mov_b32 s17, 0
	s_mov_b32 s18, exec_lo
	v_cmpx_lt_i16_e32 0x7f, v52
	s_xor_b32 s18, exec_lo, s18
	s_cbranch_execz .LBB6_11177
; %bb.10923:                            ;   in Loop: Header=BB6_10564 Depth=3
	s_mov_b32 s17, -1
	s_mov_b32 s22, exec_lo
	v_cmpx_eq_u16_e32 0x80, v52
; %bb.10924:                            ;   in Loop: Header=BB6_10564 Depth=3
	s_xor_b32 s17, exec_lo, -1
; %bb.10925:                            ;   in Loop: Header=BB6_10564 Depth=3
	s_or_b32 exec_lo, exec_lo, s22
	s_and_b32 s17, s17, exec_lo
                                        ; implicit-def: $vgpr52
	s_or_saveexec_b32 s18, s18
	v_mov_b32_e32 v51, 0x7f800001
	s_xor_b32 exec_lo, exec_lo, s18
	s_cbranch_execnz .LBB6_11178
.LBB6_10926:                            ;   in Loop: Header=BB6_10564 Depth=3
	s_or_b32 exec_lo, exec_lo, s18
	s_and_saveexec_b32 s18, s17
	s_cbranch_execz .LBB6_10928
.LBB6_10927:                            ;   in Loop: Header=BB6_10564 Depth=3
	v_mov_b32_e32 v51, 3
	v_bfe_u32 v54, v9, 18, 5
	v_lshlrev_b32_sdwa v55, v119, v9 dst_sel:DWORD dst_unused:UNUSED_PAD src0_sel:DWORD src1_sel:WORD_1
	v_and_b32_sdwa v51, v9, v51 dst_sel:DWORD dst_unused:UNUSED_PAD src0_sel:WORD_1 src1_sel:DWORD
	v_cmp_eq_u32_e32 vcc_lo, 0, v54
	v_ffbh_u32_e32 v52, v51
	v_min_u32_e32 v52, 32, v52
	v_subrev_nc_u32_e32 v53, 29, v52
	v_sub_nc_u32_e32 v52, 30, v52
	v_lshlrev_b32_sdwa v53, v53, v9 dst_sel:DWORD dst_unused:UNUSED_PAD src0_sel:DWORD src1_sel:WORD_1
	v_cndmask_b32_e32 v52, v54, v52, vcc_lo
	v_and_b32_e32 v53, 3, v53
	v_lshl_add_u32 v52, v52, 23, 0x37800000
	v_cndmask_b32_e32 v51, v51, v53, vcc_lo
	v_and_b32_e32 v53, 0x80000000, v55
	v_lshlrev_b32_e32 v51, 21, v51
	v_or3_b32 v51, v53, v52, v51
.LBB6_10928:                            ;   in Loop: Header=BB6_10564 Depth=3
	s_or_b32 exec_lo, exec_lo, s18
	v_add_f32_e32 v51, v30, v51
	v_and_b32_e32 v30, 0x7f800000, v51
	v_cmp_ne_u32_e32 vcc_lo, 0x7f800000, v30
	v_mov_b32_e32 v30, 0x80
	s_and_saveexec_b32 s18, vcc_lo
	s_cbranch_execz .LBB6_10936
; %bb.10929:                            ;   in Loop: Header=BB6_10564 Depth=3
	v_mov_b32_e32 v30, 0
	s_mov_b32 s22, exec_lo
	v_cmpx_ne_u32_e32 0, v51
	s_cbranch_execz .LBB6_10935
; %bb.10930:                            ;   in Loop: Header=BB6_10564 Depth=3
	v_bfe_u32 v30, v51, 23, 8
	v_and_b32_e32 v52, 0x7fffff, v51
	v_sub_nc_u32_e32 v53, 0x70, v30
	v_cmp_gt_u32_e32 vcc_lo, 0x71, v30
	v_or_b32_e32 v54, 0x800000, v52
	v_cndmask_b32_e32 v53, 0, v53, vcc_lo
	v_cmp_eq_u32_e32 vcc_lo, 0, v30
	v_add_nc_u32_e32 v30, 0xffffff91, v30
	v_cndmask_b32_e64 v53, v53, 0x6f, vcc_lo
	v_cndmask_b32_e32 v52, v54, v52, vcc_lo
	v_cndmask_b32_e64 v30, v30, 0xffffff92, vcc_lo
	v_lshl_add_u32 v54, 0x200000, v53, -1
	v_lshrrev_b32_e32 v55, v53, v52
	v_lshlrev_b32_e64 v67, v53, 0x100000
	v_add_nc_u32_e32 v53, v53, v30
	v_and_b32_e32 v52, v54, v52
	v_bfe_u32 v66, v55, 21, 1
	v_cmp_eq_u32_e64 s17, v52, v67
	v_add_nc_u32_e32 v54, -1, v66
	v_cndmask_b32_e64 v52, 0, v54, s17
	v_lshrrev_b32_e32 v54, 23, v55
	s_mov_b32 s17, exec_lo
	v_add_nc_u32_e32 v52, v52, v55
	v_xor_b32_e32 v54, 1, v54
	v_and_b32_e32 v30, 0x1fffff, v52
	v_add_nc_u32_e32 v52, v30, v55
                                        ; implicit-def: $vgpr30
	v_cmpx_ne_u32_e64 v53, v54
	s_xor_b32 s17, exec_lo, s17
; %bb.10931:                            ;   in Loop: Header=BB6_10564 Depth=3
	v_cmp_lt_u32_e32 vcc_lo, 0xffffff, v52
	v_sub_nc_u32_e32 v30, v53, v54
	v_cndmask_b32_e64 v53, 0, 1, vcc_lo
	v_add_co_ci_u32_e64 v30, null, 0, v30, vcc_lo
	v_lshrrev_b32_e32 v52, v53, v52
; %bb.10932:                            ;   in Loop: Header=BB6_10564 Depth=3
	s_andn2_saveexec_b32 s17, s17
; %bb.10933:                            ;   in Loop: Header=BB6_10564 Depth=3
	v_bfe_u32 v30, v52, 23, 1
; %bb.10934:                            ;   in Loop: Header=BB6_10564 Depth=3
	s_or_b32 exec_lo, exec_lo, s17
	v_lshrrev_b32_e32 v52, 21, v52
	v_min_i32_e32 v53, 31, v30
	v_cmp_gt_i32_e32 vcc_lo, 32, v30
	v_and_b32_sdwa v51, v51, v117 dst_sel:DWORD dst_unused:UNUSED_PAD src0_sel:BYTE_3 src1_sel:DWORD
	v_lshlrev_b32_e32 v53, 2, v53
	v_cndmask_b32_e32 v52, 3, v52, vcc_lo
	v_and_b32_e32 v53, 0xfc, v53
	v_and_b32_e32 v54, 3, v52
	v_or_b32_e32 v30, v30, v52
	v_or3_b32 v51, v53, v51, v54
	v_cmp_ne_u32_e32 vcc_lo, 0, v30
	v_cndmask_b32_e32 v30, 0, v51, vcc_lo
.LBB6_10935:                            ;   in Loop: Header=BB6_10564 Depth=3
	s_or_b32 exec_lo, exec_lo, s22
.LBB6_10936:                            ;   in Loop: Header=BB6_10564 Depth=3
	s_or_b32 exec_lo, exec_lo, s18
	v_cmp_gt_i16_sdwa s18, v37, v116 src0_sel:BYTE_3 src1_sel:DWORD
	s_mov_b32 s17, 0
	s_and_saveexec_b32 s22, s18
	s_xor_b32 s18, exec_lo, s22
	s_cbranch_execz .LBB6_11179
; %bb.10937:                            ;   in Loop: Header=BB6_10564 Depth=3
	v_cmp_eq_u16_sdwa s23, v37, v117 src0_sel:BYTE_3 src1_sel:DWORD
	s_mov_b32 s17, -1
	s_and_saveexec_b32 s22, s23
; %bb.10938:                            ;   in Loop: Header=BB6_10564 Depth=3
	s_xor_b32 s17, exec_lo, -1
; %bb.10939:                            ;   in Loop: Header=BB6_10564 Depth=3
	s_or_b32 exec_lo, exec_lo, s22
	s_and_b32 s17, s17, exec_lo
	s_or_saveexec_b32 s18, s18
	v_mov_b32_e32 v51, 0x7f800001
	s_xor_b32 exec_lo, exec_lo, s18
	s_cbranch_execnz .LBB6_11180
.LBB6_10940:                            ;   in Loop: Header=BB6_10564 Depth=3
	s_or_b32 exec_lo, exec_lo, s18
	s_and_saveexec_b32 s18, s17
	s_cbranch_execz .LBB6_10942
.LBB6_10941:                            ;   in Loop: Header=BB6_10564 Depth=3
	v_bfe_u32 v51, v37, 24, 2
	v_bfe_u32 v54, v37, 26, 5
	v_ffbh_u32_e32 v52, v51
	v_cmp_eq_u32_e32 vcc_lo, 0, v54
	v_min_u32_e32 v52, 32, v52
	v_subrev_nc_u32_e32 v53, 29, v52
	v_sub_nc_u32_e32 v52, 30, v52
	v_lshlrev_b32_sdwa v53, v53, v37 dst_sel:DWORD dst_unused:UNUSED_PAD src0_sel:DWORD src1_sel:BYTE_3
	v_cndmask_b32_e32 v52, v54, v52, vcc_lo
	v_and_b32_e32 v37, 0x80000000, v37
	v_and_b32_e32 v53, 3, v53
	v_lshl_add_u32 v52, v52, 23, 0x37800000
	v_cndmask_b32_e32 v51, v51, v53, vcc_lo
	v_lshlrev_b32_e32 v51, 21, v51
	v_or3_b32 v51, v37, v52, v51
.LBB6_10942:                            ;   in Loop: Header=BB6_10564 Depth=3
	s_or_b32 exec_lo, exec_lo, s18
	v_cmp_gt_i16_sdwa s18, v9, v116 src0_sel:BYTE_3 src1_sel:DWORD
	s_mov_b32 s17, 0
	s_and_saveexec_b32 s22, s18
	s_xor_b32 s18, exec_lo, s22
	s_cbranch_execz .LBB6_11181
; %bb.10943:                            ;   in Loop: Header=BB6_10564 Depth=3
	v_cmp_eq_u16_sdwa s23, v9, v117 src0_sel:BYTE_3 src1_sel:DWORD
	s_mov_b32 s17, -1
	s_and_saveexec_b32 s22, s23
; %bb.10944:                            ;   in Loop: Header=BB6_10564 Depth=3
	s_xor_b32 s17, exec_lo, -1
; %bb.10945:                            ;   in Loop: Header=BB6_10564 Depth=3
	s_or_b32 exec_lo, exec_lo, s22
	s_and_b32 s17, s17, exec_lo
	s_or_saveexec_b32 s18, s18
	v_mov_b32_e32 v37, 0x7f800001
	s_xor_b32 exec_lo, exec_lo, s18
	s_cbranch_execnz .LBB6_11182
.LBB6_10946:                            ;   in Loop: Header=BB6_10564 Depth=3
	s_or_b32 exec_lo, exec_lo, s18
	s_and_saveexec_b32 s18, s17
	s_cbranch_execz .LBB6_10948
.LBB6_10947:                            ;   in Loop: Header=BB6_10564 Depth=3
	v_mov_b32_e32 v37, 3
	v_bfe_u32 v54, v9, 26, 5
	v_and_b32_sdwa v37, v9, v37 dst_sel:DWORD dst_unused:UNUSED_PAD src0_sel:BYTE_3 src1_sel:DWORD
	v_cmp_eq_u32_e32 vcc_lo, 0, v54
	v_ffbh_u32_e32 v52, v37
	v_min_u32_e32 v52, 32, v52
	v_subrev_nc_u32_e32 v53, 29, v52
	v_sub_nc_u32_e32 v52, 30, v52
	v_lshlrev_b32_sdwa v53, v53, v9 dst_sel:DWORD dst_unused:UNUSED_PAD src0_sel:DWORD src1_sel:BYTE_3
	v_cndmask_b32_e32 v52, v54, v52, vcc_lo
	v_and_b32_e32 v9, 0x80000000, v9
	v_and_b32_e32 v53, 3, v53
	v_lshl_add_u32 v52, v52, 23, 0x37800000
	v_cndmask_b32_e32 v37, v37, v53, vcc_lo
	v_lshlrev_b32_e32 v37, 21, v37
	v_or3_b32 v37, v9, v52, v37
.LBB6_10948:                            ;   in Loop: Header=BB6_10564 Depth=3
	s_or_b32 exec_lo, exec_lo, s18
	v_add_f32_e32 v37, v51, v37
	v_and_b32_e32 v9, 0x7f800000, v37
	v_cmp_ne_u32_e32 vcc_lo, 0x7f800000, v9
	v_mov_b32_e32 v9, 0x8000
	s_and_saveexec_b32 s18, vcc_lo
	s_cbranch_execz .LBB6_10956
; %bb.10949:                            ;   in Loop: Header=BB6_10564 Depth=3
	v_mov_b32_e32 v9, 0
	s_mov_b32 s22, exec_lo
	v_cmpx_ne_u32_e32 0, v37
	s_cbranch_execz .LBB6_10955
; %bb.10950:                            ;   in Loop: Header=BB6_10564 Depth=3
	v_bfe_u32 v9, v37, 23, 8
	v_and_b32_e32 v51, 0x7fffff, v37
	v_sub_nc_u32_e32 v52, 0x70, v9
	v_cmp_gt_u32_e32 vcc_lo, 0x71, v9
	v_or_b32_e32 v53, 0x800000, v51
	v_cndmask_b32_e32 v52, 0, v52, vcc_lo
	v_cmp_eq_u32_e32 vcc_lo, 0, v9
	v_add_nc_u32_e32 v9, 0xffffff91, v9
	v_cndmask_b32_e64 v52, v52, 0x6f, vcc_lo
	v_cndmask_b32_e32 v51, v53, v51, vcc_lo
	v_cndmask_b32_e64 v9, v9, 0xffffff92, vcc_lo
	v_lshl_add_u32 v53, 0x200000, v52, -1
	v_lshrrev_b32_e32 v54, v52, v51
	v_lshlrev_b32_e64 v66, v52, 0x100000
	v_add_nc_u32_e32 v52, v52, v9
	v_and_b32_e32 v51, v53, v51
	v_bfe_u32 v55, v54, 21, 1
	v_cmp_eq_u32_e64 s17, v51, v66
	v_add_nc_u32_e32 v53, -1, v55
	v_cndmask_b32_e64 v51, 0, v53, s17
	v_lshrrev_b32_e32 v53, 23, v54
	s_mov_b32 s17, exec_lo
	v_add_nc_u32_e32 v51, v51, v54
	v_xor_b32_e32 v53, 1, v53
	v_and_b32_e32 v9, 0x1fffff, v51
	v_add_nc_u32_e32 v51, v9, v54
                                        ; implicit-def: $vgpr9
	v_cmpx_ne_u32_e64 v52, v53
	s_xor_b32 s17, exec_lo, s17
; %bb.10951:                            ;   in Loop: Header=BB6_10564 Depth=3
	v_cmp_lt_u32_e32 vcc_lo, 0xffffff, v51
	v_sub_nc_u32_e32 v9, v52, v53
	v_cndmask_b32_e64 v52, 0, 1, vcc_lo
	v_add_co_ci_u32_e64 v9, null, 0, v9, vcc_lo
	v_lshrrev_b32_e32 v51, v52, v51
; %bb.10952:                            ;   in Loop: Header=BB6_10564 Depth=3
	s_andn2_saveexec_b32 s17, s17
; %bb.10953:                            ;   in Loop: Header=BB6_10564 Depth=3
	v_bfe_u32 v9, v51, 23, 1
; %bb.10954:                            ;   in Loop: Header=BB6_10564 Depth=3
	s_or_b32 exec_lo, exec_lo, s17
	v_lshrrev_b32_e32 v51, 21, v51
	v_min_i32_e32 v52, 31, v9
	v_cmp_gt_i32_e32 vcc_lo, 32, v9
	v_and_b32_sdwa v37, v37, v117 dst_sel:DWORD dst_unused:UNUSED_PAD src0_sel:BYTE_3 src1_sel:DWORD
	v_lshlrev_b32_e32 v52, 2, v52
	v_cndmask_b32_e32 v51, 3, v51, vcc_lo
	v_and_b32_e32 v52, 0xfc, v52
	v_and_b32_e32 v53, 3, v51
	v_or_b32_e32 v9, v9, v51
	v_or3_b32 v37, v37, v52, v53
	v_cmp_ne_u32_e32 vcc_lo, 0, v9
	v_lshlrev_b32_e32 v37, 8, v37
	v_cndmask_b32_e32 v9, 0, v37, vcc_lo
.LBB6_10955:                            ;   in Loop: Header=BB6_10564 Depth=3
	s_or_b32 exec_lo, exec_lo, s22
.LBB6_10956:                            ;   in Loop: Header=BB6_10564 Depth=3
	s_or_b32 exec_lo, exec_lo, s18
	v_or_b32_e32 v37, v31, v27
	s_mov_b32 s17, 0
	v_cmp_gt_i16_sdwa s18, v37, v116 src0_sel:BYTE_0 src1_sel:DWORD
	s_and_saveexec_b32 s22, s18
	s_xor_b32 s18, exec_lo, s22
	s_cbranch_execz .LBB6_11183
; %bb.10957:                            ;   in Loop: Header=BB6_10564 Depth=3
	v_cmp_eq_u16_sdwa s23, v37, v117 src0_sel:BYTE_0 src1_sel:DWORD
	s_mov_b32 s17, -1
	s_and_saveexec_b32 s22, s23
; %bb.10958:                            ;   in Loop: Header=BB6_10564 Depth=3
	s_xor_b32 s17, exec_lo, -1
; %bb.10959:                            ;   in Loop: Header=BB6_10564 Depth=3
	s_or_b32 exec_lo, exec_lo, s22
	s_and_b32 s17, s17, exec_lo
	s_or_saveexec_b32 s18, s18
	v_mov_b32_e32 v27, 0x7f800001
	s_xor_b32 exec_lo, exec_lo, s18
	s_cbranch_execnz .LBB6_11184
.LBB6_10960:                            ;   in Loop: Header=BB6_10564 Depth=3
	s_or_b32 exec_lo, exec_lo, s18
	s_and_saveexec_b32 s18, s17
	s_cbranch_execz .LBB6_10962
.LBB6_10961:                            ;   in Loop: Header=BB6_10564 Depth=3
	v_and_b32_e32 v27, 3, v37
	v_bfe_u32 v52, v37, 2, 5
	v_lshlrev_b32_e32 v53, 24, v37
	v_ffbh_u32_e32 v31, v27
	v_cmp_eq_u32_e32 vcc_lo, 0, v52
	v_min_u32_e32 v31, 32, v31
	v_subrev_nc_u32_e32 v51, 29, v31
	v_sub_nc_u32_e32 v31, 30, v31
	v_lshlrev_b32_e32 v51, v51, v37
	v_cndmask_b32_e32 v31, v52, v31, vcc_lo
	v_and_b32_e32 v51, 3, v51
	v_lshl_add_u32 v31, v31, 23, 0x37800000
	v_cndmask_b32_e32 v27, v27, v51, vcc_lo
	v_and_b32_e32 v51, 0x80000000, v53
	v_lshlrev_b32_e32 v27, 21, v27
	v_or3_b32 v27, v51, v31, v27
.LBB6_10962:                            ;   in Loop: Header=BB6_10564 Depth=3
	s_or_b32 exec_lo, exec_lo, s18
	v_cmp_gt_i16_sdwa s18, v10, v116 src0_sel:BYTE_0 src1_sel:DWORD
	s_mov_b32 s17, 0
	s_and_saveexec_b32 s22, s18
	s_xor_b32 s18, exec_lo, s22
	s_cbranch_execz .LBB6_11185
; %bb.10963:                            ;   in Loop: Header=BB6_10564 Depth=3
	v_cmp_eq_u16_sdwa s23, v10, v117 src0_sel:BYTE_0 src1_sel:DWORD
	s_mov_b32 s17, -1
	s_and_saveexec_b32 s22, s23
; %bb.10964:                            ;   in Loop: Header=BB6_10564 Depth=3
	s_xor_b32 s17, exec_lo, -1
; %bb.10965:                            ;   in Loop: Header=BB6_10564 Depth=3
	s_or_b32 exec_lo, exec_lo, s22
	s_and_b32 s17, s17, exec_lo
	s_or_saveexec_b32 s18, s18
	v_mov_b32_e32 v31, 0x7f800001
	s_xor_b32 exec_lo, exec_lo, s18
	s_cbranch_execnz .LBB6_11186
.LBB6_10966:                            ;   in Loop: Header=BB6_10564 Depth=3
	s_or_b32 exec_lo, exec_lo, s18
	s_and_saveexec_b32 s18, s17
	s_cbranch_execz .LBB6_10968
.LBB6_10967:                            ;   in Loop: Header=BB6_10564 Depth=3
	v_and_b32_e32 v31, 3, v10
	v_bfe_u32 v53, v10, 2, 5
	v_lshlrev_b32_e32 v54, 24, v10
	v_ffbh_u32_e32 v51, v31
	v_cmp_eq_u32_e32 vcc_lo, 0, v53
	v_min_u32_e32 v51, 32, v51
	v_subrev_nc_u32_e32 v52, 29, v51
	v_sub_nc_u32_e32 v51, 30, v51
	v_lshlrev_b32_e32 v52, v52, v10
	v_cndmask_b32_e32 v51, v53, v51, vcc_lo
	v_and_b32_e32 v52, 3, v52
	v_lshl_add_u32 v51, v51, 23, 0x37800000
	v_cndmask_b32_e32 v31, v31, v52, vcc_lo
	v_and_b32_e32 v52, 0x80000000, v54
	v_lshlrev_b32_e32 v31, 21, v31
	v_or3_b32 v31, v52, v51, v31
.LBB6_10968:                            ;   in Loop: Header=BB6_10564 Depth=3
	s_or_b32 exec_lo, exec_lo, s18
	v_add_f32_e32 v31, v27, v31
	v_and_b32_e32 v27, 0x7f800000, v31
	v_cmp_ne_u32_e32 vcc_lo, 0x7f800000, v27
	v_mov_b32_e32 v27, 0x80
	s_and_saveexec_b32 s18, vcc_lo
	s_cbranch_execz .LBB6_10976
; %bb.10969:                            ;   in Loop: Header=BB6_10564 Depth=3
	v_mov_b32_e32 v27, 0
	s_mov_b32 s22, exec_lo
	v_cmpx_ne_u32_e32 0, v31
	s_cbranch_execz .LBB6_10975
; %bb.10970:                            ;   in Loop: Header=BB6_10564 Depth=3
	v_bfe_u32 v27, v31, 23, 8
	v_and_b32_e32 v51, 0x7fffff, v31
	v_sub_nc_u32_e32 v52, 0x70, v27
	v_cmp_gt_u32_e32 vcc_lo, 0x71, v27
	v_or_b32_e32 v53, 0x800000, v51
	v_cndmask_b32_e32 v52, 0, v52, vcc_lo
	v_cmp_eq_u32_e32 vcc_lo, 0, v27
	v_add_nc_u32_e32 v27, 0xffffff91, v27
	v_cndmask_b32_e64 v52, v52, 0x6f, vcc_lo
	v_cndmask_b32_e32 v51, v53, v51, vcc_lo
	v_cndmask_b32_e64 v27, v27, 0xffffff92, vcc_lo
	v_lshl_add_u32 v53, 0x200000, v52, -1
	v_lshrrev_b32_e32 v54, v52, v51
	v_lshlrev_b32_e64 v66, v52, 0x100000
	v_add_nc_u32_e32 v52, v52, v27
	v_and_b32_e32 v51, v53, v51
	v_bfe_u32 v55, v54, 21, 1
	v_cmp_eq_u32_e64 s17, v51, v66
	v_add_nc_u32_e32 v53, -1, v55
	v_cndmask_b32_e64 v51, 0, v53, s17
	v_lshrrev_b32_e32 v53, 23, v54
	s_mov_b32 s17, exec_lo
	v_add_nc_u32_e32 v51, v51, v54
	v_xor_b32_e32 v53, 1, v53
	v_and_b32_e32 v27, 0x1fffff, v51
	v_add_nc_u32_e32 v51, v27, v54
                                        ; implicit-def: $vgpr27
	v_cmpx_ne_u32_e64 v52, v53
	s_xor_b32 s17, exec_lo, s17
; %bb.10971:                            ;   in Loop: Header=BB6_10564 Depth=3
	v_cmp_lt_u32_e32 vcc_lo, 0xffffff, v51
	v_sub_nc_u32_e32 v27, v52, v53
	v_cndmask_b32_e64 v52, 0, 1, vcc_lo
	v_add_co_ci_u32_e64 v27, null, 0, v27, vcc_lo
	v_lshrrev_b32_e32 v51, v52, v51
; %bb.10972:                            ;   in Loop: Header=BB6_10564 Depth=3
	s_andn2_saveexec_b32 s17, s17
; %bb.10973:                            ;   in Loop: Header=BB6_10564 Depth=3
	v_bfe_u32 v27, v51, 23, 1
; %bb.10974:                            ;   in Loop: Header=BB6_10564 Depth=3
	s_or_b32 exec_lo, exec_lo, s17
	v_lshrrev_b32_e32 v51, 21, v51
	v_min_i32_e32 v52, 31, v27
	v_cmp_gt_i32_e32 vcc_lo, 32, v27
	v_and_b32_sdwa v31, v31, v117 dst_sel:DWORD dst_unused:UNUSED_PAD src0_sel:BYTE_3 src1_sel:DWORD
	v_lshlrev_b32_e32 v52, 2, v52
	v_cndmask_b32_e32 v51, 3, v51, vcc_lo
	v_and_b32_e32 v52, 0xfc, v52
	v_and_b32_e32 v53, 3, v51
	v_or_b32_e32 v27, v27, v51
	v_or3_b32 v31, v52, v31, v53
	v_cmp_ne_u32_e32 vcc_lo, 0, v27
	v_cndmask_b32_e32 v27, 0, v31, vcc_lo
.LBB6_10975:                            ;   in Loop: Header=BB6_10564 Depth=3
	s_or_b32 exec_lo, exec_lo, s22
.LBB6_10976:                            ;   in Loop: Header=BB6_10564 Depth=3
	s_or_b32 exec_lo, exec_lo, s18
	v_cmp_gt_i16_sdwa s18, v37, v116 src0_sel:BYTE_1 src1_sel:DWORD
	s_mov_b32 s17, 0
	s_and_saveexec_b32 s22, s18
	s_xor_b32 s18, exec_lo, s22
	s_cbranch_execz .LBB6_11187
; %bb.10977:                            ;   in Loop: Header=BB6_10564 Depth=3
	v_cmp_eq_u16_sdwa s23, v37, v117 src0_sel:BYTE_1 src1_sel:DWORD
	s_mov_b32 s17, -1
	s_and_saveexec_b32 s22, s23
; %bb.10978:                            ;   in Loop: Header=BB6_10564 Depth=3
	s_xor_b32 s17, exec_lo, -1
; %bb.10979:                            ;   in Loop: Header=BB6_10564 Depth=3
	s_or_b32 exec_lo, exec_lo, s22
	s_and_b32 s17, s17, exec_lo
	s_or_saveexec_b32 s18, s18
	v_mov_b32_e32 v31, 0x7f800001
	s_xor_b32 exec_lo, exec_lo, s18
	s_cbranch_execnz .LBB6_11188
.LBB6_10980:                            ;   in Loop: Header=BB6_10564 Depth=3
	s_or_b32 exec_lo, exec_lo, s18
	s_and_saveexec_b32 s18, s17
	s_cbranch_execz .LBB6_10982
.LBB6_10981:                            ;   in Loop: Header=BB6_10564 Depth=3
	v_and_b32_sdwa v31, v118, v37 dst_sel:DWORD dst_unused:UNUSED_PAD src0_sel:DWORD src1_sel:BYTE_1
	v_and_b32_e32 v51, 3, v31
	v_bfe_u32 v54, v31, 2, 5
	v_ffbh_u32_e32 v52, v51
	v_cmp_eq_u32_e32 vcc_lo, 0, v54
	v_min_u32_e32 v52, 32, v52
	v_subrev_nc_u32_e32 v53, 29, v52
	v_sub_nc_u32_e32 v52, 30, v52
	v_lshlrev_b32_e32 v31, v53, v31
	v_lshlrev_b32_sdwa v53, v119, v37 dst_sel:DWORD dst_unused:UNUSED_PAD src0_sel:DWORD src1_sel:BYTE_1
	v_cndmask_b32_e32 v52, v54, v52, vcc_lo
	v_and_b32_e32 v31, 3, v31
	v_lshl_add_u32 v52, v52, 23, 0x37800000
	v_cndmask_b32_e32 v31, v51, v31, vcc_lo
	v_and_b32_e32 v51, 0x80000000, v53
	v_lshlrev_b32_e32 v31, 21, v31
	v_or3_b32 v31, v51, v52, v31
.LBB6_10982:                            ;   in Loop: Header=BB6_10564 Depth=3
	s_or_b32 exec_lo, exec_lo, s18
	v_cmp_gt_i16_sdwa s18, v10, v116 src0_sel:BYTE_1 src1_sel:DWORD
	s_mov_b32 s17, 0
	s_and_saveexec_b32 s22, s18
	s_xor_b32 s18, exec_lo, s22
	s_cbranch_execz .LBB6_11189
; %bb.10983:                            ;   in Loop: Header=BB6_10564 Depth=3
	v_cmp_eq_u16_sdwa s23, v10, v117 src0_sel:BYTE_1 src1_sel:DWORD
	s_mov_b32 s17, -1
	s_and_saveexec_b32 s22, s23
; %bb.10984:                            ;   in Loop: Header=BB6_10564 Depth=3
	s_xor_b32 s17, exec_lo, -1
; %bb.10985:                            ;   in Loop: Header=BB6_10564 Depth=3
	s_or_b32 exec_lo, exec_lo, s22
	s_and_b32 s17, s17, exec_lo
	s_or_saveexec_b32 s18, s18
	v_mov_b32_e32 v51, 0x7f800001
	s_xor_b32 exec_lo, exec_lo, s18
	s_cbranch_execnz .LBB6_11190
.LBB6_10986:                            ;   in Loop: Header=BB6_10564 Depth=3
	s_or_b32 exec_lo, exec_lo, s18
	s_and_saveexec_b32 s18, s17
	s_cbranch_execz .LBB6_10988
.LBB6_10987:                            ;   in Loop: Header=BB6_10564 Depth=3
	v_and_b32_sdwa v51, v118, v10 dst_sel:DWORD dst_unused:UNUSED_PAD src0_sel:DWORD src1_sel:BYTE_1
	v_and_b32_e32 v52, 3, v51
	v_bfe_u32 v55, v51, 2, 5
	v_ffbh_u32_e32 v53, v52
	v_cmp_eq_u32_e32 vcc_lo, 0, v55
	v_min_u32_e32 v53, 32, v53
	v_subrev_nc_u32_e32 v54, 29, v53
	v_sub_nc_u32_e32 v53, 30, v53
	v_lshlrev_b32_e32 v51, v54, v51
	v_lshlrev_b32_sdwa v54, v119, v10 dst_sel:DWORD dst_unused:UNUSED_PAD src0_sel:DWORD src1_sel:BYTE_1
	v_cndmask_b32_e32 v53, v55, v53, vcc_lo
	v_and_b32_e32 v51, 3, v51
	v_lshl_add_u32 v53, v53, 23, 0x37800000
	v_cndmask_b32_e32 v51, v52, v51, vcc_lo
	v_and_b32_e32 v52, 0x80000000, v54
	v_lshlrev_b32_e32 v51, 21, v51
	v_or3_b32 v51, v52, v53, v51
.LBB6_10988:                            ;   in Loop: Header=BB6_10564 Depth=3
	s_or_b32 exec_lo, exec_lo, s18
	v_add_f32_e32 v51, v31, v51
	v_and_b32_e32 v31, 0x7f800000, v51
	v_cmp_ne_u32_e32 vcc_lo, 0x7f800000, v31
	v_mov_b32_e32 v31, 0x8000
	s_and_saveexec_b32 s18, vcc_lo
	s_cbranch_execz .LBB6_10996
; %bb.10989:                            ;   in Loop: Header=BB6_10564 Depth=3
	v_mov_b32_e32 v31, 0
	s_mov_b32 s22, exec_lo
	v_cmpx_ne_u32_e32 0, v51
	s_cbranch_execz .LBB6_10995
; %bb.10990:                            ;   in Loop: Header=BB6_10564 Depth=3
	v_bfe_u32 v31, v51, 23, 8
	v_and_b32_e32 v52, 0x7fffff, v51
	v_sub_nc_u32_e32 v53, 0x70, v31
	v_cmp_gt_u32_e32 vcc_lo, 0x71, v31
	v_or_b32_e32 v54, 0x800000, v52
	v_cndmask_b32_e32 v53, 0, v53, vcc_lo
	v_cmp_eq_u32_e32 vcc_lo, 0, v31
	v_add_nc_u32_e32 v31, 0xffffff91, v31
	v_cndmask_b32_e64 v53, v53, 0x6f, vcc_lo
	v_cndmask_b32_e32 v52, v54, v52, vcc_lo
	v_cndmask_b32_e64 v31, v31, 0xffffff92, vcc_lo
	v_lshl_add_u32 v54, 0x200000, v53, -1
	v_lshrrev_b32_e32 v55, v53, v52
	v_lshlrev_b32_e64 v67, v53, 0x100000
	v_add_nc_u32_e32 v53, v53, v31
	v_and_b32_e32 v52, v54, v52
	v_bfe_u32 v66, v55, 21, 1
	v_cmp_eq_u32_e64 s17, v52, v67
	v_add_nc_u32_e32 v54, -1, v66
	v_cndmask_b32_e64 v52, 0, v54, s17
	v_lshrrev_b32_e32 v54, 23, v55
	s_mov_b32 s17, exec_lo
	v_add_nc_u32_e32 v52, v52, v55
	v_xor_b32_e32 v54, 1, v54
	v_and_b32_e32 v31, 0x1fffff, v52
	v_add_nc_u32_e32 v52, v31, v55
                                        ; implicit-def: $vgpr31
	v_cmpx_ne_u32_e64 v53, v54
	s_xor_b32 s17, exec_lo, s17
; %bb.10991:                            ;   in Loop: Header=BB6_10564 Depth=3
	v_cmp_lt_u32_e32 vcc_lo, 0xffffff, v52
	v_sub_nc_u32_e32 v31, v53, v54
	v_cndmask_b32_e64 v53, 0, 1, vcc_lo
	v_add_co_ci_u32_e64 v31, null, 0, v31, vcc_lo
	v_lshrrev_b32_e32 v52, v53, v52
; %bb.10992:                            ;   in Loop: Header=BB6_10564 Depth=3
	s_andn2_saveexec_b32 s17, s17
; %bb.10993:                            ;   in Loop: Header=BB6_10564 Depth=3
	v_bfe_u32 v31, v52, 23, 1
; %bb.10994:                            ;   in Loop: Header=BB6_10564 Depth=3
	s_or_b32 exec_lo, exec_lo, s17
	v_lshrrev_b32_e32 v52, 21, v52
	v_min_i32_e32 v53, 31, v31
	v_cmp_gt_i32_e32 vcc_lo, 32, v31
	v_and_b32_sdwa v51, v51, v117 dst_sel:DWORD dst_unused:UNUSED_PAD src0_sel:BYTE_3 src1_sel:DWORD
	v_lshlrev_b32_e32 v53, 2, v53
	v_cndmask_b32_e32 v52, 3, v52, vcc_lo
	v_and_b32_e32 v53, 0xfc, v53
	v_and_b32_e32 v54, 3, v52
	v_or_b32_e32 v31, v31, v52
	v_or3_b32 v51, v51, v53, v54
	v_cmp_ne_u32_e32 vcc_lo, 0, v31
	v_lshlrev_b32_e32 v51, 8, v51
	v_cndmask_b32_e32 v31, 0, v51, vcc_lo
.LBB6_10995:                            ;   in Loop: Header=BB6_10564 Depth=3
	s_or_b32 exec_lo, exec_lo, s22
.LBB6_10996:                            ;   in Loop: Header=BB6_10564 Depth=3
	s_or_b32 exec_lo, exec_lo, s18
	v_or_b32_e32 v29, v29, v25
	s_mov_b32 s17, 0
	v_cmp_gt_i16_sdwa s18, v29, v116 src0_sel:BYTE_0 src1_sel:DWORD
	s_and_saveexec_b32 s22, s18
	s_xor_b32 s18, exec_lo, s22
	s_cbranch_execz .LBB6_11191
; %bb.10997:                            ;   in Loop: Header=BB6_10564 Depth=3
	v_cmp_eq_u16_sdwa s23, v29, v117 src0_sel:BYTE_0 src1_sel:DWORD
	s_mov_b32 s17, -1
	s_and_saveexec_b32 s22, s23
; %bb.10998:                            ;   in Loop: Header=BB6_10564 Depth=3
	s_xor_b32 s17, exec_lo, -1
; %bb.10999:                            ;   in Loop: Header=BB6_10564 Depth=3
	s_or_b32 exec_lo, exec_lo, s22
	s_and_b32 s17, s17, exec_lo
	s_or_saveexec_b32 s18, s18
	v_mov_b32_e32 v25, 0x7f800001
	s_xor_b32 exec_lo, exec_lo, s18
	s_cbranch_execnz .LBB6_11192
.LBB6_11000:                            ;   in Loop: Header=BB6_10564 Depth=3
	s_or_b32 exec_lo, exec_lo, s18
	v_lshl_or_b32 v29, v29, 16, v37
	s_and_saveexec_b32 s18, s17
	s_cbranch_execz .LBB6_11002
.LBB6_11001:                            ;   in Loop: Header=BB6_10564 Depth=3
	v_bfe_u32 v25, v29, 16, 2
	v_bfe_u32 v52, v29, 18, 5
	v_lshlrev_b32_e32 v53, 8, v29
	v_ffbh_u32_e32 v37, v25
	v_cmp_eq_u32_e32 vcc_lo, 0, v52
	v_min_u32_e32 v37, 32, v37
	v_subrev_nc_u32_e32 v51, 29, v37
	v_sub_nc_u32_e32 v37, 30, v37
	v_lshlrev_b32_sdwa v51, v51, v29 dst_sel:DWORD dst_unused:UNUSED_PAD src0_sel:DWORD src1_sel:WORD_1
	v_cndmask_b32_e32 v37, v52, v37, vcc_lo
	v_and_b32_e32 v51, 3, v51
	v_lshl_add_u32 v37, v37, 23, 0x37800000
	v_cndmask_b32_e32 v25, v25, v51, vcc_lo
	v_and_b32_e32 v51, 0x80000000, v53
	v_lshlrev_b32_e32 v25, 21, v25
	v_or3_b32 v25, v51, v37, v25
.LBB6_11002:                            ;   in Loop: Header=BB6_10564 Depth=3
	s_or_b32 exec_lo, exec_lo, s18
	v_and_b32_sdwa v51, v10, v40 dst_sel:DWORD dst_unused:UNUSED_PAD src0_sel:WORD_1 src1_sel:DWORD
	s_mov_b32 s17, 0
	s_mov_b32 s18, exec_lo
	v_cmpx_lt_i16_e32 0x7f, v51
	s_xor_b32 s18, exec_lo, s18
	s_cbranch_execz .LBB6_11193
; %bb.11003:                            ;   in Loop: Header=BB6_10564 Depth=3
	s_mov_b32 s17, -1
	s_mov_b32 s22, exec_lo
	v_cmpx_eq_u16_e32 0x80, v51
; %bb.11004:                            ;   in Loop: Header=BB6_10564 Depth=3
	s_xor_b32 s17, exec_lo, -1
; %bb.11005:                            ;   in Loop: Header=BB6_10564 Depth=3
	s_or_b32 exec_lo, exec_lo, s22
	s_and_b32 s17, s17, exec_lo
                                        ; implicit-def: $vgpr51
	s_or_saveexec_b32 s18, s18
	v_mov_b32_e32 v37, 0x7f800001
	s_xor_b32 exec_lo, exec_lo, s18
	s_cbranch_execnz .LBB6_11194
.LBB6_11006:                            ;   in Loop: Header=BB6_10564 Depth=3
	s_or_b32 exec_lo, exec_lo, s18
	s_and_saveexec_b32 s18, s17
	s_cbranch_execz .LBB6_11008
.LBB6_11007:                            ;   in Loop: Header=BB6_10564 Depth=3
	v_mov_b32_e32 v37, 3
	v_bfe_u32 v53, v10, 18, 5
	v_lshlrev_b32_sdwa v54, v119, v10 dst_sel:DWORD dst_unused:UNUSED_PAD src0_sel:DWORD src1_sel:WORD_1
	v_and_b32_sdwa v37, v10, v37 dst_sel:DWORD dst_unused:UNUSED_PAD src0_sel:WORD_1 src1_sel:DWORD
	v_cmp_eq_u32_e32 vcc_lo, 0, v53
	v_ffbh_u32_e32 v51, v37
	v_min_u32_e32 v51, 32, v51
	v_subrev_nc_u32_e32 v52, 29, v51
	v_sub_nc_u32_e32 v51, 30, v51
	v_lshlrev_b32_sdwa v52, v52, v10 dst_sel:DWORD dst_unused:UNUSED_PAD src0_sel:DWORD src1_sel:WORD_1
	v_cndmask_b32_e32 v51, v53, v51, vcc_lo
	v_and_b32_e32 v52, 3, v52
	v_lshl_add_u32 v51, v51, 23, 0x37800000
	v_cndmask_b32_e32 v37, v37, v52, vcc_lo
	v_and_b32_e32 v52, 0x80000000, v54
	v_lshlrev_b32_e32 v37, 21, v37
	v_or3_b32 v37, v52, v51, v37
.LBB6_11008:                            ;   in Loop: Header=BB6_10564 Depth=3
	s_or_b32 exec_lo, exec_lo, s18
	v_add_f32_e32 v37, v25, v37
	v_and_b32_e32 v25, 0x7f800000, v37
	v_cmp_ne_u32_e32 vcc_lo, 0x7f800000, v25
	v_mov_b32_e32 v25, 0x80
	s_and_saveexec_b32 s18, vcc_lo
	s_cbranch_execz .LBB6_11016
; %bb.11009:                            ;   in Loop: Header=BB6_10564 Depth=3
	v_mov_b32_e32 v25, 0
	s_mov_b32 s22, exec_lo
	v_cmpx_ne_u32_e32 0, v37
	s_cbranch_execz .LBB6_11015
; %bb.11010:                            ;   in Loop: Header=BB6_10564 Depth=3
	v_bfe_u32 v25, v37, 23, 8
	v_and_b32_e32 v51, 0x7fffff, v37
	v_sub_nc_u32_e32 v52, 0x70, v25
	v_cmp_gt_u32_e32 vcc_lo, 0x71, v25
	v_or_b32_e32 v53, 0x800000, v51
	v_cndmask_b32_e32 v52, 0, v52, vcc_lo
	v_cmp_eq_u32_e32 vcc_lo, 0, v25
	v_add_nc_u32_e32 v25, 0xffffff91, v25
	v_cndmask_b32_e64 v52, v52, 0x6f, vcc_lo
	v_cndmask_b32_e32 v51, v53, v51, vcc_lo
	v_cndmask_b32_e64 v25, v25, 0xffffff92, vcc_lo
	v_lshl_add_u32 v53, 0x200000, v52, -1
	v_lshrrev_b32_e32 v54, v52, v51
	v_lshlrev_b32_e64 v66, v52, 0x100000
	v_add_nc_u32_e32 v52, v52, v25
	v_and_b32_e32 v51, v53, v51
	v_bfe_u32 v55, v54, 21, 1
	v_cmp_eq_u32_e64 s17, v51, v66
	v_add_nc_u32_e32 v53, -1, v55
	v_cndmask_b32_e64 v51, 0, v53, s17
	v_lshrrev_b32_e32 v53, 23, v54
	s_mov_b32 s17, exec_lo
	v_add_nc_u32_e32 v51, v51, v54
	v_xor_b32_e32 v53, 1, v53
	v_and_b32_e32 v25, 0x1fffff, v51
	v_add_nc_u32_e32 v51, v25, v54
                                        ; implicit-def: $vgpr25
	v_cmpx_ne_u32_e64 v52, v53
	s_xor_b32 s17, exec_lo, s17
; %bb.11011:                            ;   in Loop: Header=BB6_10564 Depth=3
	v_cmp_lt_u32_e32 vcc_lo, 0xffffff, v51
	v_sub_nc_u32_e32 v25, v52, v53
	v_cndmask_b32_e64 v52, 0, 1, vcc_lo
	v_add_co_ci_u32_e64 v25, null, 0, v25, vcc_lo
	v_lshrrev_b32_e32 v51, v52, v51
; %bb.11012:                            ;   in Loop: Header=BB6_10564 Depth=3
	s_andn2_saveexec_b32 s17, s17
; %bb.11013:                            ;   in Loop: Header=BB6_10564 Depth=3
	v_bfe_u32 v25, v51, 23, 1
; %bb.11014:                            ;   in Loop: Header=BB6_10564 Depth=3
	s_or_b32 exec_lo, exec_lo, s17
	v_lshrrev_b32_e32 v51, 21, v51
	v_min_i32_e32 v52, 31, v25
	v_cmp_gt_i32_e32 vcc_lo, 32, v25
	v_and_b32_sdwa v37, v37, v117 dst_sel:DWORD dst_unused:UNUSED_PAD src0_sel:BYTE_3 src1_sel:DWORD
	v_lshlrev_b32_e32 v52, 2, v52
	v_cndmask_b32_e32 v51, 3, v51, vcc_lo
	v_and_b32_e32 v52, 0xfc, v52
	v_and_b32_e32 v53, 3, v51
	v_or_b32_e32 v25, v25, v51
	v_or3_b32 v37, v52, v37, v53
	v_cmp_ne_u32_e32 vcc_lo, 0, v25
	v_cndmask_b32_e32 v25, 0, v37, vcc_lo
.LBB6_11015:                            ;   in Loop: Header=BB6_10564 Depth=3
	s_or_b32 exec_lo, exec_lo, s22
.LBB6_11016:                            ;   in Loop: Header=BB6_10564 Depth=3
	s_or_b32 exec_lo, exec_lo, s18
	v_cmp_gt_i16_sdwa s18, v29, v116 src0_sel:BYTE_3 src1_sel:DWORD
	s_mov_b32 s17, 0
	s_and_saveexec_b32 s22, s18
	s_xor_b32 s18, exec_lo, s22
	s_cbranch_execz .LBB6_11195
; %bb.11017:                            ;   in Loop: Header=BB6_10564 Depth=3
	v_cmp_eq_u16_sdwa s23, v29, v117 src0_sel:BYTE_3 src1_sel:DWORD
	s_mov_b32 s17, -1
	s_and_saveexec_b32 s22, s23
; %bb.11018:                            ;   in Loop: Header=BB6_10564 Depth=3
	s_xor_b32 s17, exec_lo, -1
; %bb.11019:                            ;   in Loop: Header=BB6_10564 Depth=3
	s_or_b32 exec_lo, exec_lo, s22
	s_and_b32 s17, s17, exec_lo
	s_or_saveexec_b32 s18, s18
	v_mov_b32_e32 v37, 0x7f800001
	s_xor_b32 exec_lo, exec_lo, s18
	s_cbranch_execnz .LBB6_11196
.LBB6_11020:                            ;   in Loop: Header=BB6_10564 Depth=3
	s_or_b32 exec_lo, exec_lo, s18
	s_and_saveexec_b32 s18, s17
	s_cbranch_execz .LBB6_11022
.LBB6_11021:                            ;   in Loop: Header=BB6_10564 Depth=3
	v_bfe_u32 v37, v29, 24, 2
	v_bfe_u32 v53, v29, 26, 5
	v_ffbh_u32_e32 v51, v37
	v_cmp_eq_u32_e32 vcc_lo, 0, v53
	v_min_u32_e32 v51, 32, v51
	v_subrev_nc_u32_e32 v52, 29, v51
	v_sub_nc_u32_e32 v51, 30, v51
	v_lshlrev_b32_sdwa v52, v52, v29 dst_sel:DWORD dst_unused:UNUSED_PAD src0_sel:DWORD src1_sel:BYTE_3
	v_cndmask_b32_e32 v51, v53, v51, vcc_lo
	v_and_b32_e32 v29, 0x80000000, v29
	v_and_b32_e32 v52, 3, v52
	v_lshl_add_u32 v51, v51, 23, 0x37800000
	v_cndmask_b32_e32 v37, v37, v52, vcc_lo
	v_lshlrev_b32_e32 v37, 21, v37
	v_or3_b32 v37, v29, v51, v37
.LBB6_11022:                            ;   in Loop: Header=BB6_10564 Depth=3
	s_or_b32 exec_lo, exec_lo, s18
	v_cmp_gt_i16_sdwa s18, v10, v116 src0_sel:BYTE_3 src1_sel:DWORD
	s_mov_b32 s17, 0
	s_and_saveexec_b32 s22, s18
	s_xor_b32 s18, exec_lo, s22
	s_cbranch_execz .LBB6_11197
; %bb.11023:                            ;   in Loop: Header=BB6_10564 Depth=3
	v_cmp_eq_u16_sdwa s23, v10, v117 src0_sel:BYTE_3 src1_sel:DWORD
	s_mov_b32 s17, -1
	s_and_saveexec_b32 s22, s23
; %bb.11024:                            ;   in Loop: Header=BB6_10564 Depth=3
	s_xor_b32 s17, exec_lo, -1
; %bb.11025:                            ;   in Loop: Header=BB6_10564 Depth=3
	s_or_b32 exec_lo, exec_lo, s22
	s_and_b32 s17, s17, exec_lo
	s_or_saveexec_b32 s18, s18
	v_mov_b32_e32 v29, 0x7f800001
	s_xor_b32 exec_lo, exec_lo, s18
	s_cbranch_execnz .LBB6_11198
.LBB6_11026:                            ;   in Loop: Header=BB6_10564 Depth=3
	s_or_b32 exec_lo, exec_lo, s18
	s_and_saveexec_b32 s18, s17
	s_cbranch_execz .LBB6_11028
.LBB6_11027:                            ;   in Loop: Header=BB6_10564 Depth=3
	v_mov_b32_e32 v29, 3
	v_bfe_u32 v53, v10, 26, 5
	v_and_b32_sdwa v29, v10, v29 dst_sel:DWORD dst_unused:UNUSED_PAD src0_sel:BYTE_3 src1_sel:DWORD
	v_cmp_eq_u32_e32 vcc_lo, 0, v53
	v_ffbh_u32_e32 v51, v29
	v_min_u32_e32 v51, 32, v51
	v_subrev_nc_u32_e32 v52, 29, v51
	v_sub_nc_u32_e32 v51, 30, v51
	v_lshlrev_b32_sdwa v52, v52, v10 dst_sel:DWORD dst_unused:UNUSED_PAD src0_sel:DWORD src1_sel:BYTE_3
	v_cndmask_b32_e32 v51, v53, v51, vcc_lo
	v_and_b32_e32 v10, 0x80000000, v10
	v_and_b32_e32 v52, 3, v52
	v_lshl_add_u32 v51, v51, 23, 0x37800000
	v_cndmask_b32_e32 v29, v29, v52, vcc_lo
	v_lshlrev_b32_e32 v29, 21, v29
	v_or3_b32 v29, v10, v51, v29
.LBB6_11028:                            ;   in Loop: Header=BB6_10564 Depth=3
	s_or_b32 exec_lo, exec_lo, s18
	v_add_f32_e32 v29, v37, v29
	v_and_b32_e32 v10, 0x7f800000, v29
	v_cmp_ne_u32_e32 vcc_lo, 0x7f800000, v10
	v_mov_b32_e32 v10, 0x8000
	s_and_saveexec_b32 s18, vcc_lo
	s_cbranch_execz .LBB6_11036
; %bb.11029:                            ;   in Loop: Header=BB6_10564 Depth=3
	v_mov_b32_e32 v10, 0
	s_mov_b32 s22, exec_lo
	v_cmpx_ne_u32_e32 0, v29
	s_cbranch_execz .LBB6_11035
; %bb.11030:                            ;   in Loop: Header=BB6_10564 Depth=3
	v_bfe_u32 v10, v29, 23, 8
	v_and_b32_e32 v37, 0x7fffff, v29
	v_sub_nc_u32_e32 v51, 0x70, v10
	v_cmp_gt_u32_e32 vcc_lo, 0x71, v10
	v_or_b32_e32 v52, 0x800000, v37
	v_cndmask_b32_e32 v51, 0, v51, vcc_lo
	v_cmp_eq_u32_e32 vcc_lo, 0, v10
	v_add_nc_u32_e32 v10, 0xffffff91, v10
	v_cndmask_b32_e64 v51, v51, 0x6f, vcc_lo
	v_cndmask_b32_e32 v37, v52, v37, vcc_lo
	v_cndmask_b32_e64 v10, v10, 0xffffff92, vcc_lo
	v_lshl_add_u32 v52, 0x200000, v51, -1
	v_lshrrev_b32_e32 v53, v51, v37
	v_lshlrev_b32_e64 v55, v51, 0x100000
	v_add_nc_u32_e32 v51, v51, v10
	v_and_b32_e32 v37, v52, v37
	v_bfe_u32 v54, v53, 21, 1
	v_cmp_eq_u32_e64 s17, v37, v55
	v_add_nc_u32_e32 v52, -1, v54
	v_cndmask_b32_e64 v37, 0, v52, s17
	v_lshrrev_b32_e32 v52, 23, v53
	s_mov_b32 s17, exec_lo
	v_add_nc_u32_e32 v37, v37, v53
	v_xor_b32_e32 v52, 1, v52
	v_and_b32_e32 v10, 0x1fffff, v37
	v_add_nc_u32_e32 v37, v10, v53
                                        ; implicit-def: $vgpr10
	v_cmpx_ne_u32_e64 v51, v52
	s_xor_b32 s17, exec_lo, s17
; %bb.11031:                            ;   in Loop: Header=BB6_10564 Depth=3
	v_cmp_lt_u32_e32 vcc_lo, 0xffffff, v37
	v_sub_nc_u32_e32 v10, v51, v52
	v_cndmask_b32_e64 v51, 0, 1, vcc_lo
	v_add_co_ci_u32_e64 v10, null, 0, v10, vcc_lo
	v_lshrrev_b32_e32 v37, v51, v37
; %bb.11032:                            ;   in Loop: Header=BB6_10564 Depth=3
	s_andn2_saveexec_b32 s17, s17
; %bb.11033:                            ;   in Loop: Header=BB6_10564 Depth=3
	v_bfe_u32 v10, v37, 23, 1
; %bb.11034:                            ;   in Loop: Header=BB6_10564 Depth=3
	s_or_b32 exec_lo, exec_lo, s17
	v_lshrrev_b32_e32 v37, 21, v37
	v_min_i32_e32 v51, 31, v10
	v_cmp_gt_i32_e32 vcc_lo, 32, v10
	v_and_b32_sdwa v29, v29, v117 dst_sel:DWORD dst_unused:UNUSED_PAD src0_sel:BYTE_3 src1_sel:DWORD
	v_lshlrev_b32_e32 v51, 2, v51
	v_cndmask_b32_e32 v37, 3, v37, vcc_lo
	v_and_b32_e32 v51, 0xfc, v51
	v_and_b32_e32 v52, 3, v37
	v_or_b32_e32 v10, v10, v37
	v_or3_b32 v29, v29, v51, v52
	v_cmp_ne_u32_e32 vcc_lo, 0, v10
	v_lshlrev_b32_e32 v29, 8, v29
	v_cndmask_b32_e32 v10, 0, v29, vcc_lo
.LBB6_11035:                            ;   in Loop: Header=BB6_10564 Depth=3
	s_or_b32 exec_lo, exec_lo, s22
.LBB6_11036:                            ;   in Loop: Header=BB6_10564 Depth=3
	s_or_b32 exec_lo, exec_lo, s18
	v_or_b32_e32 v26, v26, v22
	s_mov_b32 s17, 0
	v_cmp_gt_i16_sdwa s18, v26, v116 src0_sel:BYTE_0 src1_sel:DWORD
	s_and_saveexec_b32 s22, s18
	s_xor_b32 s18, exec_lo, s22
	s_cbranch_execz .LBB6_11199
; %bb.11037:                            ;   in Loop: Header=BB6_10564 Depth=3
	v_cmp_eq_u16_sdwa s23, v26, v117 src0_sel:BYTE_0 src1_sel:DWORD
	s_mov_b32 s17, -1
	s_and_saveexec_b32 s22, s23
; %bb.11038:                            ;   in Loop: Header=BB6_10564 Depth=3
	s_xor_b32 s17, exec_lo, -1
; %bb.11039:                            ;   in Loop: Header=BB6_10564 Depth=3
	s_or_b32 exec_lo, exec_lo, s22
	s_and_b32 s17, s17, exec_lo
	s_or_saveexec_b32 s18, s18
	v_mov_b32_e32 v22, 0x7f800001
	s_xor_b32 exec_lo, exec_lo, s18
	s_cbranch_execnz .LBB6_11200
.LBB6_11040:                            ;   in Loop: Header=BB6_10564 Depth=3
	s_or_b32 exec_lo, exec_lo, s18
	s_and_saveexec_b32 s18, s17
	s_cbranch_execz .LBB6_11042
.LBB6_11041:                            ;   in Loop: Header=BB6_10564 Depth=3
	v_and_b32_e32 v22, 3, v26
	v_bfe_u32 v51, v26, 2, 5
	v_lshlrev_b32_e32 v52, 24, v26
	v_ffbh_u32_e32 v29, v22
	v_cmp_eq_u32_e32 vcc_lo, 0, v51
	v_min_u32_e32 v29, 32, v29
	v_subrev_nc_u32_e32 v37, 29, v29
	v_sub_nc_u32_e32 v29, 30, v29
	v_lshlrev_b32_e32 v37, v37, v26
	v_cndmask_b32_e32 v29, v51, v29, vcc_lo
	v_and_b32_e32 v37, 3, v37
	v_lshl_add_u32 v29, v29, 23, 0x37800000
	v_cndmask_b32_e32 v22, v22, v37, vcc_lo
	v_and_b32_e32 v37, 0x80000000, v52
	v_lshlrev_b32_e32 v22, 21, v22
	v_or3_b32 v22, v37, v29, v22
.LBB6_11042:                            ;   in Loop: Header=BB6_10564 Depth=3
	s_or_b32 exec_lo, exec_lo, s18
	v_cmp_gt_i16_sdwa s18, v11, v116 src0_sel:BYTE_0 src1_sel:DWORD
	s_mov_b32 s17, 0
	s_and_saveexec_b32 s22, s18
	s_xor_b32 s18, exec_lo, s22
	s_cbranch_execz .LBB6_11201
; %bb.11043:                            ;   in Loop: Header=BB6_10564 Depth=3
	v_cmp_eq_u16_sdwa s23, v11, v117 src0_sel:BYTE_0 src1_sel:DWORD
	s_mov_b32 s17, -1
	s_and_saveexec_b32 s22, s23
; %bb.11044:                            ;   in Loop: Header=BB6_10564 Depth=3
	s_xor_b32 s17, exec_lo, -1
; %bb.11045:                            ;   in Loop: Header=BB6_10564 Depth=3
	s_or_b32 exec_lo, exec_lo, s22
	s_and_b32 s17, s17, exec_lo
	s_or_saveexec_b32 s18, s18
	v_mov_b32_e32 v29, 0x7f800001
	s_xor_b32 exec_lo, exec_lo, s18
	s_cbranch_execnz .LBB6_11202
.LBB6_11046:                            ;   in Loop: Header=BB6_10564 Depth=3
	s_or_b32 exec_lo, exec_lo, s18
	s_and_saveexec_b32 s18, s17
	s_cbranch_execz .LBB6_11048
.LBB6_11047:                            ;   in Loop: Header=BB6_10564 Depth=3
	v_and_b32_e32 v29, 3, v11
	v_bfe_u32 v52, v11, 2, 5
	v_lshlrev_b32_e32 v53, 24, v11
	v_ffbh_u32_e32 v37, v29
	v_cmp_eq_u32_e32 vcc_lo, 0, v52
	v_min_u32_e32 v37, 32, v37
	v_subrev_nc_u32_e32 v51, 29, v37
	v_sub_nc_u32_e32 v37, 30, v37
	v_lshlrev_b32_e32 v51, v51, v11
	v_cndmask_b32_e32 v37, v52, v37, vcc_lo
	v_and_b32_e32 v51, 3, v51
	v_lshl_add_u32 v37, v37, 23, 0x37800000
	v_cndmask_b32_e32 v29, v29, v51, vcc_lo
	v_and_b32_e32 v51, 0x80000000, v53
	v_lshlrev_b32_e32 v29, 21, v29
	v_or3_b32 v29, v51, v37, v29
.LBB6_11048:                            ;   in Loop: Header=BB6_10564 Depth=3
	s_or_b32 exec_lo, exec_lo, s18
	v_add_f32_e32 v29, v22, v29
	v_and_b32_e32 v22, 0x7f800000, v29
	v_cmp_ne_u32_e32 vcc_lo, 0x7f800000, v22
	v_mov_b32_e32 v22, 0x80
	s_and_saveexec_b32 s18, vcc_lo
	s_cbranch_execz .LBB6_11056
; %bb.11049:                            ;   in Loop: Header=BB6_10564 Depth=3
	v_mov_b32_e32 v22, 0
	s_mov_b32 s22, exec_lo
	v_cmpx_ne_u32_e32 0, v29
	s_cbranch_execz .LBB6_11055
; %bb.11050:                            ;   in Loop: Header=BB6_10564 Depth=3
	v_bfe_u32 v22, v29, 23, 8
	v_and_b32_e32 v37, 0x7fffff, v29
	v_sub_nc_u32_e32 v51, 0x70, v22
	v_cmp_gt_u32_e32 vcc_lo, 0x71, v22
	v_or_b32_e32 v52, 0x800000, v37
	v_cndmask_b32_e32 v51, 0, v51, vcc_lo
	v_cmp_eq_u32_e32 vcc_lo, 0, v22
	v_add_nc_u32_e32 v22, 0xffffff91, v22
	v_cndmask_b32_e64 v51, v51, 0x6f, vcc_lo
	v_cndmask_b32_e32 v37, v52, v37, vcc_lo
	v_cndmask_b32_e64 v22, v22, 0xffffff92, vcc_lo
	v_lshl_add_u32 v52, 0x200000, v51, -1
	v_lshrrev_b32_e32 v53, v51, v37
	v_lshlrev_b32_e64 v55, v51, 0x100000
	v_add_nc_u32_e32 v51, v51, v22
	v_and_b32_e32 v37, v52, v37
	v_bfe_u32 v54, v53, 21, 1
	v_cmp_eq_u32_e64 s17, v37, v55
	v_add_nc_u32_e32 v52, -1, v54
	v_cndmask_b32_e64 v37, 0, v52, s17
	v_lshrrev_b32_e32 v52, 23, v53
	s_mov_b32 s17, exec_lo
	v_add_nc_u32_e32 v37, v37, v53
	v_xor_b32_e32 v52, 1, v52
	v_and_b32_e32 v22, 0x1fffff, v37
	v_add_nc_u32_e32 v37, v22, v53
                                        ; implicit-def: $vgpr22
	v_cmpx_ne_u32_e64 v51, v52
	s_xor_b32 s17, exec_lo, s17
; %bb.11051:                            ;   in Loop: Header=BB6_10564 Depth=3
	v_cmp_lt_u32_e32 vcc_lo, 0xffffff, v37
	v_sub_nc_u32_e32 v22, v51, v52
	v_cndmask_b32_e64 v51, 0, 1, vcc_lo
	v_add_co_ci_u32_e64 v22, null, 0, v22, vcc_lo
	v_lshrrev_b32_e32 v37, v51, v37
; %bb.11052:                            ;   in Loop: Header=BB6_10564 Depth=3
	s_andn2_saveexec_b32 s17, s17
; %bb.11053:                            ;   in Loop: Header=BB6_10564 Depth=3
	v_bfe_u32 v22, v37, 23, 1
; %bb.11054:                            ;   in Loop: Header=BB6_10564 Depth=3
	s_or_b32 exec_lo, exec_lo, s17
	v_lshrrev_b32_e32 v37, 21, v37
	v_min_i32_e32 v51, 31, v22
	v_cmp_gt_i32_e32 vcc_lo, 32, v22
	v_and_b32_sdwa v29, v29, v117 dst_sel:DWORD dst_unused:UNUSED_PAD src0_sel:BYTE_3 src1_sel:DWORD
	v_lshlrev_b32_e32 v51, 2, v51
	v_cndmask_b32_e32 v37, 3, v37, vcc_lo
	v_and_b32_e32 v51, 0xfc, v51
	v_and_b32_e32 v52, 3, v37
	v_or_b32_e32 v22, v22, v37
	v_or3_b32 v29, v51, v29, v52
	v_cmp_ne_u32_e32 vcc_lo, 0, v22
	v_cndmask_b32_e32 v22, 0, v29, vcc_lo
.LBB6_11055:                            ;   in Loop: Header=BB6_10564 Depth=3
	s_or_b32 exec_lo, exec_lo, s22
.LBB6_11056:                            ;   in Loop: Header=BB6_10564 Depth=3
	s_or_b32 exec_lo, exec_lo, s18
	v_cmp_gt_i16_sdwa s18, v26, v116 src0_sel:BYTE_1 src1_sel:DWORD
	s_mov_b32 s17, 0
	s_and_saveexec_b32 s22, s18
	s_xor_b32 s18, exec_lo, s22
	s_cbranch_execz .LBB6_11203
; %bb.11057:                            ;   in Loop: Header=BB6_10564 Depth=3
	v_cmp_eq_u16_sdwa s23, v26, v117 src0_sel:BYTE_1 src1_sel:DWORD
	s_mov_b32 s17, -1
	s_and_saveexec_b32 s22, s23
; %bb.11058:                            ;   in Loop: Header=BB6_10564 Depth=3
	s_xor_b32 s17, exec_lo, -1
; %bb.11059:                            ;   in Loop: Header=BB6_10564 Depth=3
	s_or_b32 exec_lo, exec_lo, s22
	s_and_b32 s17, s17, exec_lo
	s_or_saveexec_b32 s18, s18
	v_mov_b32_e32 v29, 0x7f800001
	s_xor_b32 exec_lo, exec_lo, s18
	s_cbranch_execnz .LBB6_11204
.LBB6_11060:                            ;   in Loop: Header=BB6_10564 Depth=3
	s_or_b32 exec_lo, exec_lo, s18
	s_and_saveexec_b32 s18, s17
	s_cbranch_execz .LBB6_11062
.LBB6_11061:                            ;   in Loop: Header=BB6_10564 Depth=3
	v_and_b32_sdwa v29, v118, v26 dst_sel:DWORD dst_unused:UNUSED_PAD src0_sel:DWORD src1_sel:BYTE_1
	v_and_b32_e32 v37, 3, v29
	v_bfe_u32 v53, v29, 2, 5
	v_ffbh_u32_e32 v51, v37
	v_cmp_eq_u32_e32 vcc_lo, 0, v53
	v_min_u32_e32 v51, 32, v51
	v_subrev_nc_u32_e32 v52, 29, v51
	v_sub_nc_u32_e32 v51, 30, v51
	v_lshlrev_b32_e32 v29, v52, v29
	v_lshlrev_b32_sdwa v52, v119, v26 dst_sel:DWORD dst_unused:UNUSED_PAD src0_sel:DWORD src1_sel:BYTE_1
	v_cndmask_b32_e32 v51, v53, v51, vcc_lo
	v_and_b32_e32 v29, 3, v29
	v_lshl_add_u32 v51, v51, 23, 0x37800000
	v_cndmask_b32_e32 v29, v37, v29, vcc_lo
	v_and_b32_e32 v37, 0x80000000, v52
	v_lshlrev_b32_e32 v29, 21, v29
	v_or3_b32 v29, v37, v51, v29
.LBB6_11062:                            ;   in Loop: Header=BB6_10564 Depth=3
	s_or_b32 exec_lo, exec_lo, s18
	v_cmp_gt_i16_sdwa s18, v11, v116 src0_sel:BYTE_1 src1_sel:DWORD
	s_mov_b32 s17, 0
	s_and_saveexec_b32 s22, s18
	s_xor_b32 s18, exec_lo, s22
	s_cbranch_execz .LBB6_11205
; %bb.11063:                            ;   in Loop: Header=BB6_10564 Depth=3
	v_cmp_eq_u16_sdwa s23, v11, v117 src0_sel:BYTE_1 src1_sel:DWORD
	s_mov_b32 s17, -1
	s_and_saveexec_b32 s22, s23
; %bb.11064:                            ;   in Loop: Header=BB6_10564 Depth=3
	s_xor_b32 s17, exec_lo, -1
; %bb.11065:                            ;   in Loop: Header=BB6_10564 Depth=3
	s_or_b32 exec_lo, exec_lo, s22
	s_and_b32 s17, s17, exec_lo
	s_or_saveexec_b32 s18, s18
	v_mov_b32_e32 v37, 0x7f800001
	s_xor_b32 exec_lo, exec_lo, s18
	s_cbranch_execnz .LBB6_11206
.LBB6_11066:                            ;   in Loop: Header=BB6_10564 Depth=3
	s_or_b32 exec_lo, exec_lo, s18
	s_and_saveexec_b32 s18, s17
	s_cbranch_execz .LBB6_11068
.LBB6_11067:                            ;   in Loop: Header=BB6_10564 Depth=3
	v_and_b32_sdwa v37, v118, v11 dst_sel:DWORD dst_unused:UNUSED_PAD src0_sel:DWORD src1_sel:BYTE_1
	v_and_b32_e32 v51, 3, v37
	v_bfe_u32 v54, v37, 2, 5
	v_ffbh_u32_e32 v52, v51
	v_cmp_eq_u32_e32 vcc_lo, 0, v54
	v_min_u32_e32 v52, 32, v52
	v_subrev_nc_u32_e32 v53, 29, v52
	v_sub_nc_u32_e32 v52, 30, v52
	v_lshlrev_b32_e32 v37, v53, v37
	v_lshlrev_b32_sdwa v53, v119, v11 dst_sel:DWORD dst_unused:UNUSED_PAD src0_sel:DWORD src1_sel:BYTE_1
	v_cndmask_b32_e32 v52, v54, v52, vcc_lo
	v_and_b32_e32 v37, 3, v37
	v_lshl_add_u32 v52, v52, 23, 0x37800000
	v_cndmask_b32_e32 v37, v51, v37, vcc_lo
	v_and_b32_e32 v51, 0x80000000, v53
	v_lshlrev_b32_e32 v37, 21, v37
	v_or3_b32 v37, v51, v52, v37
.LBB6_11068:                            ;   in Loop: Header=BB6_10564 Depth=3
	s_or_b32 exec_lo, exec_lo, s18
	v_add_f32_e32 v37, v29, v37
	v_and_b32_e32 v29, 0x7f800000, v37
	v_cmp_ne_u32_e32 vcc_lo, 0x7f800000, v29
	v_mov_b32_e32 v29, 0x8000
	s_and_saveexec_b32 s18, vcc_lo
	s_cbranch_execz .LBB6_11076
; %bb.11069:                            ;   in Loop: Header=BB6_10564 Depth=3
	v_mov_b32_e32 v29, 0
	s_mov_b32 s22, exec_lo
	v_cmpx_ne_u32_e32 0, v37
	s_cbranch_execz .LBB6_11075
; %bb.11070:                            ;   in Loop: Header=BB6_10564 Depth=3
	v_bfe_u32 v29, v37, 23, 8
	v_and_b32_e32 v51, 0x7fffff, v37
	v_sub_nc_u32_e32 v52, 0x70, v29
	v_cmp_gt_u32_e32 vcc_lo, 0x71, v29
	v_or_b32_e32 v53, 0x800000, v51
	v_cndmask_b32_e32 v52, 0, v52, vcc_lo
	v_cmp_eq_u32_e32 vcc_lo, 0, v29
	v_add_nc_u32_e32 v29, 0xffffff91, v29
	v_cndmask_b32_e64 v52, v52, 0x6f, vcc_lo
	v_cndmask_b32_e32 v51, v53, v51, vcc_lo
	v_cndmask_b32_e64 v29, v29, 0xffffff92, vcc_lo
	v_lshl_add_u32 v53, 0x200000, v52, -1
	v_lshrrev_b32_e32 v54, v52, v51
	v_lshlrev_b32_e64 v66, v52, 0x100000
	v_add_nc_u32_e32 v52, v52, v29
	v_and_b32_e32 v51, v53, v51
	v_bfe_u32 v55, v54, 21, 1
	v_cmp_eq_u32_e64 s17, v51, v66
	v_add_nc_u32_e32 v53, -1, v55
	v_cndmask_b32_e64 v51, 0, v53, s17
	v_lshrrev_b32_e32 v53, 23, v54
	s_mov_b32 s17, exec_lo
	v_add_nc_u32_e32 v51, v51, v54
	v_xor_b32_e32 v53, 1, v53
	v_and_b32_e32 v29, 0x1fffff, v51
	v_add_nc_u32_e32 v51, v29, v54
                                        ; implicit-def: $vgpr29
	v_cmpx_ne_u32_e64 v52, v53
	s_xor_b32 s17, exec_lo, s17
; %bb.11071:                            ;   in Loop: Header=BB6_10564 Depth=3
	v_cmp_lt_u32_e32 vcc_lo, 0xffffff, v51
	v_sub_nc_u32_e32 v29, v52, v53
	v_cndmask_b32_e64 v52, 0, 1, vcc_lo
	v_add_co_ci_u32_e64 v29, null, 0, v29, vcc_lo
	v_lshrrev_b32_e32 v51, v52, v51
; %bb.11072:                            ;   in Loop: Header=BB6_10564 Depth=3
	s_andn2_saveexec_b32 s17, s17
; %bb.11073:                            ;   in Loop: Header=BB6_10564 Depth=3
	v_bfe_u32 v29, v51, 23, 1
; %bb.11074:                            ;   in Loop: Header=BB6_10564 Depth=3
	s_or_b32 exec_lo, exec_lo, s17
	v_lshrrev_b32_e32 v51, 21, v51
	v_min_i32_e32 v52, 31, v29
	v_cmp_gt_i32_e32 vcc_lo, 32, v29
	v_and_b32_sdwa v37, v37, v117 dst_sel:DWORD dst_unused:UNUSED_PAD src0_sel:BYTE_3 src1_sel:DWORD
	v_lshlrev_b32_e32 v52, 2, v52
	v_cndmask_b32_e32 v51, 3, v51, vcc_lo
	v_and_b32_e32 v52, 0xfc, v52
	v_and_b32_e32 v53, 3, v51
	v_or_b32_e32 v29, v29, v51
	v_or3_b32 v37, v37, v52, v53
	v_cmp_ne_u32_e32 vcc_lo, 0, v29
	v_lshlrev_b32_e32 v37, 8, v37
	v_cndmask_b32_e32 v29, 0, v37, vcc_lo
.LBB6_11075:                            ;   in Loop: Header=BB6_10564 Depth=3
	s_or_b32 exec_lo, exec_lo, s22
.LBB6_11076:                            ;   in Loop: Header=BB6_10564 Depth=3
	s_or_b32 exec_lo, exec_lo, s18
	v_or_b32_e32 v24, v24, v21
	s_mov_b32 s17, 0
	v_cmp_gt_i16_sdwa s18, v24, v116 src0_sel:BYTE_0 src1_sel:DWORD
	s_and_saveexec_b32 s22, s18
	s_xor_b32 s18, exec_lo, s22
	s_cbranch_execz .LBB6_11207
; %bb.11077:                            ;   in Loop: Header=BB6_10564 Depth=3
	v_cmp_eq_u16_sdwa s23, v24, v117 src0_sel:BYTE_0 src1_sel:DWORD
	s_mov_b32 s17, -1
	s_and_saveexec_b32 s22, s23
; %bb.11078:                            ;   in Loop: Header=BB6_10564 Depth=3
	s_xor_b32 s17, exec_lo, -1
; %bb.11079:                            ;   in Loop: Header=BB6_10564 Depth=3
	s_or_b32 exec_lo, exec_lo, s22
	s_and_b32 s17, s17, exec_lo
	s_or_saveexec_b32 s18, s18
	v_mov_b32_e32 v21, 0x7f800001
	s_xor_b32 exec_lo, exec_lo, s18
	s_cbranch_execnz .LBB6_11208
.LBB6_11080:                            ;   in Loop: Header=BB6_10564 Depth=3
	s_or_b32 exec_lo, exec_lo, s18
	v_lshl_or_b32 v24, v24, 16, v26
	s_and_saveexec_b32 s18, s17
	s_cbranch_execz .LBB6_11082
.LBB6_11081:                            ;   in Loop: Header=BB6_10564 Depth=3
	v_bfe_u32 v21, v24, 16, 2
	v_bfe_u32 v51, v24, 18, 5
	v_lshlrev_b32_e32 v52, 8, v24
	v_ffbh_u32_e32 v26, v21
	v_cmp_eq_u32_e32 vcc_lo, 0, v51
	v_min_u32_e32 v26, 32, v26
	v_subrev_nc_u32_e32 v37, 29, v26
	v_sub_nc_u32_e32 v26, 30, v26
	v_lshlrev_b32_sdwa v37, v37, v24 dst_sel:DWORD dst_unused:UNUSED_PAD src0_sel:DWORD src1_sel:WORD_1
	v_cndmask_b32_e32 v26, v51, v26, vcc_lo
	v_and_b32_e32 v37, 3, v37
	v_lshl_add_u32 v26, v26, 23, 0x37800000
	v_cndmask_b32_e32 v21, v21, v37, vcc_lo
	v_and_b32_e32 v37, 0x80000000, v52
	v_lshlrev_b32_e32 v21, 21, v21
	v_or3_b32 v21, v37, v26, v21
.LBB6_11082:                            ;   in Loop: Header=BB6_10564 Depth=3
	s_or_b32 exec_lo, exec_lo, s18
	v_and_b32_sdwa v37, v11, v40 dst_sel:DWORD dst_unused:UNUSED_PAD src0_sel:WORD_1 src1_sel:DWORD
	s_mov_b32 s17, 0
	s_mov_b32 s18, exec_lo
	v_cmpx_lt_i16_e32 0x7f, v37
	s_xor_b32 s18, exec_lo, s18
	s_cbranch_execz .LBB6_11209
; %bb.11083:                            ;   in Loop: Header=BB6_10564 Depth=3
	s_mov_b32 s17, -1
	s_mov_b32 s22, exec_lo
	v_cmpx_eq_u16_e32 0x80, v37
; %bb.11084:                            ;   in Loop: Header=BB6_10564 Depth=3
	s_xor_b32 s17, exec_lo, -1
; %bb.11085:                            ;   in Loop: Header=BB6_10564 Depth=3
	s_or_b32 exec_lo, exec_lo, s22
	s_and_b32 s17, s17, exec_lo
                                        ; implicit-def: $vgpr37
	s_or_saveexec_b32 s18, s18
	v_mov_b32_e32 v26, 0x7f800001
	s_xor_b32 exec_lo, exec_lo, s18
	s_cbranch_execnz .LBB6_11210
.LBB6_11086:                            ;   in Loop: Header=BB6_10564 Depth=3
	s_or_b32 exec_lo, exec_lo, s18
	s_and_saveexec_b32 s18, s17
	s_cbranch_execz .LBB6_11088
.LBB6_11087:                            ;   in Loop: Header=BB6_10564 Depth=3
	v_mov_b32_e32 v26, 3
	v_bfe_u32 v52, v11, 18, 5
	v_lshlrev_b32_sdwa v53, v119, v11 dst_sel:DWORD dst_unused:UNUSED_PAD src0_sel:DWORD src1_sel:WORD_1
	v_and_b32_sdwa v26, v11, v26 dst_sel:DWORD dst_unused:UNUSED_PAD src0_sel:WORD_1 src1_sel:DWORD
	v_cmp_eq_u32_e32 vcc_lo, 0, v52
	v_ffbh_u32_e32 v37, v26
	v_min_u32_e32 v37, 32, v37
	v_subrev_nc_u32_e32 v51, 29, v37
	v_sub_nc_u32_e32 v37, 30, v37
	v_lshlrev_b32_sdwa v51, v51, v11 dst_sel:DWORD dst_unused:UNUSED_PAD src0_sel:DWORD src1_sel:WORD_1
	v_cndmask_b32_e32 v37, v52, v37, vcc_lo
	v_and_b32_e32 v51, 3, v51
	v_lshl_add_u32 v37, v37, 23, 0x37800000
	v_cndmask_b32_e32 v26, v26, v51, vcc_lo
	v_and_b32_e32 v51, 0x80000000, v53
	v_lshlrev_b32_e32 v26, 21, v26
	v_or3_b32 v26, v51, v37, v26
.LBB6_11088:                            ;   in Loop: Header=BB6_10564 Depth=3
	s_or_b32 exec_lo, exec_lo, s18
	v_add_f32_e32 v26, v21, v26
	v_and_b32_e32 v21, 0x7f800000, v26
	v_cmp_ne_u32_e32 vcc_lo, 0x7f800000, v21
	v_mov_b32_e32 v21, 0x80
	s_and_saveexec_b32 s18, vcc_lo
	s_cbranch_execz .LBB6_11096
; %bb.11089:                            ;   in Loop: Header=BB6_10564 Depth=3
	v_mov_b32_e32 v21, 0
	s_mov_b32 s22, exec_lo
	v_cmpx_ne_u32_e32 0, v26
	s_cbranch_execz .LBB6_11095
; %bb.11090:                            ;   in Loop: Header=BB6_10564 Depth=3
	v_bfe_u32 v21, v26, 23, 8
	v_and_b32_e32 v37, 0x7fffff, v26
	v_sub_nc_u32_e32 v51, 0x70, v21
	v_cmp_gt_u32_e32 vcc_lo, 0x71, v21
	v_or_b32_e32 v52, 0x800000, v37
	v_cndmask_b32_e32 v51, 0, v51, vcc_lo
	v_cmp_eq_u32_e32 vcc_lo, 0, v21
	v_add_nc_u32_e32 v21, 0xffffff91, v21
	v_cndmask_b32_e64 v51, v51, 0x6f, vcc_lo
	v_cndmask_b32_e32 v37, v52, v37, vcc_lo
	v_cndmask_b32_e64 v21, v21, 0xffffff92, vcc_lo
	v_lshl_add_u32 v52, 0x200000, v51, -1
	v_lshrrev_b32_e32 v53, v51, v37
	v_lshlrev_b32_e64 v55, v51, 0x100000
	v_add_nc_u32_e32 v51, v51, v21
	v_and_b32_e32 v37, v52, v37
	v_bfe_u32 v54, v53, 21, 1
	v_cmp_eq_u32_e64 s17, v37, v55
	v_add_nc_u32_e32 v52, -1, v54
	v_cndmask_b32_e64 v37, 0, v52, s17
	v_lshrrev_b32_e32 v52, 23, v53
	s_mov_b32 s17, exec_lo
	v_add_nc_u32_e32 v37, v37, v53
	v_xor_b32_e32 v52, 1, v52
	v_and_b32_e32 v21, 0x1fffff, v37
	v_add_nc_u32_e32 v37, v21, v53
                                        ; implicit-def: $vgpr21
	v_cmpx_ne_u32_e64 v51, v52
	s_xor_b32 s17, exec_lo, s17
; %bb.11091:                            ;   in Loop: Header=BB6_10564 Depth=3
	v_cmp_lt_u32_e32 vcc_lo, 0xffffff, v37
	v_sub_nc_u32_e32 v21, v51, v52
	v_cndmask_b32_e64 v51, 0, 1, vcc_lo
	v_add_co_ci_u32_e64 v21, null, 0, v21, vcc_lo
	v_lshrrev_b32_e32 v37, v51, v37
; %bb.11092:                            ;   in Loop: Header=BB6_10564 Depth=3
	s_andn2_saveexec_b32 s17, s17
; %bb.11093:                            ;   in Loop: Header=BB6_10564 Depth=3
	v_bfe_u32 v21, v37, 23, 1
; %bb.11094:                            ;   in Loop: Header=BB6_10564 Depth=3
	s_or_b32 exec_lo, exec_lo, s17
	v_lshrrev_b32_e32 v37, 21, v37
	v_min_i32_e32 v51, 31, v21
	v_cmp_gt_i32_e32 vcc_lo, 32, v21
	v_and_b32_sdwa v26, v26, v117 dst_sel:DWORD dst_unused:UNUSED_PAD src0_sel:BYTE_3 src1_sel:DWORD
	v_lshlrev_b32_e32 v51, 2, v51
	v_cndmask_b32_e32 v37, 3, v37, vcc_lo
	v_and_b32_e32 v51, 0xfc, v51
	v_and_b32_e32 v52, 3, v37
	v_or_b32_e32 v21, v21, v37
	v_or3_b32 v26, v51, v26, v52
	v_cmp_ne_u32_e32 vcc_lo, 0, v21
	v_cndmask_b32_e32 v21, 0, v26, vcc_lo
.LBB6_11095:                            ;   in Loop: Header=BB6_10564 Depth=3
	s_or_b32 exec_lo, exec_lo, s22
.LBB6_11096:                            ;   in Loop: Header=BB6_10564 Depth=3
	s_or_b32 exec_lo, exec_lo, s18
	v_cmp_gt_i16_sdwa s18, v24, v116 src0_sel:BYTE_3 src1_sel:DWORD
	s_mov_b32 s17, 0
	s_and_saveexec_b32 s22, s18
	s_xor_b32 s18, exec_lo, s22
	s_cbranch_execz .LBB6_11211
; %bb.11097:                            ;   in Loop: Header=BB6_10564 Depth=3
	v_cmp_eq_u16_sdwa s23, v24, v117 src0_sel:BYTE_3 src1_sel:DWORD
	s_mov_b32 s17, -1
	s_and_saveexec_b32 s22, s23
; %bb.11098:                            ;   in Loop: Header=BB6_10564 Depth=3
	s_xor_b32 s17, exec_lo, -1
; %bb.11099:                            ;   in Loop: Header=BB6_10564 Depth=3
	s_or_b32 exec_lo, exec_lo, s22
	s_and_b32 s17, s17, exec_lo
	s_or_saveexec_b32 s18, s18
	v_mov_b32_e32 v26, 0x7f800001
	s_xor_b32 exec_lo, exec_lo, s18
	s_cbranch_execnz .LBB6_11212
.LBB6_11100:                            ;   in Loop: Header=BB6_10564 Depth=3
	s_or_b32 exec_lo, exec_lo, s18
	s_and_saveexec_b32 s18, s17
	s_cbranch_execz .LBB6_11102
.LBB6_11101:                            ;   in Loop: Header=BB6_10564 Depth=3
	v_bfe_u32 v26, v24, 24, 2
	v_bfe_u32 v52, v24, 26, 5
	v_ffbh_u32_e32 v37, v26
	v_cmp_eq_u32_e32 vcc_lo, 0, v52
	v_min_u32_e32 v37, 32, v37
	v_subrev_nc_u32_e32 v51, 29, v37
	v_sub_nc_u32_e32 v37, 30, v37
	v_lshlrev_b32_sdwa v51, v51, v24 dst_sel:DWORD dst_unused:UNUSED_PAD src0_sel:DWORD src1_sel:BYTE_3
	v_cndmask_b32_e32 v37, v52, v37, vcc_lo
	v_and_b32_e32 v24, 0x80000000, v24
	v_and_b32_e32 v51, 3, v51
	v_lshl_add_u32 v37, v37, 23, 0x37800000
	v_cndmask_b32_e32 v26, v26, v51, vcc_lo
	v_lshlrev_b32_e32 v26, 21, v26
	v_or3_b32 v26, v24, v37, v26
.LBB6_11102:                            ;   in Loop: Header=BB6_10564 Depth=3
	s_or_b32 exec_lo, exec_lo, s18
	v_cmp_gt_i16_sdwa s18, v11, v116 src0_sel:BYTE_3 src1_sel:DWORD
	s_mov_b32 s17, 0
	s_and_saveexec_b32 s22, s18
	s_xor_b32 s18, exec_lo, s22
	s_cbranch_execz .LBB6_11213
; %bb.11103:                            ;   in Loop: Header=BB6_10564 Depth=3
	v_cmp_eq_u16_sdwa s23, v11, v117 src0_sel:BYTE_3 src1_sel:DWORD
	s_mov_b32 s17, -1
	s_and_saveexec_b32 s22, s23
; %bb.11104:                            ;   in Loop: Header=BB6_10564 Depth=3
	s_xor_b32 s17, exec_lo, -1
; %bb.11105:                            ;   in Loop: Header=BB6_10564 Depth=3
	s_or_b32 exec_lo, exec_lo, s22
	s_and_b32 s17, s17, exec_lo
	s_or_saveexec_b32 s18, s18
	v_mov_b32_e32 v24, 0x7f800001
	s_xor_b32 exec_lo, exec_lo, s18
	s_cbranch_execnz .LBB6_11214
.LBB6_11106:                            ;   in Loop: Header=BB6_10564 Depth=3
	s_or_b32 exec_lo, exec_lo, s18
	s_and_saveexec_b32 s18, s17
	s_cbranch_execz .LBB6_11108
.LBB6_11107:                            ;   in Loop: Header=BB6_10564 Depth=3
	v_mov_b32_e32 v24, 3
	v_bfe_u32 v52, v11, 26, 5
	v_and_b32_sdwa v24, v11, v24 dst_sel:DWORD dst_unused:UNUSED_PAD src0_sel:BYTE_3 src1_sel:DWORD
	v_cmp_eq_u32_e32 vcc_lo, 0, v52
	v_ffbh_u32_e32 v37, v24
	v_min_u32_e32 v37, 32, v37
	v_subrev_nc_u32_e32 v51, 29, v37
	v_sub_nc_u32_e32 v37, 30, v37
	v_lshlrev_b32_sdwa v51, v51, v11 dst_sel:DWORD dst_unused:UNUSED_PAD src0_sel:DWORD src1_sel:BYTE_3
	v_cndmask_b32_e32 v37, v52, v37, vcc_lo
	v_and_b32_e32 v11, 0x80000000, v11
	v_and_b32_e32 v51, 3, v51
	v_lshl_add_u32 v37, v37, 23, 0x37800000
	v_cndmask_b32_e32 v24, v24, v51, vcc_lo
	v_lshlrev_b32_e32 v24, 21, v24
	v_or3_b32 v24, v11, v37, v24
.LBB6_11108:                            ;   in Loop: Header=BB6_10564 Depth=3
	s_or_b32 exec_lo, exec_lo, s18
	v_add_f32_e32 v11, v26, v24
	v_and_b32_e32 v24, 0x7f800000, v11
	v_cmp_ne_u32_e32 vcc_lo, 0x7f800000, v24
	v_mov_b32_e32 v24, 0x8000
	s_and_saveexec_b32 s18, vcc_lo
	s_cbranch_execz .LBB6_11116
; %bb.11109:                            ;   in Loop: Header=BB6_10564 Depth=3
	v_mov_b32_e32 v24, 0
	s_mov_b32 s22, exec_lo
	v_cmpx_ne_u32_e32 0, v11
	s_cbranch_execz .LBB6_11115
; %bb.11110:                            ;   in Loop: Header=BB6_10564 Depth=3
	v_bfe_u32 v24, v11, 23, 8
	v_and_b32_e32 v26, 0x7fffff, v11
	v_sub_nc_u32_e32 v37, 0x70, v24
	v_cmp_gt_u32_e32 vcc_lo, 0x71, v24
	v_or_b32_e32 v51, 0x800000, v26
	v_cndmask_b32_e32 v37, 0, v37, vcc_lo
	v_cmp_eq_u32_e32 vcc_lo, 0, v24
	v_add_nc_u32_e32 v24, 0xffffff91, v24
	v_cndmask_b32_e64 v37, v37, 0x6f, vcc_lo
	v_cndmask_b32_e32 v26, v51, v26, vcc_lo
	v_cndmask_b32_e64 v24, v24, 0xffffff92, vcc_lo
	v_lshl_add_u32 v51, 0x200000, v37, -1
	v_lshrrev_b32_e32 v52, v37, v26
	v_lshlrev_b32_e64 v54, v37, 0x100000
	v_add_nc_u32_e32 v37, v37, v24
	v_and_b32_e32 v26, v51, v26
	v_bfe_u32 v53, v52, 21, 1
	v_cmp_eq_u32_e64 s17, v26, v54
	v_add_nc_u32_e32 v51, -1, v53
	v_cndmask_b32_e64 v26, 0, v51, s17
	v_lshrrev_b32_e32 v51, 23, v52
	s_mov_b32 s17, exec_lo
	v_add_nc_u32_e32 v26, v26, v52
	v_xor_b32_e32 v51, 1, v51
	v_and_b32_e32 v24, 0x1fffff, v26
	v_add_nc_u32_e32 v26, v24, v52
                                        ; implicit-def: $vgpr24
	v_cmpx_ne_u32_e64 v37, v51
	s_xor_b32 s17, exec_lo, s17
; %bb.11111:                            ;   in Loop: Header=BB6_10564 Depth=3
	v_cmp_lt_u32_e32 vcc_lo, 0xffffff, v26
	v_sub_nc_u32_e32 v24, v37, v51
	v_cndmask_b32_e64 v37, 0, 1, vcc_lo
	v_add_co_ci_u32_e64 v24, null, 0, v24, vcc_lo
	v_lshrrev_b32_e32 v26, v37, v26
; %bb.11112:                            ;   in Loop: Header=BB6_10564 Depth=3
	s_andn2_saveexec_b32 s17, s17
; %bb.11113:                            ;   in Loop: Header=BB6_10564 Depth=3
	v_bfe_u32 v24, v26, 23, 1
; %bb.11114:                            ;   in Loop: Header=BB6_10564 Depth=3
	s_or_b32 exec_lo, exec_lo, s17
	v_lshrrev_b32_e32 v26, 21, v26
	v_min_i32_e32 v37, 31, v24
	v_cmp_gt_i32_e32 vcc_lo, 32, v24
	v_and_b32_sdwa v11, v11, v117 dst_sel:DWORD dst_unused:UNUSED_PAD src0_sel:BYTE_3 src1_sel:DWORD
	v_lshlrev_b32_e32 v37, 2, v37
	v_cndmask_b32_e32 v26, 3, v26, vcc_lo
	v_and_b32_e32 v37, 0xfc, v37
	v_and_b32_e32 v51, 3, v26
	v_or_b32_e32 v24, v24, v26
	v_or3_b32 v11, v11, v37, v51
	v_cmp_ne_u32_e32 vcc_lo, 0, v24
	v_lshlrev_b32_e32 v11, 8, v11
	v_cndmask_b32_e32 v24, 0, v11, vcc_lo
.LBB6_11115:                            ;   in Loop: Header=BB6_10564 Depth=3
	s_or_b32 exec_lo, exec_lo, s22
.LBB6_11116:                            ;   in Loop: Header=BB6_10564 Depth=3
	s_or_b32 exec_lo, exec_lo, s18
	v_or_b32_sdwa v9, v9, v30 dst_sel:WORD_1 dst_unused:UNUSED_PAD src0_sel:DWORD src1_sel:DWORD
	v_or_b32_sdwa v8, v8, v28 dst_sel:WORD_1 dst_unused:UNUSED_PAD src0_sel:DWORD src1_sel:DWORD
	;; [unrolled: 1-line block ×4, first 2 shown]
	s_mov_b64 s[22:23], 0
	v_or3_b32 v9, v50, v36, v9
	v_or3_b32 v8, v23, v20, v8
	;; [unrolled: 1-line block ×4, first 2 shown]
	s_mov_b32 s76, -1
	.p2align	6
.LBB6_11117:                            ;   Parent Loop BB6_47 Depth=1
                                        ;     Parent Loop BB6_7909 Depth=2
                                        ;       Parent Loop BB6_10564 Depth=3
                                        ; =>      This Inner Loop Header: Depth=4
	s_cmp_eq_u32 s22, 1
	s_cselect_b32 vcc_lo, -1, 0
	s_cmp_eq_u32 s22, 0
	v_cndmask_b32_e32 v20, v16, v18, vcc_lo
	v_cndmask_b32_e32 v21, v17, v19, vcc_lo
	s_mov_b64 s[22:23], 1
	v_add_co_u32 v22, s17, 0x200, v20
	v_add_co_ci_u32_e64 v23, null, 0, v21, s17
	s_cselect_b32 s17, -1, 0
	v_cndmask_b32_e32 v18, v18, v22, vcc_lo
	v_cndmask_b32_e64 v16, v16, v22, s17
	v_cndmask_b32_e32 v19, v19, v23, vcc_lo
	v_cndmask_b32_e64 v17, v17, v23, s17
	s_and_b32 s18, exec_lo, s76
	s_mov_b32 s76, 0
	s_mov_b32 vcc_lo, s18
	global_store_dwordx4 v[20:21], v[8:11], off glc slc
	s_cbranch_vccnz .LBB6_11117
; %bb.11118:                            ;   in Loop: Header=BB6_10564 Depth=3
	s_clause 0x1
	buffer_load_dword v8, off, s[0:3], s33 offset:216
	buffer_load_dword v9, off, s[0:3], s33 offset:220
	v_sub_nc_u32_e32 v6, v6, v103
	s_waitcnt vmcnt(1)
	v_add_co_u32 v12, vcc_lo, v12, v8
	s_waitcnt vmcnt(0)
	v_add_co_ci_u32_e64 v13, null, v13, v9, vcc_lo
	v_add_co_u32 v14, vcc_lo, v14, v8
	v_lshlrev_b32_e32 v8, 9, v103
	v_add_co_ci_u32_e64 v15, null, v15, v9, vcc_lo
	buffer_load_dword v9, off, s[0:3], s33 offset:212 ; 4-byte Folded Reload
	v_sub_nc_u32_e32 v7, v7, v8
	buffer_load_dword v8, off, s[0:3], s33 offset:208 ; 4-byte Folded Reload
	s_waitcnt vmcnt(0)
	v_add_co_u32 v16, vcc_lo, v16, v8
	v_add_co_ci_u32_e64 v17, null, v17, v9, vcc_lo
	v_cmp_gt_i32_e32 vcc_lo, 16, v7
	v_add_co_u32 v18, s17, v18, v8
	v_add_co_ci_u32_e64 v19, null, v19, v9, s17
	s_or_b32 s73, vcc_lo, s73
	s_andn2_b32 exec_lo, exec_lo, s73
	s_cbranch_execnz .LBB6_10564
	s_branch .LBB6_11215
.LBB6_11119:                            ;   in Loop: Header=BB6_10564 Depth=3
	s_or_saveexec_b32 s22, s22
	v_mov_b32_e32 v20, 0x7f800001
	s_xor_b32 exec_lo, exec_lo, s22
	s_cbranch_execz .LBB6_10576
.LBB6_11120:                            ;   in Loop: Header=BB6_10564 Depth=3
	v_cmp_ne_u16_sdwa s23, v8, v2 src0_sel:BYTE_0 src1_sel:DWORD
	v_mov_b32_e32 v20, 0
	s_andn2_b32 s17, s17, exec_lo
	s_and_b32 s23, s23, exec_lo
	s_or_b32 s17, s17, s23
	s_or_b32 exec_lo, exec_lo, s22
	s_and_saveexec_b32 s22, s17
	s_cbranch_execnz .LBB6_10577
	s_branch .LBB6_10578
.LBB6_11121:                            ;   in Loop: Header=BB6_10564 Depth=3
	s_or_saveexec_b32 s22, s22
	v_mov_b32_e32 v21, 0x7f800001
	s_xor_b32 exec_lo, exec_lo, s22
	s_cbranch_execz .LBB6_10590
.LBB6_11122:                            ;   in Loop: Header=BB6_10564 Depth=3
	v_cmp_ne_u16_sdwa s23, v8, v2 src0_sel:BYTE_1 src1_sel:DWORD
	v_mov_b32_e32 v21, 0
	s_andn2_b32 s17, s17, exec_lo
	s_and_b32 s23, s23, exec_lo
	s_or_b32 s17, s17, s23
	s_or_b32 exec_lo, exec_lo, s22
	s_and_saveexec_b32 s22, s17
	s_cbranch_execnz .LBB6_10591
	s_branch .LBB6_10592
.LBB6_11123:                            ;   in Loop: Header=BB6_10564 Depth=3
	s_or_saveexec_b32 s22, s22
	v_mov_b32_e32 v21, 0x7f800001
	s_xor_b32 exec_lo, exec_lo, s22
	s_cbranch_execz .LBB6_10604
.LBB6_11124:                            ;   in Loop: Header=BB6_10564 Depth=3
	v_cmp_ne_u16_e32 vcc_lo, 0, v22
	v_mov_b32_e32 v21, 0
	s_andn2_b32 s17, s17, exec_lo
	s_and_b32 s23, vcc_lo, exec_lo
	s_or_b32 s17, s17, s23
	s_or_b32 exec_lo, exec_lo, s22
	s_and_saveexec_b32 s22, s17
	s_cbranch_execnz .LBB6_10605
	s_branch .LBB6_10606
.LBB6_11125:                            ;   in Loop: Header=BB6_10564 Depth=3
	s_or_saveexec_b32 s22, s22
	v_mov_b32_e32 v21, 0x7f800001
	s_xor_b32 exec_lo, exec_lo, s22
	s_cbranch_execz .LBB6_10618
.LBB6_11126:                            ;   in Loop: Header=BB6_10564 Depth=3
	v_cmp_ne_u16_sdwa s23, v8, v2 src0_sel:BYTE_3 src1_sel:DWORD
	v_mov_b32_e32 v21, 0
	s_andn2_b32 s17, s17, exec_lo
	s_and_b32 s23, s23, exec_lo
	s_or_b32 s17, s17, s23
	s_or_b32 exec_lo, exec_lo, s22
	s_and_saveexec_b32 s22, s17
	s_cbranch_execnz .LBB6_10619
	s_branch .LBB6_10620
.LBB6_11127:                            ;   in Loop: Header=BB6_10564 Depth=3
	s_or_saveexec_b32 s22, s22
	v_mov_b32_e32 v8, 0x7f800001
	s_xor_b32 exec_lo, exec_lo, s22
	s_cbranch_execz .LBB6_10632
.LBB6_11128:                            ;   in Loop: Header=BB6_10564 Depth=3
	v_cmp_ne_u16_sdwa s23, v9, v2 src0_sel:BYTE_0 src1_sel:DWORD
	v_mov_b32_e32 v8, 0
	s_andn2_b32 s17, s17, exec_lo
	s_and_b32 s23, s23, exec_lo
	s_or_b32 s17, s17, s23
	s_or_b32 exec_lo, exec_lo, s22
	s_and_saveexec_b32 s22, s17
	s_cbranch_execnz .LBB6_10633
	s_branch .LBB6_10634
.LBB6_11129:                            ;   in Loop: Header=BB6_10564 Depth=3
	s_or_saveexec_b32 s22, s22
	v_mov_b32_e32 v8, 0x7f800001
	s_xor_b32 exec_lo, exec_lo, s22
	s_cbranch_execz .LBB6_10646
.LBB6_11130:                            ;   in Loop: Header=BB6_10564 Depth=3
	v_cmp_ne_u16_sdwa s23, v9, v2 src0_sel:BYTE_1 src1_sel:DWORD
	v_mov_b32_e32 v8, 0
	s_andn2_b32 s17, s17, exec_lo
	s_and_b32 s23, s23, exec_lo
	s_or_b32 s17, s17, s23
	s_or_b32 exec_lo, exec_lo, s22
	s_and_saveexec_b32 s22, s17
	s_cbranch_execnz .LBB6_10647
	s_branch .LBB6_10648
.LBB6_11131:                            ;   in Loop: Header=BB6_10564 Depth=3
	s_or_saveexec_b32 s22, s22
	v_mov_b32_e32 v8, 0x7f800001
	s_xor_b32 exec_lo, exec_lo, s22
	s_cbranch_execz .LBB6_10660
.LBB6_11132:                            ;   in Loop: Header=BB6_10564 Depth=3
	v_cmp_ne_u16_e32 vcc_lo, 0, v21
	v_mov_b32_e32 v8, 0
	s_andn2_b32 s17, s17, exec_lo
	s_and_b32 s23, vcc_lo, exec_lo
	s_or_b32 s17, s17, s23
	s_or_b32 exec_lo, exec_lo, s22
	s_and_saveexec_b32 s22, s17
	s_cbranch_execnz .LBB6_10661
	s_branch .LBB6_10662
.LBB6_11133:                            ;   in Loop: Header=BB6_10564 Depth=3
	s_or_saveexec_b32 s22, s22
	v_mov_b32_e32 v8, 0x7f800001
	s_xor_b32 exec_lo, exec_lo, s22
	s_cbranch_execz .LBB6_10674
.LBB6_11134:                            ;   in Loop: Header=BB6_10564 Depth=3
	v_cmp_ne_u16_sdwa s23, v9, v2 src0_sel:BYTE_3 src1_sel:DWORD
	v_mov_b32_e32 v8, 0
	s_andn2_b32 s17, s17, exec_lo
	s_and_b32 s23, s23, exec_lo
	s_or_b32 s17, s17, s23
	s_or_b32 exec_lo, exec_lo, s22
	s_and_saveexec_b32 s22, s17
	s_cbranch_execnz .LBB6_10675
	s_branch .LBB6_10676
.LBB6_11135:                            ;   in Loop: Header=BB6_10564 Depth=3
	s_or_saveexec_b32 s22, s22
	v_mov_b32_e32 v8, 0x7f800001
	s_xor_b32 exec_lo, exec_lo, s22
	s_cbranch_execz .LBB6_10688
.LBB6_11136:                            ;   in Loop: Header=BB6_10564 Depth=3
	v_cmp_ne_u16_sdwa s23, v10, v2 src0_sel:BYTE_0 src1_sel:DWORD
	v_mov_b32_e32 v8, 0
	s_andn2_b32 s17, s17, exec_lo
	s_and_b32 s23, s23, exec_lo
	s_or_b32 s17, s17, s23
	s_or_b32 exec_lo, exec_lo, s22
	s_and_saveexec_b32 s22, s17
	s_cbranch_execnz .LBB6_10689
	s_branch .LBB6_10690
.LBB6_11137:                            ;   in Loop: Header=BB6_10564 Depth=3
	s_or_saveexec_b32 s22, s22
	v_mov_b32_e32 v8, 0x7f800001
	s_xor_b32 exec_lo, exec_lo, s22
	s_cbranch_execz .LBB6_10702
.LBB6_11138:                            ;   in Loop: Header=BB6_10564 Depth=3
	v_cmp_ne_u16_sdwa s23, v10, v2 src0_sel:BYTE_1 src1_sel:DWORD
	v_mov_b32_e32 v8, 0
	s_andn2_b32 s17, s17, exec_lo
	s_and_b32 s23, s23, exec_lo
	s_or_b32 s17, s17, s23
	s_or_b32 exec_lo, exec_lo, s22
	s_and_saveexec_b32 s22, s17
	s_cbranch_execnz .LBB6_10703
	s_branch .LBB6_10704
.LBB6_11139:                            ;   in Loop: Header=BB6_10564 Depth=3
	s_or_saveexec_b32 s22, s22
	v_mov_b32_e32 v8, 0x7f800001
	s_xor_b32 exec_lo, exec_lo, s22
	s_cbranch_execz .LBB6_10716
.LBB6_11140:                            ;   in Loop: Header=BB6_10564 Depth=3
	v_cmp_ne_u16_e32 vcc_lo, 0, v9
	v_mov_b32_e32 v8, 0
	s_andn2_b32 s17, s17, exec_lo
	s_and_b32 s23, vcc_lo, exec_lo
	s_or_b32 s17, s17, s23
	s_or_b32 exec_lo, exec_lo, s22
	s_and_saveexec_b32 s22, s17
	s_cbranch_execnz .LBB6_10717
	s_branch .LBB6_10718
.LBB6_11141:                            ;   in Loop: Header=BB6_10564 Depth=3
	s_or_saveexec_b32 s22, s22
	v_mov_b32_e32 v8, 0x7f800001
	s_xor_b32 exec_lo, exec_lo, s22
	s_cbranch_execz .LBB6_10730
.LBB6_11142:                            ;   in Loop: Header=BB6_10564 Depth=3
	v_cmp_ne_u16_sdwa s23, v10, v2 src0_sel:BYTE_3 src1_sel:DWORD
	v_mov_b32_e32 v8, 0
	s_andn2_b32 s17, s17, exec_lo
	s_and_b32 s23, s23, exec_lo
	s_or_b32 s17, s17, s23
	s_or_b32 exec_lo, exec_lo, s22
	s_and_saveexec_b32 s22, s17
	s_cbranch_execnz .LBB6_10731
	s_branch .LBB6_10732
.LBB6_11143:                            ;   in Loop: Header=BB6_10564 Depth=3
	s_or_saveexec_b32 s22, s22
	v_mov_b32_e32 v8, 0x7f800001
	s_xor_b32 exec_lo, exec_lo, s22
	s_cbranch_execz .LBB6_10744
.LBB6_11144:                            ;   in Loop: Header=BB6_10564 Depth=3
	v_cmp_ne_u16_sdwa s23, v11, v2 src0_sel:BYTE_0 src1_sel:DWORD
	v_mov_b32_e32 v8, 0
	s_andn2_b32 s17, s17, exec_lo
	s_and_b32 s23, s23, exec_lo
	s_or_b32 s17, s17, s23
	s_or_b32 exec_lo, exec_lo, s22
	s_and_saveexec_b32 s22, s17
	s_cbranch_execnz .LBB6_10745
	s_branch .LBB6_10746
.LBB6_11145:                            ;   in Loop: Header=BB6_10564 Depth=3
	s_or_saveexec_b32 s22, s22
	v_mov_b32_e32 v8, 0x7f800001
	s_xor_b32 exec_lo, exec_lo, s22
	s_cbranch_execz .LBB6_10758
.LBB6_11146:                            ;   in Loop: Header=BB6_10564 Depth=3
	v_cmp_ne_u16_sdwa s23, v11, v2 src0_sel:BYTE_1 src1_sel:DWORD
	v_mov_b32_e32 v8, 0
	s_andn2_b32 s17, s17, exec_lo
	s_and_b32 s23, s23, exec_lo
	s_or_b32 s17, s17, s23
	s_or_b32 exec_lo, exec_lo, s22
	s_and_saveexec_b32 s22, s17
	s_cbranch_execnz .LBB6_10759
	s_branch .LBB6_10760
.LBB6_11147:                            ;   in Loop: Header=BB6_10564 Depth=3
	s_or_saveexec_b32 s22, s22
	v_mov_b32_e32 v8, 0x7f800001
	s_xor_b32 exec_lo, exec_lo, s22
	s_cbranch_execz .LBB6_10772
.LBB6_11148:                            ;   in Loop: Header=BB6_10564 Depth=3
	v_cmp_ne_u16_e32 vcc_lo, 0, v9
	v_mov_b32_e32 v8, 0
	s_andn2_b32 s17, s17, exec_lo
	s_and_b32 s23, vcc_lo, exec_lo
	s_or_b32 s17, s17, s23
	s_or_b32 exec_lo, exec_lo, s22
	s_and_saveexec_b32 s22, s17
	s_cbranch_execnz .LBB6_10773
	s_branch .LBB6_10774
.LBB6_11149:                            ;   in Loop: Header=BB6_10564 Depth=3
	s_or_saveexec_b32 s22, s22
	v_mov_b32_e32 v8, 0x7f800001
	s_xor_b32 exec_lo, exec_lo, s22
	s_cbranch_execz .LBB6_10786
.LBB6_11150:                            ;   in Loop: Header=BB6_10564 Depth=3
	v_cmp_ne_u16_sdwa s23, v11, v2 src0_sel:BYTE_3 src1_sel:DWORD
	v_mov_b32_e32 v8, 0
	s_andn2_b32 s17, s17, exec_lo
	s_and_b32 s23, s23, exec_lo
	s_or_b32 s17, s17, s23
	s_or_b32 exec_lo, exec_lo, s22
	s_and_saveexec_b32 s22, s17
	s_cbranch_execnz .LBB6_10787
	s_branch .LBB6_10788
.LBB6_11151:                            ;   in Loop: Header=BB6_10564 Depth=3
	s_or_saveexec_b32 s18, s18
	v_mov_b32_e32 v20, 0x7f800001
	s_xor_b32 exec_lo, exec_lo, s18
	s_cbranch_execz .LBB6_10800
.LBB6_11152:                            ;   in Loop: Header=BB6_10564 Depth=3
	v_cmp_ne_u16_sdwa s22, v52, v2 src0_sel:BYTE_0 src1_sel:DWORD
	v_mov_b32_e32 v20, 0
	s_andn2_b32 s17, s17, exec_lo
	s_and_b32 s22, s22, exec_lo
	s_or_b32 s17, s17, s22
	s_or_b32 exec_lo, exec_lo, s18
	s_and_saveexec_b32 s18, s17
	s_cbranch_execnz .LBB6_10801
	s_branch .LBB6_10802
.LBB6_11153:                            ;   in Loop: Header=BB6_10564 Depth=3
	s_or_saveexec_b32 s18, s18
	v_mov_b32_e32 v23, 0x7f800001
	s_xor_b32 exec_lo, exec_lo, s18
	s_cbranch_execz .LBB6_10806
.LBB6_11154:                            ;   in Loop: Header=BB6_10564 Depth=3
	v_cmp_ne_u16_sdwa s22, v8, v2 src0_sel:BYTE_0 src1_sel:DWORD
	v_mov_b32_e32 v23, 0
	s_andn2_b32 s17, s17, exec_lo
	s_and_b32 s22, s22, exec_lo
	s_or_b32 s17, s17, s22
	s_or_b32 exec_lo, exec_lo, s18
	s_and_saveexec_b32 s18, s17
	s_cbranch_execnz .LBB6_10807
	s_branch .LBB6_10808
.LBB6_11155:                            ;   in Loop: Header=BB6_10564 Depth=3
	s_or_saveexec_b32 s18, s18
	v_mov_b32_e32 v23, 0x7f800001
	s_xor_b32 exec_lo, exec_lo, s18
	s_cbranch_execz .LBB6_10820
.LBB6_11156:                            ;   in Loop: Header=BB6_10564 Depth=3
	v_cmp_ne_u16_sdwa s22, v52, v2 src0_sel:BYTE_1 src1_sel:DWORD
	v_mov_b32_e32 v23, 0
	s_andn2_b32 s17, s17, exec_lo
	s_and_b32 s22, s22, exec_lo
	s_or_b32 s17, s17, s22
	s_or_b32 exec_lo, exec_lo, s18
	s_and_saveexec_b32 s18, s17
	s_cbranch_execnz .LBB6_10821
	s_branch .LBB6_10822
.LBB6_11157:                            ;   in Loop: Header=BB6_10564 Depth=3
	s_or_saveexec_b32 s18, s18
	v_mov_b32_e32 v53, 0x7f800001
	s_xor_b32 exec_lo, exec_lo, s18
	s_cbranch_execz .LBB6_10826
.LBB6_11158:                            ;   in Loop: Header=BB6_10564 Depth=3
	v_cmp_ne_u16_sdwa s22, v8, v2 src0_sel:BYTE_1 src1_sel:DWORD
	v_mov_b32_e32 v53, 0
	s_andn2_b32 s17, s17, exec_lo
	s_and_b32 s22, s22, exec_lo
	s_or_b32 s17, s17, s22
	s_or_b32 exec_lo, exec_lo, s18
	s_and_saveexec_b32 s18, s17
	s_cbranch_execnz .LBB6_10827
	s_branch .LBB6_10828
.LBB6_11159:                            ;   in Loop: Header=BB6_10564 Depth=3
	s_or_saveexec_b32 s18, s18
	v_mov_b32_e32 v28, 0x7f800001
	s_xor_b32 exec_lo, exec_lo, s18
	s_cbranch_execz .LBB6_10840
.LBB6_11160:                            ;   in Loop: Header=BB6_10564 Depth=3
	v_cmp_ne_u16_sdwa s22, v51, v2 src0_sel:BYTE_0 src1_sel:DWORD
	v_mov_b32_e32 v28, 0
	s_andn2_b32 s17, s17, exec_lo
	s_and_b32 s22, s22, exec_lo
	s_or_b32 s17, s17, s22
	s_or_b32 exec_lo, exec_lo, s18
	v_lshl_or_b32 v51, v51, 16, v52
	s_and_saveexec_b32 s18, s17
	s_cbranch_execnz .LBB6_10841
	s_branch .LBB6_10842
.LBB6_11161:                            ;   in Loop: Header=BB6_10564 Depth=3
	s_or_saveexec_b32 s18, s18
	v_mov_b32_e32 v52, 0x7f800001
	s_xor_b32 exec_lo, exec_lo, s18
	s_cbranch_execz .LBB6_10846
.LBB6_11162:                            ;   in Loop: Header=BB6_10564 Depth=3
	v_cmp_ne_u16_e32 vcc_lo, 0, v53
	v_mov_b32_e32 v52, 0
	s_andn2_b32 s17, s17, exec_lo
	s_and_b32 s22, vcc_lo, exec_lo
	s_or_b32 s17, s17, s22
	s_or_b32 exec_lo, exec_lo, s18
	s_and_saveexec_b32 s18, s17
	s_cbranch_execnz .LBB6_10847
	s_branch .LBB6_10848
.LBB6_11163:                            ;   in Loop: Header=BB6_10564 Depth=3
	s_or_saveexec_b32 s18, s18
	v_mov_b32_e32 v52, 0x7f800001
	s_xor_b32 exec_lo, exec_lo, s18
	s_cbranch_execz .LBB6_10860
.LBB6_11164:                            ;   in Loop: Header=BB6_10564 Depth=3
	v_cmp_ne_u16_sdwa s22, v51, v2 src0_sel:BYTE_3 src1_sel:DWORD
	v_mov_b32_e32 v52, 0
	s_andn2_b32 s17, s17, exec_lo
	s_and_b32 s22, s22, exec_lo
	s_or_b32 s17, s17, s22
	s_or_b32 exec_lo, exec_lo, s18
	s_and_saveexec_b32 s18, s17
	s_cbranch_execnz .LBB6_10861
	s_branch .LBB6_10862
.LBB6_11165:                            ;   in Loop: Header=BB6_10564 Depth=3
	s_or_saveexec_b32 s18, s18
	v_mov_b32_e32 v51, 0x7f800001
	s_xor_b32 exec_lo, exec_lo, s18
	s_cbranch_execz .LBB6_10866
.LBB6_11166:                            ;   in Loop: Header=BB6_10564 Depth=3
	v_cmp_ne_u16_sdwa s22, v8, v2 src0_sel:BYTE_3 src1_sel:DWORD
	v_mov_b32_e32 v51, 0
	s_andn2_b32 s17, s17, exec_lo
	s_and_b32 s22, s22, exec_lo
	s_or_b32 s17, s17, s22
	s_or_b32 exec_lo, exec_lo, s18
	s_and_saveexec_b32 s18, s17
	s_cbranch_execnz .LBB6_10867
	s_branch .LBB6_10868
.LBB6_11167:                            ;   in Loop: Header=BB6_10564 Depth=3
	s_or_saveexec_b32 s18, s18
	v_mov_b32_e32 v36, 0x7f800001
	s_xor_b32 exec_lo, exec_lo, s18
	s_cbranch_execz .LBB6_10880
.LBB6_11168:                            ;   in Loop: Header=BB6_10564 Depth=3
	v_cmp_ne_u16_sdwa s22, v51, v2 src0_sel:BYTE_0 src1_sel:DWORD
	v_mov_b32_e32 v36, 0
	s_andn2_b32 s17, s17, exec_lo
	s_and_b32 s22, s22, exec_lo
	s_or_b32 s17, s17, s22
	s_or_b32 exec_lo, exec_lo, s18
	s_and_saveexec_b32 s18, s17
	s_cbranch_execnz .LBB6_10881
	s_branch .LBB6_10882
.LBB6_11169:                            ;   in Loop: Header=BB6_10564 Depth=3
	s_or_saveexec_b32 s18, s18
	v_mov_b32_e32 v50, 0x7f800001
	s_xor_b32 exec_lo, exec_lo, s18
	s_cbranch_execz .LBB6_10886
.LBB6_11170:                            ;   in Loop: Header=BB6_10564 Depth=3
	v_cmp_ne_u16_sdwa s22, v9, v2 src0_sel:BYTE_0 src1_sel:DWORD
	v_mov_b32_e32 v50, 0
	s_andn2_b32 s17, s17, exec_lo
	s_and_b32 s22, s22, exec_lo
	s_or_b32 s17, s17, s22
	s_or_b32 exec_lo, exec_lo, s18
	s_and_saveexec_b32 s18, s17
	s_cbranch_execnz .LBB6_10887
	s_branch .LBB6_10888
.LBB6_11171:                            ;   in Loop: Header=BB6_10564 Depth=3
	s_or_saveexec_b32 s18, s18
	v_mov_b32_e32 v50, 0x7f800001
	s_xor_b32 exec_lo, exec_lo, s18
	s_cbranch_execz .LBB6_10900
.LBB6_11172:                            ;   in Loop: Header=BB6_10564 Depth=3
	v_cmp_ne_u16_sdwa s22, v51, v2 src0_sel:BYTE_1 src1_sel:DWORD
	v_mov_b32_e32 v50, 0
	s_andn2_b32 s17, s17, exec_lo
	s_and_b32 s22, s22, exec_lo
	s_or_b32 s17, s17, s22
	s_or_b32 exec_lo, exec_lo, s18
	s_and_saveexec_b32 s18, s17
	s_cbranch_execnz .LBB6_10901
	s_branch .LBB6_10902
.LBB6_11173:                            ;   in Loop: Header=BB6_10564 Depth=3
	s_or_saveexec_b32 s18, s18
	v_mov_b32_e32 v52, 0x7f800001
	s_xor_b32 exec_lo, exec_lo, s18
	s_cbranch_execz .LBB6_10906
.LBB6_11174:                            ;   in Loop: Header=BB6_10564 Depth=3
	v_cmp_ne_u16_sdwa s22, v9, v2 src0_sel:BYTE_1 src1_sel:DWORD
	v_mov_b32_e32 v52, 0
	s_andn2_b32 s17, s17, exec_lo
	s_and_b32 s22, s22, exec_lo
	s_or_b32 s17, s17, s22
	s_or_b32 exec_lo, exec_lo, s18
	s_and_saveexec_b32 s18, s17
	s_cbranch_execnz .LBB6_10907
	s_branch .LBB6_10908
.LBB6_11175:                            ;   in Loop: Header=BB6_10564 Depth=3
	s_or_saveexec_b32 s18, s18
	v_mov_b32_e32 v30, 0x7f800001
	s_xor_b32 exec_lo, exec_lo, s18
	s_cbranch_execz .LBB6_10920
.LBB6_11176:                            ;   in Loop: Header=BB6_10564 Depth=3
	v_cmp_ne_u16_sdwa s22, v37, v2 src0_sel:BYTE_0 src1_sel:DWORD
	v_mov_b32_e32 v30, 0
	s_andn2_b32 s17, s17, exec_lo
	s_and_b32 s22, s22, exec_lo
	s_or_b32 s17, s17, s22
	s_or_b32 exec_lo, exec_lo, s18
	v_lshl_or_b32 v37, v37, 16, v51
	s_and_saveexec_b32 s18, s17
	s_cbranch_execnz .LBB6_10921
	s_branch .LBB6_10922
.LBB6_11177:                            ;   in Loop: Header=BB6_10564 Depth=3
	s_or_saveexec_b32 s18, s18
	v_mov_b32_e32 v51, 0x7f800001
	s_xor_b32 exec_lo, exec_lo, s18
	s_cbranch_execz .LBB6_10926
.LBB6_11178:                            ;   in Loop: Header=BB6_10564 Depth=3
	v_cmp_ne_u16_e32 vcc_lo, 0, v52
	v_mov_b32_e32 v51, 0
	s_andn2_b32 s17, s17, exec_lo
	s_and_b32 s22, vcc_lo, exec_lo
	s_or_b32 s17, s17, s22
	s_or_b32 exec_lo, exec_lo, s18
	s_and_saveexec_b32 s18, s17
	s_cbranch_execnz .LBB6_10927
	s_branch .LBB6_10928
.LBB6_11179:                            ;   in Loop: Header=BB6_10564 Depth=3
	s_or_saveexec_b32 s18, s18
	v_mov_b32_e32 v51, 0x7f800001
	s_xor_b32 exec_lo, exec_lo, s18
	s_cbranch_execz .LBB6_10940
.LBB6_11180:                            ;   in Loop: Header=BB6_10564 Depth=3
	v_cmp_ne_u16_sdwa s22, v37, v2 src0_sel:BYTE_3 src1_sel:DWORD
	v_mov_b32_e32 v51, 0
	s_andn2_b32 s17, s17, exec_lo
	s_and_b32 s22, s22, exec_lo
	s_or_b32 s17, s17, s22
	s_or_b32 exec_lo, exec_lo, s18
	s_and_saveexec_b32 s18, s17
	s_cbranch_execnz .LBB6_10941
	s_branch .LBB6_10942
.LBB6_11181:                            ;   in Loop: Header=BB6_10564 Depth=3
	s_or_saveexec_b32 s18, s18
	v_mov_b32_e32 v37, 0x7f800001
	s_xor_b32 exec_lo, exec_lo, s18
	s_cbranch_execz .LBB6_10946
.LBB6_11182:                            ;   in Loop: Header=BB6_10564 Depth=3
	v_cmp_ne_u16_sdwa s22, v9, v2 src0_sel:BYTE_3 src1_sel:DWORD
	v_mov_b32_e32 v37, 0
	s_andn2_b32 s17, s17, exec_lo
	s_and_b32 s22, s22, exec_lo
	s_or_b32 s17, s17, s22
	s_or_b32 exec_lo, exec_lo, s18
	s_and_saveexec_b32 s18, s17
	s_cbranch_execnz .LBB6_10947
	s_branch .LBB6_10948
.LBB6_11183:                            ;   in Loop: Header=BB6_10564 Depth=3
	s_or_saveexec_b32 s18, s18
	v_mov_b32_e32 v27, 0x7f800001
	s_xor_b32 exec_lo, exec_lo, s18
	s_cbranch_execz .LBB6_10960
.LBB6_11184:                            ;   in Loop: Header=BB6_10564 Depth=3
	v_cmp_ne_u16_sdwa s22, v37, v2 src0_sel:BYTE_0 src1_sel:DWORD
	v_mov_b32_e32 v27, 0
	s_andn2_b32 s17, s17, exec_lo
	s_and_b32 s22, s22, exec_lo
	s_or_b32 s17, s17, s22
	s_or_b32 exec_lo, exec_lo, s18
	s_and_saveexec_b32 s18, s17
	s_cbranch_execnz .LBB6_10961
	s_branch .LBB6_10962
.LBB6_11185:                            ;   in Loop: Header=BB6_10564 Depth=3
	s_or_saveexec_b32 s18, s18
	v_mov_b32_e32 v31, 0x7f800001
	s_xor_b32 exec_lo, exec_lo, s18
	s_cbranch_execz .LBB6_10966
.LBB6_11186:                            ;   in Loop: Header=BB6_10564 Depth=3
	v_cmp_ne_u16_sdwa s22, v10, v2 src0_sel:BYTE_0 src1_sel:DWORD
	v_mov_b32_e32 v31, 0
	s_andn2_b32 s17, s17, exec_lo
	s_and_b32 s22, s22, exec_lo
	s_or_b32 s17, s17, s22
	s_or_b32 exec_lo, exec_lo, s18
	s_and_saveexec_b32 s18, s17
	s_cbranch_execnz .LBB6_10967
	s_branch .LBB6_10968
.LBB6_11187:                            ;   in Loop: Header=BB6_10564 Depth=3
	s_or_saveexec_b32 s18, s18
	v_mov_b32_e32 v31, 0x7f800001
	s_xor_b32 exec_lo, exec_lo, s18
	s_cbranch_execz .LBB6_10980
.LBB6_11188:                            ;   in Loop: Header=BB6_10564 Depth=3
	v_cmp_ne_u16_sdwa s22, v37, v2 src0_sel:BYTE_1 src1_sel:DWORD
	v_mov_b32_e32 v31, 0
	s_andn2_b32 s17, s17, exec_lo
	s_and_b32 s22, s22, exec_lo
	s_or_b32 s17, s17, s22
	s_or_b32 exec_lo, exec_lo, s18
	s_and_saveexec_b32 s18, s17
	s_cbranch_execnz .LBB6_10981
	s_branch .LBB6_10982
.LBB6_11189:                            ;   in Loop: Header=BB6_10564 Depth=3
	s_or_saveexec_b32 s18, s18
	v_mov_b32_e32 v51, 0x7f800001
	s_xor_b32 exec_lo, exec_lo, s18
	s_cbranch_execz .LBB6_10986
.LBB6_11190:                            ;   in Loop: Header=BB6_10564 Depth=3
	v_cmp_ne_u16_sdwa s22, v10, v2 src0_sel:BYTE_1 src1_sel:DWORD
	v_mov_b32_e32 v51, 0
	s_andn2_b32 s17, s17, exec_lo
	s_and_b32 s22, s22, exec_lo
	s_or_b32 s17, s17, s22
	s_or_b32 exec_lo, exec_lo, s18
	s_and_saveexec_b32 s18, s17
	s_cbranch_execnz .LBB6_10987
	s_branch .LBB6_10988
.LBB6_11191:                            ;   in Loop: Header=BB6_10564 Depth=3
	s_or_saveexec_b32 s18, s18
	v_mov_b32_e32 v25, 0x7f800001
	s_xor_b32 exec_lo, exec_lo, s18
	s_cbranch_execz .LBB6_11000
.LBB6_11192:                            ;   in Loop: Header=BB6_10564 Depth=3
	v_cmp_ne_u16_sdwa s22, v29, v2 src0_sel:BYTE_0 src1_sel:DWORD
	v_mov_b32_e32 v25, 0
	s_andn2_b32 s17, s17, exec_lo
	s_and_b32 s22, s22, exec_lo
	s_or_b32 s17, s17, s22
	s_or_b32 exec_lo, exec_lo, s18
	v_lshl_or_b32 v29, v29, 16, v37
	s_and_saveexec_b32 s18, s17
	s_cbranch_execnz .LBB6_11001
	s_branch .LBB6_11002
.LBB6_11193:                            ;   in Loop: Header=BB6_10564 Depth=3
	s_or_saveexec_b32 s18, s18
	v_mov_b32_e32 v37, 0x7f800001
	s_xor_b32 exec_lo, exec_lo, s18
	s_cbranch_execz .LBB6_11006
.LBB6_11194:                            ;   in Loop: Header=BB6_10564 Depth=3
	v_cmp_ne_u16_e32 vcc_lo, 0, v51
	v_mov_b32_e32 v37, 0
	s_andn2_b32 s17, s17, exec_lo
	s_and_b32 s22, vcc_lo, exec_lo
	s_or_b32 s17, s17, s22
	s_or_b32 exec_lo, exec_lo, s18
	s_and_saveexec_b32 s18, s17
	s_cbranch_execnz .LBB6_11007
	s_branch .LBB6_11008
.LBB6_11195:                            ;   in Loop: Header=BB6_10564 Depth=3
	s_or_saveexec_b32 s18, s18
	v_mov_b32_e32 v37, 0x7f800001
	s_xor_b32 exec_lo, exec_lo, s18
	s_cbranch_execz .LBB6_11020
.LBB6_11196:                            ;   in Loop: Header=BB6_10564 Depth=3
	v_cmp_ne_u16_sdwa s22, v29, v2 src0_sel:BYTE_3 src1_sel:DWORD
	v_mov_b32_e32 v37, 0
	s_andn2_b32 s17, s17, exec_lo
	s_and_b32 s22, s22, exec_lo
	s_or_b32 s17, s17, s22
	s_or_b32 exec_lo, exec_lo, s18
	s_and_saveexec_b32 s18, s17
	s_cbranch_execnz .LBB6_11021
	s_branch .LBB6_11022
.LBB6_11197:                            ;   in Loop: Header=BB6_10564 Depth=3
	s_or_saveexec_b32 s18, s18
	v_mov_b32_e32 v29, 0x7f800001
	s_xor_b32 exec_lo, exec_lo, s18
	s_cbranch_execz .LBB6_11026
.LBB6_11198:                            ;   in Loop: Header=BB6_10564 Depth=3
	v_cmp_ne_u16_sdwa s22, v10, v2 src0_sel:BYTE_3 src1_sel:DWORD
	v_mov_b32_e32 v29, 0
	s_andn2_b32 s17, s17, exec_lo
	s_and_b32 s22, s22, exec_lo
	s_or_b32 s17, s17, s22
	s_or_b32 exec_lo, exec_lo, s18
	s_and_saveexec_b32 s18, s17
	s_cbranch_execnz .LBB6_11027
	s_branch .LBB6_11028
.LBB6_11199:                            ;   in Loop: Header=BB6_10564 Depth=3
	s_or_saveexec_b32 s18, s18
	v_mov_b32_e32 v22, 0x7f800001
	s_xor_b32 exec_lo, exec_lo, s18
	s_cbranch_execz .LBB6_11040
.LBB6_11200:                            ;   in Loop: Header=BB6_10564 Depth=3
	v_cmp_ne_u16_sdwa s22, v26, v2 src0_sel:BYTE_0 src1_sel:DWORD
	v_mov_b32_e32 v22, 0
	s_andn2_b32 s17, s17, exec_lo
	s_and_b32 s22, s22, exec_lo
	s_or_b32 s17, s17, s22
	s_or_b32 exec_lo, exec_lo, s18
	s_and_saveexec_b32 s18, s17
	s_cbranch_execnz .LBB6_11041
	s_branch .LBB6_11042
.LBB6_11201:                            ;   in Loop: Header=BB6_10564 Depth=3
	s_or_saveexec_b32 s18, s18
	v_mov_b32_e32 v29, 0x7f800001
	s_xor_b32 exec_lo, exec_lo, s18
	s_cbranch_execz .LBB6_11046
.LBB6_11202:                            ;   in Loop: Header=BB6_10564 Depth=3
	v_cmp_ne_u16_sdwa s22, v11, v2 src0_sel:BYTE_0 src1_sel:DWORD
	v_mov_b32_e32 v29, 0
	s_andn2_b32 s17, s17, exec_lo
	s_and_b32 s22, s22, exec_lo
	s_or_b32 s17, s17, s22
	s_or_b32 exec_lo, exec_lo, s18
	s_and_saveexec_b32 s18, s17
	s_cbranch_execnz .LBB6_11047
	s_branch .LBB6_11048
.LBB6_11203:                            ;   in Loop: Header=BB6_10564 Depth=3
	s_or_saveexec_b32 s18, s18
	v_mov_b32_e32 v29, 0x7f800001
	s_xor_b32 exec_lo, exec_lo, s18
	s_cbranch_execz .LBB6_11060
.LBB6_11204:                            ;   in Loop: Header=BB6_10564 Depth=3
	v_cmp_ne_u16_sdwa s22, v26, v2 src0_sel:BYTE_1 src1_sel:DWORD
	v_mov_b32_e32 v29, 0
	s_andn2_b32 s17, s17, exec_lo
	s_and_b32 s22, s22, exec_lo
	s_or_b32 s17, s17, s22
	s_or_b32 exec_lo, exec_lo, s18
	s_and_saveexec_b32 s18, s17
	s_cbranch_execnz .LBB6_11061
	s_branch .LBB6_11062
.LBB6_11205:                            ;   in Loop: Header=BB6_10564 Depth=3
	s_or_saveexec_b32 s18, s18
	v_mov_b32_e32 v37, 0x7f800001
	s_xor_b32 exec_lo, exec_lo, s18
	s_cbranch_execz .LBB6_11066
.LBB6_11206:                            ;   in Loop: Header=BB6_10564 Depth=3
	v_cmp_ne_u16_sdwa s22, v11, v2 src0_sel:BYTE_1 src1_sel:DWORD
	v_mov_b32_e32 v37, 0
	s_andn2_b32 s17, s17, exec_lo
	s_and_b32 s22, s22, exec_lo
	s_or_b32 s17, s17, s22
	s_or_b32 exec_lo, exec_lo, s18
	s_and_saveexec_b32 s18, s17
	s_cbranch_execnz .LBB6_11067
	s_branch .LBB6_11068
.LBB6_11207:                            ;   in Loop: Header=BB6_10564 Depth=3
	s_or_saveexec_b32 s18, s18
	v_mov_b32_e32 v21, 0x7f800001
	s_xor_b32 exec_lo, exec_lo, s18
	s_cbranch_execz .LBB6_11080
.LBB6_11208:                            ;   in Loop: Header=BB6_10564 Depth=3
	v_cmp_ne_u16_sdwa s22, v24, v2 src0_sel:BYTE_0 src1_sel:DWORD
	v_mov_b32_e32 v21, 0
	s_andn2_b32 s17, s17, exec_lo
	s_and_b32 s22, s22, exec_lo
	s_or_b32 s17, s17, s22
	s_or_b32 exec_lo, exec_lo, s18
	v_lshl_or_b32 v24, v24, 16, v26
	s_and_saveexec_b32 s18, s17
	s_cbranch_execnz .LBB6_11081
	s_branch .LBB6_11082
.LBB6_11209:                            ;   in Loop: Header=BB6_10564 Depth=3
	s_or_saveexec_b32 s18, s18
	v_mov_b32_e32 v26, 0x7f800001
	s_xor_b32 exec_lo, exec_lo, s18
	s_cbranch_execz .LBB6_11086
.LBB6_11210:                            ;   in Loop: Header=BB6_10564 Depth=3
	v_cmp_ne_u16_e32 vcc_lo, 0, v37
	v_mov_b32_e32 v26, 0
	s_andn2_b32 s17, s17, exec_lo
	s_and_b32 s22, vcc_lo, exec_lo
	s_or_b32 s17, s17, s22
	s_or_b32 exec_lo, exec_lo, s18
	s_and_saveexec_b32 s18, s17
	s_cbranch_execnz .LBB6_11087
	s_branch .LBB6_11088
.LBB6_11211:                            ;   in Loop: Header=BB6_10564 Depth=3
	s_or_saveexec_b32 s18, s18
	v_mov_b32_e32 v26, 0x7f800001
	s_xor_b32 exec_lo, exec_lo, s18
	s_cbranch_execz .LBB6_11100
.LBB6_11212:                            ;   in Loop: Header=BB6_10564 Depth=3
	v_cmp_ne_u16_sdwa s22, v24, v2 src0_sel:BYTE_3 src1_sel:DWORD
	v_mov_b32_e32 v26, 0
	s_andn2_b32 s17, s17, exec_lo
	s_and_b32 s22, s22, exec_lo
	s_or_b32 s17, s17, s22
	s_or_b32 exec_lo, exec_lo, s18
	s_and_saveexec_b32 s18, s17
	s_cbranch_execnz .LBB6_11101
	s_branch .LBB6_11102
.LBB6_11213:                            ;   in Loop: Header=BB6_10564 Depth=3
	s_or_saveexec_b32 s18, s18
	v_mov_b32_e32 v24, 0x7f800001
	s_xor_b32 exec_lo, exec_lo, s18
	s_cbranch_execz .LBB6_11106
.LBB6_11214:                            ;   in Loop: Header=BB6_10564 Depth=3
	v_cmp_ne_u16_sdwa s22, v11, v2 src0_sel:BYTE_3 src1_sel:DWORD
	v_mov_b32_e32 v24, 0
	s_andn2_b32 s17, s17, exec_lo
	s_and_b32 s22, s22, exec_lo
	s_or_b32 s17, s17, s22
	s_or_b32 exec_lo, exec_lo, s18
	s_and_saveexec_b32 s18, s17
	s_cbranch_execnz .LBB6_11107
	s_branch .LBB6_11108
.LBB6_11215:                            ;   in Loop: Header=BB6_7909 Depth=2
	s_or_b32 exec_lo, exec_lo, s73
.LBB6_11216:                            ;   in Loop: Header=BB6_7909 Depth=2
	s_or_b32 exec_lo, exec_lo, s72
	buffer_load_dword v7, off, s[0:3], s33 offset:260 ; 4-byte Folded Reload
	v_cmp_lt_i32_e32 vcc_lo, 0, v6
	v_cndmask_b32_e32 v9, 0, v103, vcc_lo
	v_sub_nc_u32_e32 v6, v9, v6
	v_lshl_add_u32 v5, v6, 5, v5
	s_waitcnt vmcnt(0)
	v_and_b32_e32 v7, 15, v7
	v_sub_nc_u32_e32 v8, v4, v7
	v_cndmask_b32_e64 v4, v4, v7, s16
	v_cndmask_b32_e64 v7, 0, v8, s16
	v_cmp_ne_u32_e32 vcc_lo, 0, v4
	v_add3_u32 v1, v1, v0, v7
	s_and_b32 s16, vcc_lo, exec_lo
.LBB6_11217:                            ;   in Loop: Header=BB6_7909 Depth=2
	s_or_b32 exec_lo, exec_lo, s19
	s_and_saveexec_b32 s22, s16
	s_cbranch_execz .LBB6_12564
.LBB6_11218:                            ;   in Loop: Header=BB6_7909 Depth=2
	s_waitcnt vmcnt(0)
	v_ashrrev_i32_e32 v0, 31, v5
	v_ashrrev_i32_e32 v6, 31, v4
	s_mov_b32 s17, exec_lo
	v_lshrrev_b32_e32 v0, 27, v0
	v_lshrrev_b32_e32 v6, 22, v6
	v_add_nc_u32_e32 v0, v5, v0
	v_add_nc_u32_e32 v6, v4, v6
	v_ashrrev_i32_e32 v18, 5, v0
	v_ashrrev_i32_e32 v20, 10, v6
	v_sub_nc_u32_e32 v19, v20, v18
	v_cmpx_lt_i32_e32 0, v19
	s_cbranch_execz .LBB6_12510
; %bb.11219:                            ;   in Loop: Header=BB6_7909 Depth=2
	v_and_b32_e32 v0, 0xffffffe0, v0
	v_lshlrev_b32_e32 v8, 10, v18
	s_trap 2
	s_mov_b32 s18, 0
	v_sub_nc_u32_e32 v0, v5, v0
	ds_read_b64 v[6:7], v0
	v_add3_u32 v0, v1, v0, v8
	s_clause 0x1
	buffer_load_dword v8, off, s[0:3], s33 offset:264
	buffer_load_dword v9, off, s[0:3], s33 offset:268
	v_ashrrev_i32_e32 v15, 31, v0
	s_waitcnt vmcnt(1)
	v_add_co_u32 v8, vcc_lo, v0, v8
	s_waitcnt vmcnt(0)
	v_add_co_ci_u32_e64 v9, null, v15, v9, vcc_lo
	v_add_co_u32 v10, vcc_lo, v0, v82
	v_add_co_ci_u32_e64 v11, null, v15, v83, vcc_lo
	v_add_co_u32 v12, vcc_lo, v0, v69
	v_add_co_ci_u32_e64 v13, null, v15, v70, vcc_lo
	s_waitcnt lgkmcnt(0)
	v_add_co_u32 v14, vcc_lo, v6, v0
	v_add_co_ci_u32_e64 v15, null, v7, v15, vcc_lo
	s_branch .LBB6_11223
.LBB6_11220:                            ;   in Loop: Header=BB6_11223 Depth=3
	s_or_b32 exec_lo, exec_lo, s16
	v_lshrrev_b32_e32 v6, 21, v27
	v_cmp_gt_i32_e32 vcc_lo, 32, v31
	v_min_i32_e32 v22, 31, v31
	v_and_b32_sdwa v0, v0, v117 dst_sel:DWORD dst_unused:UNUSED_PAD src0_sel:BYTE_3 src1_sel:DWORD
	v_cndmask_b32_e32 v6, 3, v6, vcc_lo
	v_lshlrev_b32_e32 v22, 2, v22
	v_or_b32_e32 v27, v31, v6
	v_and_b32_e32 v6, 3, v6
	v_cmp_ne_u32_e32 vcc_lo, 0, v27
	v_or3_b32 v0, v22, v0, v6
	v_cndmask_b32_e32 v6, 0, v0, vcc_lo
.LBB6_11221:                            ;   in Loop: Header=BB6_11223 Depth=3
	s_or_b32 exec_lo, exec_lo, s23
.LBB6_11222:                            ;   in Loop: Header=BB6_11223 Depth=3
	s_or_b32 exec_lo, exec_lo, s19
	v_add_co_u32 v12, vcc_lo, v12, v46
	v_sub_nc_u32_e32 v19, v19, v103
	v_add_co_ci_u32_e64 v13, null, 0, v13, vcc_lo
	v_add_co_u32 v14, vcc_lo, v14, v46
	flat_store_byte v[8:9], v7 glc slc
	flat_store_byte v[8:9], v24 offset:32 glc slc
	flat_store_byte v[8:9], v28 offset:64 glc slc
	;; [unrolled: 1-line block ×31, first 2 shown]
	flat_store_byte v[10:11], v7 glc slc
	flat_store_byte v[10:11], v24 offset:32 glc slc
	flat_store_byte v[10:11], v28 offset:64 glc slc
	;; [unrolled: 1-line block ×31, first 2 shown]
	v_add_co_ci_u32_e64 v15, null, 0, v15, vcc_lo
	v_add_co_u32 v8, vcc_lo, v8, v46
	v_add_co_ci_u32_e64 v9, null, 0, v9, vcc_lo
	v_cmp_gt_i32_e32 vcc_lo, 1, v19
	v_add_co_u32 v10, s16, v10, v46
	v_add_co_ci_u32_e64 v11, null, 0, v11, s16
	s_or_b32 s18, vcc_lo, s18
	s_andn2_b32 exec_lo, exec_lo, s18
	s_cbranch_execz .LBB6_12509
.LBB6_11223:                            ;   Parent Loop BB6_47 Depth=1
                                        ;     Parent Loop BB6_7909 Depth=2
                                        ; =>    This Inner Loop Header: Depth=3
	s_trap 2
	ds_read_b64 v[16:17], v0
	s_waitcnt lgkmcnt(0)
	v_readfirstlane_b32 s16, v16
	s_and_b32 s19, s16, 0xff
	s_cmpk_lt_i32 s19, 0x80
	s_cbranch_scc1 .LBB6_11227
; %bb.11224:                            ;   in Loop: Header=BB6_11223 Depth=3
	s_and_b32 s23, 0xffff, s19
	s_cmpk_eq_i32 s23, 0x80
	s_mov_b32 s23, -1
	s_cbranch_scc0 .LBB6_11226
; %bb.11225:                            ;   in Loop: Header=BB6_11223 Depth=3
	s_mov_b32 s23, 0
.LBB6_11226:                            ;   in Loop: Header=BB6_11223 Depth=3
	s_mov_b32 s72, 0x7f800001
	s_branch .LBB6_11229
.LBB6_11227:                            ;   in Loop: Header=BB6_11223 Depth=3
	s_mov_b32 s23, 0
	s_mov_b32 s72, 0x7f800001
	s_cbranch_execz .LBB6_11229
; %bb.11228:                            ;   in Loop: Header=BB6_11223 Depth=3
	s_and_b32 s19, 0xffff, s19
	s_mov_b32 s72, 0
	s_cmp_lg_u32 s19, 0
	s_cselect_b32 s23, -1, 0
.LBB6_11229:                            ;   in Loop: Header=BB6_11223 Depth=3
	v_mov_b32_e32 v0, s72
	s_andn2_b32 vcc_lo, exec_lo, s23
	s_cbranch_vccnz .LBB6_11231
; %bb.11230:                            ;   in Loop: Header=BB6_11223 Depth=3
	s_and_b32 s19, s16, 3
	s_bfe_u32 s72, s16, 0x50002
	s_flbit_i32_b32 s23, s19
	v_lshlrev_b32_e32 v0, 24, v16
	s_min_u32 s23, s23, 32
	s_sub_i32 s73, s23, 29
	s_sub_i32 s23, 30, s23
	s_lshl_b32 s16, s16, s73
	v_and_b32_e32 v0, 0x80000000, v0
	s_and_b32 s16, s16, 3
	s_cmp_eq_u32 s72, 0
	s_cselect_b32 s23, s23, s72
	s_cselect_b32 s16, s16, s19
	s_lshl_b32 s19, s23, 23
	s_lshl_b32 s16, s16, 21
	s_add_i32 s19, s19, 0x37800000
	v_or_b32_e32 v0, s19, v0
	v_or_b32_e32 v0, s16, v0
.LBB6_11231:                            ;   in Loop: Header=BB6_11223 Depth=3
	flat_load_ubyte v6, v[12:13] slc
	s_mov_b32 s16, 0
	s_mov_b32 s19, exec_lo
	s_waitcnt vmcnt(0) lgkmcnt(0)
	v_cmpx_lt_i16_e32 0x7f, v6
	s_xor_b32 s19, exec_lo, s19
	s_cbranch_execz .LBB6_12317
; %bb.11232:                            ;   in Loop: Header=BB6_11223 Depth=3
	s_mov_b32 s16, -1
	s_mov_b32 s23, exec_lo
	v_cmpx_eq_u16_e32 0x80, v6
; %bb.11233:                            ;   in Loop: Header=BB6_11223 Depth=3
	s_xor_b32 s16, exec_lo, -1
; %bb.11234:                            ;   in Loop: Header=BB6_11223 Depth=3
	s_or_b32 exec_lo, exec_lo, s23
	s_and_b32 s16, s16, exec_lo
	s_or_saveexec_b32 s19, s19
	v_mov_b32_e32 v7, 0x7f800001
	s_xor_b32 exec_lo, exec_lo, s19
	s_cbranch_execnz .LBB6_12318
.LBB6_11235:                            ;   in Loop: Header=BB6_11223 Depth=3
	s_or_b32 exec_lo, exec_lo, s19
	s_and_saveexec_b32 s19, s16
	s_cbranch_execz .LBB6_11237
.LBB6_11236:                            ;   in Loop: Header=BB6_11223 Depth=3
	v_and_b32_e32 v7, 0xffff, v6
	v_lshlrev_b32_e32 v6, 24, v6
	v_and_b32_e32 v16, 3, v7
	v_bfe_u32 v22, v7, 2, 5
	v_and_b32_e32 v6, 0x80000000, v6
	v_ffbh_u32_e32 v17, v16
	v_cmp_eq_u32_e32 vcc_lo, 0, v22
	v_min_u32_e32 v17, 32, v17
	v_subrev_nc_u32_e32 v21, 29, v17
	v_sub_nc_u32_e32 v17, 30, v17
	v_lshlrev_b32_e32 v7, v21, v7
	v_cndmask_b32_e32 v17, v22, v17, vcc_lo
	v_and_b32_e32 v7, 3, v7
	v_cndmask_b32_e32 v7, v16, v7, vcc_lo
	v_lshl_add_u32 v16, v17, 23, 0x37800000
	v_lshlrev_b32_e32 v7, 21, v7
	v_or3_b32 v7, v6, v16, v7
.LBB6_11237:                            ;   in Loop: Header=BB6_11223 Depth=3
	s_or_b32 exec_lo, exec_lo, s19
	v_mul_f32_e32 v6, v0, v7
	v_and_b32_e32 v7, 0x7f800000, v6
	v_cmp_ne_u32_e32 vcc_lo, 0x7f800000, v7
	v_mov_b32_e32 v7, 0x80
	s_and_saveexec_b32 s19, vcc_lo
	s_cbranch_execz .LBB6_11245
; %bb.11238:                            ;   in Loop: Header=BB6_11223 Depth=3
	v_mov_b32_e32 v7, 0
	s_mov_b32 s23, exec_lo
	v_cmpx_ne_u32_e32 0, v6
	s_cbranch_execz .LBB6_11244
; %bb.11239:                            ;   in Loop: Header=BB6_11223 Depth=3
	v_bfe_u32 v7, v6, 23, 8
	v_and_b32_e32 v16, 0x7fffff, v6
	v_sub_nc_u32_e32 v17, 0x70, v7
	v_cmp_gt_u32_e32 vcc_lo, 0x71, v7
	v_or_b32_e32 v21, 0x800000, v16
	v_cndmask_b32_e32 v17, 0, v17, vcc_lo
	v_cmp_eq_u32_e32 vcc_lo, 0, v7
	v_add_nc_u32_e32 v7, 0xffffff91, v7
	v_cndmask_b32_e64 v17, v17, 0x6f, vcc_lo
	v_cndmask_b32_e32 v16, v21, v16, vcc_lo
	v_cndmask_b32_e64 v7, v7, 0xffffff92, vcc_lo
	v_lshl_add_u32 v21, 0x200000, v17, -1
	v_lshrrev_b32_e32 v22, v17, v16
	v_lshlrev_b32_e64 v24, v17, 0x100000
	v_add_nc_u32_e32 v17, v17, v7
	v_and_b32_e32 v16, v21, v16
	v_bfe_u32 v23, v22, 21, 1
	v_cmp_eq_u32_e64 s16, v16, v24
	v_add_nc_u32_e32 v21, -1, v23
	v_cndmask_b32_e64 v16, 0, v21, s16
	v_lshrrev_b32_e32 v21, 23, v22
	s_mov_b32 s16, exec_lo
	v_add_nc_u32_e32 v16, v16, v22
	v_xor_b32_e32 v21, 1, v21
	v_and_b32_e32 v7, 0x1fffff, v16
	v_add_nc_u32_e32 v16, v7, v22
                                        ; implicit-def: $vgpr7
	v_cmpx_ne_u32_e64 v17, v21
	s_xor_b32 s16, exec_lo, s16
; %bb.11240:                            ;   in Loop: Header=BB6_11223 Depth=3
	v_cmp_lt_u32_e32 vcc_lo, 0xffffff, v16
	v_sub_nc_u32_e32 v7, v17, v21
	v_cndmask_b32_e64 v17, 0, 1, vcc_lo
	v_add_co_ci_u32_e64 v7, null, 0, v7, vcc_lo
	v_lshrrev_b32_e32 v16, v17, v16
; %bb.11241:                            ;   in Loop: Header=BB6_11223 Depth=3
	s_andn2_saveexec_b32 s16, s16
; %bb.11242:                            ;   in Loop: Header=BB6_11223 Depth=3
	v_bfe_u32 v7, v16, 23, 1
; %bb.11243:                            ;   in Loop: Header=BB6_11223 Depth=3
	s_or_b32 exec_lo, exec_lo, s16
	v_lshrrev_b32_e32 v16, 21, v16
	v_cmp_gt_i32_e32 vcc_lo, 32, v7
	v_min_i32_e32 v17, 31, v7
	v_and_b32_sdwa v6, v6, v117 dst_sel:DWORD dst_unused:UNUSED_PAD src0_sel:BYTE_3 src1_sel:DWORD
	v_cndmask_b32_e32 v16, 3, v16, vcc_lo
	v_lshlrev_b32_e32 v17, 2, v17
	v_and_b32_e32 v21, 3, v16
	v_or_b32_e32 v7, v7, v16
	v_or3_b32 v6, v17, v6, v21
	v_cmp_ne_u32_e32 vcc_lo, 0, v7
	v_cndmask_b32_e32 v7, 0, v6, vcc_lo
.LBB6_11244:                            ;   in Loop: Header=BB6_11223 Depth=3
	s_or_b32 exec_lo, exec_lo, s23
.LBB6_11245:                            ;   in Loop: Header=BB6_11223 Depth=3
	s_or_b32 exec_lo, exec_lo, s19
	flat_load_ubyte v6, v[12:13] offset:32 slc
	s_mov_b32 s16, 0
	s_mov_b32 s19, exec_lo
	s_waitcnt vmcnt(0) lgkmcnt(0)
	v_cmpx_lt_i16_e32 0x7f, v6
	s_xor_b32 s19, exec_lo, s19
	s_cbranch_execz .LBB6_12319
; %bb.11246:                            ;   in Loop: Header=BB6_11223 Depth=3
	s_mov_b32 s16, -1
	s_mov_b32 s23, exec_lo
	v_cmpx_eq_u16_e32 0x80, v6
; %bb.11247:                            ;   in Loop: Header=BB6_11223 Depth=3
	s_xor_b32 s16, exec_lo, -1
; %bb.11248:                            ;   in Loop: Header=BB6_11223 Depth=3
	s_or_b32 exec_lo, exec_lo, s23
	s_and_b32 s16, s16, exec_lo
	s_or_saveexec_b32 s19, s19
	v_mov_b32_e32 v16, 0x7f800001
	s_xor_b32 exec_lo, exec_lo, s19
	s_cbranch_execnz .LBB6_12320
.LBB6_11249:                            ;   in Loop: Header=BB6_11223 Depth=3
	s_or_b32 exec_lo, exec_lo, s19
	s_and_saveexec_b32 s19, s16
	s_cbranch_execz .LBB6_11251
.LBB6_11250:                            ;   in Loop: Header=BB6_11223 Depth=3
	v_and_b32_e32 v16, 0xffff, v6
	v_lshlrev_b32_e32 v6, 24, v6
	v_and_b32_e32 v17, 3, v16
	v_bfe_u32 v23, v16, 2, 5
	v_and_b32_e32 v6, 0x80000000, v6
	v_ffbh_u32_e32 v21, v17
	v_cmp_eq_u32_e32 vcc_lo, 0, v23
	v_min_u32_e32 v21, 32, v21
	v_subrev_nc_u32_e32 v22, 29, v21
	v_sub_nc_u32_e32 v21, 30, v21
	v_lshlrev_b32_e32 v16, v22, v16
	v_cndmask_b32_e32 v21, v23, v21, vcc_lo
	v_and_b32_e32 v16, 3, v16
	v_cndmask_b32_e32 v16, v17, v16, vcc_lo
	v_lshl_add_u32 v17, v21, 23, 0x37800000
	v_lshlrev_b32_e32 v16, 21, v16
	v_or3_b32 v16, v6, v17, v16
.LBB6_11251:                            ;   in Loop: Header=BB6_11223 Depth=3
	s_or_b32 exec_lo, exec_lo, s19
	v_mul_f32_e32 v6, v0, v16
	v_mov_b32_e32 v24, 0x80
	s_mov_b32 s19, exec_lo
	v_and_b32_e32 v16, 0x7f800000, v6
	v_cmpx_ne_u32_e32 0x7f800000, v16
	s_cbranch_execz .LBB6_11259
; %bb.11252:                            ;   in Loop: Header=BB6_11223 Depth=3
	v_mov_b32_e32 v24, 0
	s_mov_b32 s23, exec_lo
	v_cmpx_ne_u32_e32 0, v6
	s_cbranch_execz .LBB6_11258
; %bb.11253:                            ;   in Loop: Header=BB6_11223 Depth=3
	v_bfe_u32 v16, v6, 23, 8
	v_and_b32_e32 v17, 0x7fffff, v6
	v_sub_nc_u32_e32 v21, 0x70, v16
	v_cmp_gt_u32_e32 vcc_lo, 0x71, v16
	v_or_b32_e32 v22, 0x800000, v17
	v_cndmask_b32_e32 v21, 0, v21, vcc_lo
	v_cmp_eq_u32_e32 vcc_lo, 0, v16
	v_add_nc_u32_e32 v16, 0xffffff91, v16
	v_cndmask_b32_e64 v21, v21, 0x6f, vcc_lo
	v_cndmask_b32_e32 v17, v22, v17, vcc_lo
	v_cndmask_b32_e64 v16, v16, 0xffffff92, vcc_lo
	v_lshl_add_u32 v22, 0x200000, v21, -1
	v_lshrrev_b32_e32 v23, v21, v17
	v_lshlrev_b32_e64 v25, v21, 0x100000
	v_add_nc_u32_e32 v21, v21, v16
	v_and_b32_e32 v17, v22, v17
	v_bfe_u32 v24, v23, 21, 1
	v_cmp_eq_u32_e64 s16, v17, v25
	v_add_nc_u32_e32 v22, -1, v24
	v_cndmask_b32_e64 v17, 0, v22, s16
	v_lshrrev_b32_e32 v22, 23, v23
	s_mov_b32 s16, exec_lo
	v_add_nc_u32_e32 v17, v17, v23
	v_xor_b32_e32 v22, 1, v22
	v_and_b32_e32 v16, 0x1fffff, v17
	v_add_nc_u32_e32 v17, v16, v23
                                        ; implicit-def: $vgpr16
	v_cmpx_ne_u32_e64 v21, v22
	s_xor_b32 s16, exec_lo, s16
; %bb.11254:                            ;   in Loop: Header=BB6_11223 Depth=3
	v_cmp_lt_u32_e32 vcc_lo, 0xffffff, v17
	v_sub_nc_u32_e32 v16, v21, v22
	v_cndmask_b32_e64 v21, 0, 1, vcc_lo
	v_add_co_ci_u32_e64 v16, null, 0, v16, vcc_lo
	v_lshrrev_b32_e32 v17, v21, v17
; %bb.11255:                            ;   in Loop: Header=BB6_11223 Depth=3
	s_andn2_saveexec_b32 s16, s16
; %bb.11256:                            ;   in Loop: Header=BB6_11223 Depth=3
	v_bfe_u32 v16, v17, 23, 1
; %bb.11257:                            ;   in Loop: Header=BB6_11223 Depth=3
	s_or_b32 exec_lo, exec_lo, s16
	v_lshrrev_b32_e32 v17, 21, v17
	v_cmp_gt_i32_e32 vcc_lo, 32, v16
	v_min_i32_e32 v21, 31, v16
	v_and_b32_sdwa v6, v6, v117 dst_sel:DWORD dst_unused:UNUSED_PAD src0_sel:BYTE_3 src1_sel:DWORD
	v_cndmask_b32_e32 v17, 3, v17, vcc_lo
	v_lshlrev_b32_e32 v21, 2, v21
	v_and_b32_e32 v22, 3, v17
	v_or_b32_e32 v16, v16, v17
	v_or3_b32 v6, v21, v6, v22
	v_cmp_ne_u32_e32 vcc_lo, 0, v16
	v_cndmask_b32_e32 v24, 0, v6, vcc_lo
.LBB6_11258:                            ;   in Loop: Header=BB6_11223 Depth=3
	s_or_b32 exec_lo, exec_lo, s23
.LBB6_11259:                            ;   in Loop: Header=BB6_11223 Depth=3
	s_or_b32 exec_lo, exec_lo, s19
	flat_load_ubyte v6, v[12:13] offset:64 slc
	s_mov_b32 s16, 0
	s_mov_b32 s19, exec_lo
	s_waitcnt vmcnt(0) lgkmcnt(0)
	v_cmpx_lt_i16_e32 0x7f, v6
	s_xor_b32 s19, exec_lo, s19
	s_cbranch_execz .LBB6_12321
; %bb.11260:                            ;   in Loop: Header=BB6_11223 Depth=3
	s_mov_b32 s16, -1
	s_mov_b32 s23, exec_lo
	v_cmpx_eq_u16_e32 0x80, v6
; %bb.11261:                            ;   in Loop: Header=BB6_11223 Depth=3
	s_xor_b32 s16, exec_lo, -1
; %bb.11262:                            ;   in Loop: Header=BB6_11223 Depth=3
	s_or_b32 exec_lo, exec_lo, s23
	s_and_b32 s16, s16, exec_lo
	s_or_saveexec_b32 s19, s19
	v_mov_b32_e32 v16, 0x7f800001
	s_xor_b32 exec_lo, exec_lo, s19
	s_cbranch_execnz .LBB6_12322
.LBB6_11263:                            ;   in Loop: Header=BB6_11223 Depth=3
	s_or_b32 exec_lo, exec_lo, s19
	s_and_saveexec_b32 s19, s16
	s_cbranch_execz .LBB6_11265
.LBB6_11264:                            ;   in Loop: Header=BB6_11223 Depth=3
	v_and_b32_e32 v16, 0xffff, v6
	v_lshlrev_b32_e32 v6, 24, v6
	v_and_b32_e32 v17, 3, v16
	v_bfe_u32 v23, v16, 2, 5
	v_and_b32_e32 v6, 0x80000000, v6
	v_ffbh_u32_e32 v21, v17
	v_cmp_eq_u32_e32 vcc_lo, 0, v23
	v_min_u32_e32 v21, 32, v21
	v_subrev_nc_u32_e32 v22, 29, v21
	v_sub_nc_u32_e32 v21, 30, v21
	v_lshlrev_b32_e32 v16, v22, v16
	v_cndmask_b32_e32 v21, v23, v21, vcc_lo
	v_and_b32_e32 v16, 3, v16
	v_cndmask_b32_e32 v16, v17, v16, vcc_lo
	v_lshl_add_u32 v17, v21, 23, 0x37800000
	v_lshlrev_b32_e32 v16, 21, v16
	v_or3_b32 v16, v6, v17, v16
.LBB6_11265:                            ;   in Loop: Header=BB6_11223 Depth=3
	s_or_b32 exec_lo, exec_lo, s19
	v_mul_f32_e32 v6, v0, v16
	v_mov_b32_e32 v28, 0x80
	s_mov_b32 s19, exec_lo
	v_and_b32_e32 v16, 0x7f800000, v6
	v_cmpx_ne_u32_e32 0x7f800000, v16
	s_cbranch_execz .LBB6_11273
; %bb.11266:                            ;   in Loop: Header=BB6_11223 Depth=3
	v_mov_b32_e32 v28, 0
	s_mov_b32 s23, exec_lo
	v_cmpx_ne_u32_e32 0, v6
	s_cbranch_execz .LBB6_11272
; %bb.11267:                            ;   in Loop: Header=BB6_11223 Depth=3
	v_bfe_u32 v16, v6, 23, 8
	v_and_b32_e32 v17, 0x7fffff, v6
	v_sub_nc_u32_e32 v21, 0x70, v16
	v_cmp_gt_u32_e32 vcc_lo, 0x71, v16
	v_or_b32_e32 v22, 0x800000, v17
	v_cndmask_b32_e32 v21, 0, v21, vcc_lo
	v_cmp_eq_u32_e32 vcc_lo, 0, v16
	v_add_nc_u32_e32 v16, 0xffffff91, v16
	v_cndmask_b32_e64 v21, v21, 0x6f, vcc_lo
	v_cndmask_b32_e32 v17, v22, v17, vcc_lo
	v_cndmask_b32_e64 v16, v16, 0xffffff92, vcc_lo
	v_lshl_add_u32 v22, 0x200000, v21, -1
	v_lshrrev_b32_e32 v23, v21, v17
	v_lshlrev_b32_e64 v26, v21, 0x100000
	v_add_nc_u32_e32 v21, v21, v16
	v_and_b32_e32 v17, v22, v17
	v_bfe_u32 v25, v23, 21, 1
	v_cmp_eq_u32_e64 s16, v17, v26
	v_add_nc_u32_e32 v22, -1, v25
	v_cndmask_b32_e64 v17, 0, v22, s16
	v_lshrrev_b32_e32 v22, 23, v23
	s_mov_b32 s16, exec_lo
	v_add_nc_u32_e32 v17, v17, v23
	v_xor_b32_e32 v22, 1, v22
	v_and_b32_e32 v16, 0x1fffff, v17
	v_add_nc_u32_e32 v17, v16, v23
                                        ; implicit-def: $vgpr16
	v_cmpx_ne_u32_e64 v21, v22
	s_xor_b32 s16, exec_lo, s16
; %bb.11268:                            ;   in Loop: Header=BB6_11223 Depth=3
	v_cmp_lt_u32_e32 vcc_lo, 0xffffff, v17
	v_sub_nc_u32_e32 v16, v21, v22
	v_cndmask_b32_e64 v21, 0, 1, vcc_lo
	v_add_co_ci_u32_e64 v16, null, 0, v16, vcc_lo
	v_lshrrev_b32_e32 v17, v21, v17
; %bb.11269:                            ;   in Loop: Header=BB6_11223 Depth=3
	s_andn2_saveexec_b32 s16, s16
; %bb.11270:                            ;   in Loop: Header=BB6_11223 Depth=3
	v_bfe_u32 v16, v17, 23, 1
; %bb.11271:                            ;   in Loop: Header=BB6_11223 Depth=3
	s_or_b32 exec_lo, exec_lo, s16
	v_lshrrev_b32_e32 v17, 21, v17
	v_cmp_gt_i32_e32 vcc_lo, 32, v16
	v_min_i32_e32 v21, 31, v16
	v_and_b32_sdwa v6, v6, v117 dst_sel:DWORD dst_unused:UNUSED_PAD src0_sel:BYTE_3 src1_sel:DWORD
	v_cndmask_b32_e32 v17, 3, v17, vcc_lo
	v_lshlrev_b32_e32 v21, 2, v21
	v_and_b32_e32 v22, 3, v17
	v_or_b32_e32 v16, v16, v17
	v_or3_b32 v6, v21, v6, v22
	v_cmp_ne_u32_e32 vcc_lo, 0, v16
	v_cndmask_b32_e32 v28, 0, v6, vcc_lo
.LBB6_11272:                            ;   in Loop: Header=BB6_11223 Depth=3
	s_or_b32 exec_lo, exec_lo, s23
.LBB6_11273:                            ;   in Loop: Header=BB6_11223 Depth=3
	s_or_b32 exec_lo, exec_lo, s19
	flat_load_ubyte v6, v[12:13] offset:96 slc
	s_mov_b32 s16, 0
	s_mov_b32 s19, exec_lo
	s_waitcnt vmcnt(0) lgkmcnt(0)
	v_cmpx_lt_i16_e32 0x7f, v6
	s_xor_b32 s19, exec_lo, s19
	s_cbranch_execz .LBB6_12323
; %bb.11274:                            ;   in Loop: Header=BB6_11223 Depth=3
	s_mov_b32 s16, -1
	s_mov_b32 s23, exec_lo
	v_cmpx_eq_u16_e32 0x80, v6
; %bb.11275:                            ;   in Loop: Header=BB6_11223 Depth=3
	s_xor_b32 s16, exec_lo, -1
; %bb.11276:                            ;   in Loop: Header=BB6_11223 Depth=3
	s_or_b32 exec_lo, exec_lo, s23
	s_and_b32 s16, s16, exec_lo
	s_or_saveexec_b32 s19, s19
	v_mov_b32_e32 v16, 0x7f800001
	s_xor_b32 exec_lo, exec_lo, s19
	s_cbranch_execnz .LBB6_12324
.LBB6_11277:                            ;   in Loop: Header=BB6_11223 Depth=3
	s_or_b32 exec_lo, exec_lo, s19
	s_and_saveexec_b32 s19, s16
	s_cbranch_execz .LBB6_11279
.LBB6_11278:                            ;   in Loop: Header=BB6_11223 Depth=3
	v_and_b32_e32 v16, 0xffff, v6
	v_lshlrev_b32_e32 v6, 24, v6
	v_and_b32_e32 v17, 3, v16
	v_bfe_u32 v23, v16, 2, 5
	v_and_b32_e32 v6, 0x80000000, v6
	v_ffbh_u32_e32 v21, v17
	v_cmp_eq_u32_e32 vcc_lo, 0, v23
	v_min_u32_e32 v21, 32, v21
	v_subrev_nc_u32_e32 v22, 29, v21
	v_sub_nc_u32_e32 v21, 30, v21
	v_lshlrev_b32_e32 v16, v22, v16
	v_cndmask_b32_e32 v21, v23, v21, vcc_lo
	v_and_b32_e32 v16, 3, v16
	v_cndmask_b32_e32 v16, v17, v16, vcc_lo
	v_lshl_add_u32 v17, v21, 23, 0x37800000
	v_lshlrev_b32_e32 v16, 21, v16
	v_or3_b32 v16, v6, v17, v16
.LBB6_11279:                            ;   in Loop: Header=BB6_11223 Depth=3
	s_or_b32 exec_lo, exec_lo, s19
	v_mul_f32_e32 v6, v0, v16
	v_mov_b32_e32 v37, 0x80
	s_mov_b32 s19, exec_lo
	v_and_b32_e32 v16, 0x7f800000, v6
	v_cmpx_ne_u32_e32 0x7f800000, v16
	s_cbranch_execz .LBB6_11287
; %bb.11280:                            ;   in Loop: Header=BB6_11223 Depth=3
	v_mov_b32_e32 v37, 0
	s_mov_b32 s23, exec_lo
	v_cmpx_ne_u32_e32 0, v6
	s_cbranch_execz .LBB6_11286
; %bb.11281:                            ;   in Loop: Header=BB6_11223 Depth=3
	v_bfe_u32 v16, v6, 23, 8
	v_and_b32_e32 v17, 0x7fffff, v6
	v_sub_nc_u32_e32 v21, 0x70, v16
	v_cmp_gt_u32_e32 vcc_lo, 0x71, v16
	v_or_b32_e32 v22, 0x800000, v17
	v_cndmask_b32_e32 v21, 0, v21, vcc_lo
	v_cmp_eq_u32_e32 vcc_lo, 0, v16
	v_add_nc_u32_e32 v16, 0xffffff91, v16
	v_cndmask_b32_e64 v21, v21, 0x6f, vcc_lo
	v_cndmask_b32_e32 v17, v22, v17, vcc_lo
	v_cndmask_b32_e64 v16, v16, 0xffffff92, vcc_lo
	v_lshl_add_u32 v22, 0x200000, v21, -1
	v_lshrrev_b32_e32 v23, v21, v17
	v_lshlrev_b32_e64 v26, v21, 0x100000
	v_add_nc_u32_e32 v21, v21, v16
	v_and_b32_e32 v17, v22, v17
	v_bfe_u32 v25, v23, 21, 1
	v_cmp_eq_u32_e64 s16, v17, v26
	v_add_nc_u32_e32 v22, -1, v25
	v_cndmask_b32_e64 v17, 0, v22, s16
	v_lshrrev_b32_e32 v22, 23, v23
	s_mov_b32 s16, exec_lo
	v_add_nc_u32_e32 v17, v17, v23
	v_xor_b32_e32 v22, 1, v22
	v_and_b32_e32 v16, 0x1fffff, v17
	v_add_nc_u32_e32 v17, v16, v23
                                        ; implicit-def: $vgpr16
	v_cmpx_ne_u32_e64 v21, v22
	s_xor_b32 s16, exec_lo, s16
; %bb.11282:                            ;   in Loop: Header=BB6_11223 Depth=3
	v_cmp_lt_u32_e32 vcc_lo, 0xffffff, v17
	v_sub_nc_u32_e32 v16, v21, v22
	v_cndmask_b32_e64 v21, 0, 1, vcc_lo
	v_add_co_ci_u32_e64 v16, null, 0, v16, vcc_lo
	v_lshrrev_b32_e32 v17, v21, v17
; %bb.11283:                            ;   in Loop: Header=BB6_11223 Depth=3
	s_andn2_saveexec_b32 s16, s16
; %bb.11284:                            ;   in Loop: Header=BB6_11223 Depth=3
	v_bfe_u32 v16, v17, 23, 1
; %bb.11285:                            ;   in Loop: Header=BB6_11223 Depth=3
	s_or_b32 exec_lo, exec_lo, s16
	v_lshrrev_b32_e32 v17, 21, v17
	v_cmp_gt_i32_e32 vcc_lo, 32, v16
	v_min_i32_e32 v21, 31, v16
	v_and_b32_sdwa v6, v6, v117 dst_sel:DWORD dst_unused:UNUSED_PAD src0_sel:BYTE_3 src1_sel:DWORD
	v_cndmask_b32_e32 v17, 3, v17, vcc_lo
	v_lshlrev_b32_e32 v21, 2, v21
	v_and_b32_e32 v22, 3, v17
	v_or_b32_e32 v16, v16, v17
	v_or3_b32 v6, v21, v6, v22
	v_cmp_ne_u32_e32 vcc_lo, 0, v16
	v_cndmask_b32_e32 v37, 0, v6, vcc_lo
.LBB6_11286:                            ;   in Loop: Header=BB6_11223 Depth=3
	s_or_b32 exec_lo, exec_lo, s23
.LBB6_11287:                            ;   in Loop: Header=BB6_11223 Depth=3
	s_or_b32 exec_lo, exec_lo, s19
	flat_load_ubyte v6, v[12:13] offset:128 slc
	s_mov_b32 s16, 0
	s_mov_b32 s19, exec_lo
	s_waitcnt vmcnt(0) lgkmcnt(0)
	v_cmpx_lt_i16_e32 0x7f, v6
	s_xor_b32 s19, exec_lo, s19
	s_cbranch_execz .LBB6_12325
; %bb.11288:                            ;   in Loop: Header=BB6_11223 Depth=3
	s_mov_b32 s16, -1
	s_mov_b32 s23, exec_lo
	v_cmpx_eq_u16_e32 0x80, v6
; %bb.11289:                            ;   in Loop: Header=BB6_11223 Depth=3
	s_xor_b32 s16, exec_lo, -1
; %bb.11290:                            ;   in Loop: Header=BB6_11223 Depth=3
	s_or_b32 exec_lo, exec_lo, s23
	s_and_b32 s16, s16, exec_lo
	s_or_saveexec_b32 s19, s19
	v_mov_b32_e32 v16, 0x7f800001
	s_xor_b32 exec_lo, exec_lo, s19
	s_cbranch_execnz .LBB6_12326
.LBB6_11291:                            ;   in Loop: Header=BB6_11223 Depth=3
	s_or_b32 exec_lo, exec_lo, s19
	s_and_saveexec_b32 s19, s16
	s_cbranch_execz .LBB6_11293
.LBB6_11292:                            ;   in Loop: Header=BB6_11223 Depth=3
	v_and_b32_e32 v16, 0xffff, v6
	v_lshlrev_b32_e32 v6, 24, v6
	v_and_b32_e32 v17, 3, v16
	v_bfe_u32 v23, v16, 2, 5
	v_and_b32_e32 v6, 0x80000000, v6
	v_ffbh_u32_e32 v21, v17
	v_cmp_eq_u32_e32 vcc_lo, 0, v23
	v_min_u32_e32 v21, 32, v21
	v_subrev_nc_u32_e32 v22, 29, v21
	v_sub_nc_u32_e32 v21, 30, v21
	v_lshlrev_b32_e32 v16, v22, v16
	v_cndmask_b32_e32 v21, v23, v21, vcc_lo
	v_and_b32_e32 v16, 3, v16
	v_cndmask_b32_e32 v16, v17, v16, vcc_lo
	v_lshl_add_u32 v17, v21, 23, 0x37800000
	v_lshlrev_b32_e32 v16, 21, v16
	v_or3_b32 v16, v6, v17, v16
.LBB6_11293:                            ;   in Loop: Header=BB6_11223 Depth=3
	s_or_b32 exec_lo, exec_lo, s19
	v_mul_f32_e32 v6, v0, v16
	v_mov_b32_e32 v53, 0x80
	s_mov_b32 s19, exec_lo
	v_and_b32_e32 v16, 0x7f800000, v6
	v_cmpx_ne_u32_e32 0x7f800000, v16
	s_cbranch_execz .LBB6_11301
; %bb.11294:                            ;   in Loop: Header=BB6_11223 Depth=3
	v_mov_b32_e32 v53, 0
	s_mov_b32 s23, exec_lo
	v_cmpx_ne_u32_e32 0, v6
	s_cbranch_execz .LBB6_11300
; %bb.11295:                            ;   in Loop: Header=BB6_11223 Depth=3
	v_bfe_u32 v16, v6, 23, 8
	v_and_b32_e32 v17, 0x7fffff, v6
	v_sub_nc_u32_e32 v21, 0x70, v16
	v_cmp_gt_u32_e32 vcc_lo, 0x71, v16
	v_or_b32_e32 v22, 0x800000, v17
	v_cndmask_b32_e32 v21, 0, v21, vcc_lo
	v_cmp_eq_u32_e32 vcc_lo, 0, v16
	v_add_nc_u32_e32 v16, 0xffffff91, v16
	v_cndmask_b32_e64 v21, v21, 0x6f, vcc_lo
	v_cndmask_b32_e32 v17, v22, v17, vcc_lo
	v_cndmask_b32_e64 v16, v16, 0xffffff92, vcc_lo
	v_lshl_add_u32 v22, 0x200000, v21, -1
	v_lshrrev_b32_e32 v23, v21, v17
	v_lshlrev_b32_e64 v26, v21, 0x100000
	v_add_nc_u32_e32 v21, v21, v16
	v_and_b32_e32 v17, v22, v17
	v_bfe_u32 v25, v23, 21, 1
	v_cmp_eq_u32_e64 s16, v17, v26
	v_add_nc_u32_e32 v22, -1, v25
	v_cndmask_b32_e64 v17, 0, v22, s16
	v_lshrrev_b32_e32 v22, 23, v23
	s_mov_b32 s16, exec_lo
	v_add_nc_u32_e32 v17, v17, v23
	v_xor_b32_e32 v22, 1, v22
	v_and_b32_e32 v16, 0x1fffff, v17
	v_add_nc_u32_e32 v17, v16, v23
                                        ; implicit-def: $vgpr16
	v_cmpx_ne_u32_e64 v21, v22
	s_xor_b32 s16, exec_lo, s16
; %bb.11296:                            ;   in Loop: Header=BB6_11223 Depth=3
	v_cmp_lt_u32_e32 vcc_lo, 0xffffff, v17
	v_sub_nc_u32_e32 v16, v21, v22
	v_cndmask_b32_e64 v21, 0, 1, vcc_lo
	v_add_co_ci_u32_e64 v16, null, 0, v16, vcc_lo
	v_lshrrev_b32_e32 v17, v21, v17
; %bb.11297:                            ;   in Loop: Header=BB6_11223 Depth=3
	s_andn2_saveexec_b32 s16, s16
; %bb.11298:                            ;   in Loop: Header=BB6_11223 Depth=3
	v_bfe_u32 v16, v17, 23, 1
; %bb.11299:                            ;   in Loop: Header=BB6_11223 Depth=3
	s_or_b32 exec_lo, exec_lo, s16
	v_lshrrev_b32_e32 v17, 21, v17
	v_cmp_gt_i32_e32 vcc_lo, 32, v16
	v_min_i32_e32 v21, 31, v16
	v_and_b32_sdwa v6, v6, v117 dst_sel:DWORD dst_unused:UNUSED_PAD src0_sel:BYTE_3 src1_sel:DWORD
	v_cndmask_b32_e32 v17, 3, v17, vcc_lo
	v_lshlrev_b32_e32 v21, 2, v21
	v_and_b32_e32 v22, 3, v17
	v_or_b32_e32 v16, v16, v17
	v_or3_b32 v6, v21, v6, v22
	v_cmp_ne_u32_e32 vcc_lo, 0, v16
	v_cndmask_b32_e32 v53, 0, v6, vcc_lo
.LBB6_11300:                            ;   in Loop: Header=BB6_11223 Depth=3
	s_or_b32 exec_lo, exec_lo, s23
.LBB6_11301:                            ;   in Loop: Header=BB6_11223 Depth=3
	s_or_b32 exec_lo, exec_lo, s19
	flat_load_ubyte v6, v[12:13] offset:160 slc
	s_mov_b32 s16, 0
	s_mov_b32 s19, exec_lo
	s_waitcnt vmcnt(0) lgkmcnt(0)
	v_cmpx_lt_i16_e32 0x7f, v6
	s_xor_b32 s19, exec_lo, s19
	s_cbranch_execz .LBB6_12327
; %bb.11302:                            ;   in Loop: Header=BB6_11223 Depth=3
	s_mov_b32 s16, -1
	s_mov_b32 s23, exec_lo
	v_cmpx_eq_u16_e32 0x80, v6
; %bb.11303:                            ;   in Loop: Header=BB6_11223 Depth=3
	s_xor_b32 s16, exec_lo, -1
; %bb.11304:                            ;   in Loop: Header=BB6_11223 Depth=3
	s_or_b32 exec_lo, exec_lo, s23
	s_and_b32 s16, s16, exec_lo
	s_or_saveexec_b32 s19, s19
	v_mov_b32_e32 v16, 0x7f800001
	s_xor_b32 exec_lo, exec_lo, s19
	s_cbranch_execnz .LBB6_12328
.LBB6_11305:                            ;   in Loop: Header=BB6_11223 Depth=3
	s_or_b32 exec_lo, exec_lo, s19
	s_and_saveexec_b32 s19, s16
	s_cbranch_execz .LBB6_11307
.LBB6_11306:                            ;   in Loop: Header=BB6_11223 Depth=3
	v_and_b32_e32 v16, 0xffff, v6
	v_lshlrev_b32_e32 v6, 24, v6
	v_and_b32_e32 v17, 3, v16
	v_bfe_u32 v23, v16, 2, 5
	v_and_b32_e32 v6, 0x80000000, v6
	v_ffbh_u32_e32 v21, v17
	v_cmp_eq_u32_e32 vcc_lo, 0, v23
	v_min_u32_e32 v21, 32, v21
	v_subrev_nc_u32_e32 v22, 29, v21
	v_sub_nc_u32_e32 v21, 30, v21
	v_lshlrev_b32_e32 v16, v22, v16
	v_cndmask_b32_e32 v21, v23, v21, vcc_lo
	v_and_b32_e32 v16, 3, v16
	v_cndmask_b32_e32 v16, v17, v16, vcc_lo
	v_lshl_add_u32 v17, v21, 23, 0x37800000
	v_lshlrev_b32_e32 v16, 21, v16
	v_or3_b32 v16, v6, v17, v16
.LBB6_11307:                            ;   in Loop: Header=BB6_11223 Depth=3
	s_or_b32 exec_lo, exec_lo, s19
	v_mul_f32_e32 v6, v0, v16
	v_mov_b32_e32 v67, 0x80
	s_mov_b32 s19, exec_lo
	v_and_b32_e32 v16, 0x7f800000, v6
	v_cmpx_ne_u32_e32 0x7f800000, v16
	s_cbranch_execz .LBB6_11315
; %bb.11308:                            ;   in Loop: Header=BB6_11223 Depth=3
	v_mov_b32_e32 v67, 0
	s_mov_b32 s23, exec_lo
	v_cmpx_ne_u32_e32 0, v6
	s_cbranch_execz .LBB6_11314
; %bb.11309:                            ;   in Loop: Header=BB6_11223 Depth=3
	v_bfe_u32 v16, v6, 23, 8
	v_and_b32_e32 v17, 0x7fffff, v6
	v_sub_nc_u32_e32 v21, 0x70, v16
	v_cmp_gt_u32_e32 vcc_lo, 0x71, v16
	v_or_b32_e32 v22, 0x800000, v17
	v_cndmask_b32_e32 v21, 0, v21, vcc_lo
	v_cmp_eq_u32_e32 vcc_lo, 0, v16
	v_add_nc_u32_e32 v16, 0xffffff91, v16
	v_cndmask_b32_e64 v21, v21, 0x6f, vcc_lo
	v_cndmask_b32_e32 v17, v22, v17, vcc_lo
	v_cndmask_b32_e64 v16, v16, 0xffffff92, vcc_lo
	v_lshl_add_u32 v22, 0x200000, v21, -1
	v_lshrrev_b32_e32 v23, v21, v17
	v_lshlrev_b32_e64 v26, v21, 0x100000
	v_add_nc_u32_e32 v21, v21, v16
	v_and_b32_e32 v17, v22, v17
	v_bfe_u32 v25, v23, 21, 1
	v_cmp_eq_u32_e64 s16, v17, v26
	v_add_nc_u32_e32 v22, -1, v25
	v_cndmask_b32_e64 v17, 0, v22, s16
	v_lshrrev_b32_e32 v22, 23, v23
	s_mov_b32 s16, exec_lo
	v_add_nc_u32_e32 v17, v17, v23
	v_xor_b32_e32 v22, 1, v22
	v_and_b32_e32 v16, 0x1fffff, v17
	v_add_nc_u32_e32 v17, v16, v23
                                        ; implicit-def: $vgpr16
	v_cmpx_ne_u32_e64 v21, v22
	s_xor_b32 s16, exec_lo, s16
; %bb.11310:                            ;   in Loop: Header=BB6_11223 Depth=3
	v_cmp_lt_u32_e32 vcc_lo, 0xffffff, v17
	v_sub_nc_u32_e32 v16, v21, v22
	v_cndmask_b32_e64 v21, 0, 1, vcc_lo
	v_add_co_ci_u32_e64 v16, null, 0, v16, vcc_lo
	v_lshrrev_b32_e32 v17, v21, v17
; %bb.11311:                            ;   in Loop: Header=BB6_11223 Depth=3
	s_andn2_saveexec_b32 s16, s16
; %bb.11312:                            ;   in Loop: Header=BB6_11223 Depth=3
	v_bfe_u32 v16, v17, 23, 1
; %bb.11313:                            ;   in Loop: Header=BB6_11223 Depth=3
	s_or_b32 exec_lo, exec_lo, s16
	v_lshrrev_b32_e32 v17, 21, v17
	v_cmp_gt_i32_e32 vcc_lo, 32, v16
	v_min_i32_e32 v21, 31, v16
	v_and_b32_sdwa v6, v6, v117 dst_sel:DWORD dst_unused:UNUSED_PAD src0_sel:BYTE_3 src1_sel:DWORD
	v_cndmask_b32_e32 v17, 3, v17, vcc_lo
	v_lshlrev_b32_e32 v21, 2, v21
	v_and_b32_e32 v22, 3, v17
	v_or_b32_e32 v16, v16, v17
	v_or3_b32 v6, v21, v6, v22
	v_cmp_ne_u32_e32 vcc_lo, 0, v16
	v_cndmask_b32_e32 v67, 0, v6, vcc_lo
.LBB6_11314:                            ;   in Loop: Header=BB6_11223 Depth=3
	s_or_b32 exec_lo, exec_lo, s23
.LBB6_11315:                            ;   in Loop: Header=BB6_11223 Depth=3
	s_or_b32 exec_lo, exec_lo, s19
	flat_load_ubyte v6, v[12:13] offset:192 slc
	s_mov_b32 s16, 0
	s_mov_b32 s19, exec_lo
	s_waitcnt vmcnt(0) lgkmcnt(0)
	v_cmpx_lt_i16_e32 0x7f, v6
	s_xor_b32 s19, exec_lo, s19
	s_cbranch_execz .LBB6_12329
; %bb.11316:                            ;   in Loop: Header=BB6_11223 Depth=3
	s_mov_b32 s16, -1
	s_mov_b32 s23, exec_lo
	v_cmpx_eq_u16_e32 0x80, v6
; %bb.11317:                            ;   in Loop: Header=BB6_11223 Depth=3
	s_xor_b32 s16, exec_lo, -1
; %bb.11318:                            ;   in Loop: Header=BB6_11223 Depth=3
	s_or_b32 exec_lo, exec_lo, s23
	s_and_b32 s16, s16, exec_lo
	s_or_saveexec_b32 s19, s19
	v_mov_b32_e32 v16, 0x7f800001
	s_xor_b32 exec_lo, exec_lo, s19
	s_cbranch_execnz .LBB6_12330
.LBB6_11319:                            ;   in Loop: Header=BB6_11223 Depth=3
	s_or_b32 exec_lo, exec_lo, s19
	s_and_saveexec_b32 s19, s16
	s_cbranch_execz .LBB6_11321
.LBB6_11320:                            ;   in Loop: Header=BB6_11223 Depth=3
	v_and_b32_e32 v16, 0xffff, v6
	v_lshlrev_b32_e32 v6, 24, v6
	v_and_b32_e32 v17, 3, v16
	v_bfe_u32 v23, v16, 2, 5
	v_and_b32_e32 v6, 0x80000000, v6
	v_ffbh_u32_e32 v21, v17
	v_cmp_eq_u32_e32 vcc_lo, 0, v23
	v_min_u32_e32 v21, 32, v21
	v_subrev_nc_u32_e32 v22, 29, v21
	v_sub_nc_u32_e32 v21, 30, v21
	v_lshlrev_b32_e32 v16, v22, v16
	v_cndmask_b32_e32 v21, v23, v21, vcc_lo
	v_and_b32_e32 v16, 3, v16
	v_cndmask_b32_e32 v16, v17, v16, vcc_lo
	v_lshl_add_u32 v17, v21, 23, 0x37800000
	v_lshlrev_b32_e32 v16, 21, v16
	v_or3_b32 v16, v6, v17, v16
.LBB6_11321:                            ;   in Loop: Header=BB6_11223 Depth=3
	s_or_b32 exec_lo, exec_lo, s19
	v_mul_f32_e32 v6, v0, v16
	v_mov_b32_e32 v83, 0x80
	s_mov_b32 s19, exec_lo
	v_and_b32_e32 v16, 0x7f800000, v6
	v_cmpx_ne_u32_e32 0x7f800000, v16
	s_cbranch_execz .LBB6_11329
; %bb.11322:                            ;   in Loop: Header=BB6_11223 Depth=3
	v_mov_b32_e32 v83, 0
	s_mov_b32 s23, exec_lo
	v_cmpx_ne_u32_e32 0, v6
	s_cbranch_execz .LBB6_11328
; %bb.11323:                            ;   in Loop: Header=BB6_11223 Depth=3
	v_bfe_u32 v16, v6, 23, 8
	v_and_b32_e32 v17, 0x7fffff, v6
	v_sub_nc_u32_e32 v21, 0x70, v16
	v_cmp_gt_u32_e32 vcc_lo, 0x71, v16
	v_or_b32_e32 v22, 0x800000, v17
	v_cndmask_b32_e32 v21, 0, v21, vcc_lo
	v_cmp_eq_u32_e32 vcc_lo, 0, v16
	v_add_nc_u32_e32 v16, 0xffffff91, v16
	v_cndmask_b32_e64 v21, v21, 0x6f, vcc_lo
	v_cndmask_b32_e32 v17, v22, v17, vcc_lo
	v_cndmask_b32_e64 v16, v16, 0xffffff92, vcc_lo
	v_lshl_add_u32 v22, 0x200000, v21, -1
	v_lshrrev_b32_e32 v23, v21, v17
	v_lshlrev_b32_e64 v26, v21, 0x100000
	v_add_nc_u32_e32 v21, v21, v16
	v_and_b32_e32 v17, v22, v17
	v_bfe_u32 v25, v23, 21, 1
	v_cmp_eq_u32_e64 s16, v17, v26
	v_add_nc_u32_e32 v22, -1, v25
	v_cndmask_b32_e64 v17, 0, v22, s16
	v_lshrrev_b32_e32 v22, 23, v23
	s_mov_b32 s16, exec_lo
	v_add_nc_u32_e32 v17, v17, v23
	v_xor_b32_e32 v22, 1, v22
	v_and_b32_e32 v16, 0x1fffff, v17
	v_add_nc_u32_e32 v17, v16, v23
                                        ; implicit-def: $vgpr16
	v_cmpx_ne_u32_e64 v21, v22
	s_xor_b32 s16, exec_lo, s16
; %bb.11324:                            ;   in Loop: Header=BB6_11223 Depth=3
	v_cmp_lt_u32_e32 vcc_lo, 0xffffff, v17
	v_sub_nc_u32_e32 v16, v21, v22
	v_cndmask_b32_e64 v21, 0, 1, vcc_lo
	v_add_co_ci_u32_e64 v16, null, 0, v16, vcc_lo
	v_lshrrev_b32_e32 v17, v21, v17
; %bb.11325:                            ;   in Loop: Header=BB6_11223 Depth=3
	s_andn2_saveexec_b32 s16, s16
; %bb.11326:                            ;   in Loop: Header=BB6_11223 Depth=3
	v_bfe_u32 v16, v17, 23, 1
; %bb.11327:                            ;   in Loop: Header=BB6_11223 Depth=3
	s_or_b32 exec_lo, exec_lo, s16
	v_lshrrev_b32_e32 v17, 21, v17
	v_cmp_gt_i32_e32 vcc_lo, 32, v16
	v_min_i32_e32 v21, 31, v16
	v_and_b32_sdwa v6, v6, v117 dst_sel:DWORD dst_unused:UNUSED_PAD src0_sel:BYTE_3 src1_sel:DWORD
	v_cndmask_b32_e32 v17, 3, v17, vcc_lo
	v_lshlrev_b32_e32 v21, 2, v21
	v_and_b32_e32 v22, 3, v17
	v_or_b32_e32 v16, v16, v17
	v_or3_b32 v6, v21, v6, v22
	v_cmp_ne_u32_e32 vcc_lo, 0, v16
	v_cndmask_b32_e32 v83, 0, v6, vcc_lo
.LBB6_11328:                            ;   in Loop: Header=BB6_11223 Depth=3
	s_or_b32 exec_lo, exec_lo, s23
.LBB6_11329:                            ;   in Loop: Header=BB6_11223 Depth=3
	s_or_b32 exec_lo, exec_lo, s19
	flat_load_ubyte v6, v[12:13] offset:224 slc
	s_mov_b32 s16, 0
	s_mov_b32 s19, exec_lo
	s_waitcnt vmcnt(0) lgkmcnt(0)
	v_cmpx_lt_i16_e32 0x7f, v6
	s_xor_b32 s19, exec_lo, s19
	s_cbranch_execz .LBB6_12331
; %bb.11330:                            ;   in Loop: Header=BB6_11223 Depth=3
	s_mov_b32 s16, -1
	s_mov_b32 s23, exec_lo
	v_cmpx_eq_u16_e32 0x80, v6
; %bb.11331:                            ;   in Loop: Header=BB6_11223 Depth=3
	s_xor_b32 s16, exec_lo, -1
; %bb.11332:                            ;   in Loop: Header=BB6_11223 Depth=3
	s_or_b32 exec_lo, exec_lo, s23
	s_and_b32 s16, s16, exec_lo
	s_or_saveexec_b32 s19, s19
	v_mov_b32_e32 v16, 0x7f800001
	s_xor_b32 exec_lo, exec_lo, s19
	s_cbranch_execnz .LBB6_12332
.LBB6_11333:                            ;   in Loop: Header=BB6_11223 Depth=3
	s_or_b32 exec_lo, exec_lo, s19
	s_and_saveexec_b32 s19, s16
	s_cbranch_execz .LBB6_11335
.LBB6_11334:                            ;   in Loop: Header=BB6_11223 Depth=3
	v_and_b32_e32 v16, 0xffff, v6
	v_lshlrev_b32_e32 v6, 24, v6
	v_and_b32_e32 v17, 3, v16
	v_bfe_u32 v23, v16, 2, 5
	v_and_b32_e32 v6, 0x80000000, v6
	v_ffbh_u32_e32 v21, v17
	v_cmp_eq_u32_e32 vcc_lo, 0, v23
	v_min_u32_e32 v21, 32, v21
	v_subrev_nc_u32_e32 v22, 29, v21
	v_sub_nc_u32_e32 v21, 30, v21
	v_lshlrev_b32_e32 v16, v22, v16
	v_cndmask_b32_e32 v21, v23, v21, vcc_lo
	v_and_b32_e32 v16, 3, v16
	v_cndmask_b32_e32 v16, v17, v16, vcc_lo
	v_lshl_add_u32 v17, v21, 23, 0x37800000
	v_lshlrev_b32_e32 v16, 21, v16
	v_or3_b32 v16, v6, v17, v16
.LBB6_11335:                            ;   in Loop: Header=BB6_11223 Depth=3
	s_or_b32 exec_lo, exec_lo, s19
	v_mul_f32_e32 v6, v0, v16
	v_mov_b32_e32 v87, 0x80
	s_mov_b32 s19, exec_lo
	v_and_b32_e32 v16, 0x7f800000, v6
	v_cmpx_ne_u32_e32 0x7f800000, v16
	s_cbranch_execz .LBB6_11343
; %bb.11336:                            ;   in Loop: Header=BB6_11223 Depth=3
	v_mov_b32_e32 v87, 0
	s_mov_b32 s23, exec_lo
	v_cmpx_ne_u32_e32 0, v6
	s_cbranch_execz .LBB6_11342
; %bb.11337:                            ;   in Loop: Header=BB6_11223 Depth=3
	v_bfe_u32 v16, v6, 23, 8
	v_and_b32_e32 v17, 0x7fffff, v6
	v_sub_nc_u32_e32 v21, 0x70, v16
	v_cmp_gt_u32_e32 vcc_lo, 0x71, v16
	v_or_b32_e32 v22, 0x800000, v17
	v_cndmask_b32_e32 v21, 0, v21, vcc_lo
	v_cmp_eq_u32_e32 vcc_lo, 0, v16
	v_add_nc_u32_e32 v16, 0xffffff91, v16
	v_cndmask_b32_e64 v21, v21, 0x6f, vcc_lo
	v_cndmask_b32_e32 v17, v22, v17, vcc_lo
	v_cndmask_b32_e64 v16, v16, 0xffffff92, vcc_lo
	v_lshl_add_u32 v22, 0x200000, v21, -1
	v_lshrrev_b32_e32 v23, v21, v17
	v_lshlrev_b32_e64 v26, v21, 0x100000
	v_add_nc_u32_e32 v21, v21, v16
	v_and_b32_e32 v17, v22, v17
	v_bfe_u32 v25, v23, 21, 1
	v_cmp_eq_u32_e64 s16, v17, v26
	v_add_nc_u32_e32 v22, -1, v25
	v_cndmask_b32_e64 v17, 0, v22, s16
	v_lshrrev_b32_e32 v22, 23, v23
	s_mov_b32 s16, exec_lo
	v_add_nc_u32_e32 v17, v17, v23
	v_xor_b32_e32 v22, 1, v22
	v_and_b32_e32 v16, 0x1fffff, v17
	v_add_nc_u32_e32 v17, v16, v23
                                        ; implicit-def: $vgpr16
	v_cmpx_ne_u32_e64 v21, v22
	s_xor_b32 s16, exec_lo, s16
; %bb.11338:                            ;   in Loop: Header=BB6_11223 Depth=3
	v_cmp_lt_u32_e32 vcc_lo, 0xffffff, v17
	v_sub_nc_u32_e32 v16, v21, v22
	v_cndmask_b32_e64 v21, 0, 1, vcc_lo
	v_add_co_ci_u32_e64 v16, null, 0, v16, vcc_lo
	v_lshrrev_b32_e32 v17, v21, v17
; %bb.11339:                            ;   in Loop: Header=BB6_11223 Depth=3
	s_andn2_saveexec_b32 s16, s16
; %bb.11340:                            ;   in Loop: Header=BB6_11223 Depth=3
	v_bfe_u32 v16, v17, 23, 1
; %bb.11341:                            ;   in Loop: Header=BB6_11223 Depth=3
	s_or_b32 exec_lo, exec_lo, s16
	v_lshrrev_b32_e32 v17, 21, v17
	v_cmp_gt_i32_e32 vcc_lo, 32, v16
	v_min_i32_e32 v21, 31, v16
	v_and_b32_sdwa v6, v6, v117 dst_sel:DWORD dst_unused:UNUSED_PAD src0_sel:BYTE_3 src1_sel:DWORD
	v_cndmask_b32_e32 v17, 3, v17, vcc_lo
	v_lshlrev_b32_e32 v21, 2, v21
	v_and_b32_e32 v22, 3, v17
	v_or_b32_e32 v16, v16, v17
	v_or3_b32 v6, v21, v6, v22
	v_cmp_ne_u32_e32 vcc_lo, 0, v16
	v_cndmask_b32_e32 v87, 0, v6, vcc_lo
.LBB6_11342:                            ;   in Loop: Header=BB6_11223 Depth=3
	s_or_b32 exec_lo, exec_lo, s23
.LBB6_11343:                            ;   in Loop: Header=BB6_11223 Depth=3
	s_or_b32 exec_lo, exec_lo, s19
	flat_load_ubyte v6, v[12:13] offset:256 slc
	s_mov_b32 s16, 0
	s_mov_b32 s19, exec_lo
	s_waitcnt vmcnt(0) lgkmcnt(0)
	v_cmpx_lt_i16_e32 0x7f, v6
	s_xor_b32 s19, exec_lo, s19
	s_cbranch_execz .LBB6_12333
; %bb.11344:                            ;   in Loop: Header=BB6_11223 Depth=3
	s_mov_b32 s16, -1
	s_mov_b32 s23, exec_lo
	v_cmpx_eq_u16_e32 0x80, v6
; %bb.11345:                            ;   in Loop: Header=BB6_11223 Depth=3
	s_xor_b32 s16, exec_lo, -1
; %bb.11346:                            ;   in Loop: Header=BB6_11223 Depth=3
	s_or_b32 exec_lo, exec_lo, s23
	s_and_b32 s16, s16, exec_lo
	s_or_saveexec_b32 s19, s19
	v_mov_b32_e32 v16, 0x7f800001
	s_xor_b32 exec_lo, exec_lo, s19
	s_cbranch_execnz .LBB6_12334
.LBB6_11347:                            ;   in Loop: Header=BB6_11223 Depth=3
	s_or_b32 exec_lo, exec_lo, s19
	s_and_saveexec_b32 s19, s16
	s_cbranch_execz .LBB6_11349
.LBB6_11348:                            ;   in Loop: Header=BB6_11223 Depth=3
	v_and_b32_e32 v16, 0xffff, v6
	v_lshlrev_b32_e32 v6, 24, v6
	v_and_b32_e32 v17, 3, v16
	v_bfe_u32 v23, v16, 2, 5
	v_and_b32_e32 v6, 0x80000000, v6
	v_ffbh_u32_e32 v21, v17
	v_cmp_eq_u32_e32 vcc_lo, 0, v23
	v_min_u32_e32 v21, 32, v21
	v_subrev_nc_u32_e32 v22, 29, v21
	v_sub_nc_u32_e32 v21, 30, v21
	v_lshlrev_b32_e32 v16, v22, v16
	v_cndmask_b32_e32 v21, v23, v21, vcc_lo
	v_and_b32_e32 v16, 3, v16
	v_cndmask_b32_e32 v16, v17, v16, vcc_lo
	v_lshl_add_u32 v17, v21, 23, 0x37800000
	v_lshlrev_b32_e32 v16, 21, v16
	v_or3_b32 v16, v6, v17, v16
.LBB6_11349:                            ;   in Loop: Header=BB6_11223 Depth=3
	s_or_b32 exec_lo, exec_lo, s19
	v_mul_f32_e32 v6, v0, v16
	v_mov_b32_e32 v99, 0x80
	s_mov_b32 s19, exec_lo
	v_and_b32_e32 v16, 0x7f800000, v6
	v_cmpx_ne_u32_e32 0x7f800000, v16
	s_cbranch_execz .LBB6_11357
; %bb.11350:                            ;   in Loop: Header=BB6_11223 Depth=3
	v_mov_b32_e32 v99, 0
	s_mov_b32 s23, exec_lo
	v_cmpx_ne_u32_e32 0, v6
	s_cbranch_execz .LBB6_11356
; %bb.11351:                            ;   in Loop: Header=BB6_11223 Depth=3
	v_bfe_u32 v16, v6, 23, 8
	v_and_b32_e32 v17, 0x7fffff, v6
	v_sub_nc_u32_e32 v21, 0x70, v16
	v_cmp_gt_u32_e32 vcc_lo, 0x71, v16
	v_or_b32_e32 v22, 0x800000, v17
	v_cndmask_b32_e32 v21, 0, v21, vcc_lo
	v_cmp_eq_u32_e32 vcc_lo, 0, v16
	v_add_nc_u32_e32 v16, 0xffffff91, v16
	v_cndmask_b32_e64 v21, v21, 0x6f, vcc_lo
	v_cndmask_b32_e32 v17, v22, v17, vcc_lo
	v_cndmask_b32_e64 v16, v16, 0xffffff92, vcc_lo
	v_lshl_add_u32 v22, 0x200000, v21, -1
	v_lshrrev_b32_e32 v23, v21, v17
	v_lshlrev_b32_e64 v26, v21, 0x100000
	v_add_nc_u32_e32 v21, v21, v16
	v_and_b32_e32 v17, v22, v17
	v_bfe_u32 v25, v23, 21, 1
	v_cmp_eq_u32_e64 s16, v17, v26
	v_add_nc_u32_e32 v22, -1, v25
	v_cndmask_b32_e64 v17, 0, v22, s16
	v_lshrrev_b32_e32 v22, 23, v23
	s_mov_b32 s16, exec_lo
	v_add_nc_u32_e32 v17, v17, v23
	v_xor_b32_e32 v22, 1, v22
	v_and_b32_e32 v16, 0x1fffff, v17
	v_add_nc_u32_e32 v17, v16, v23
                                        ; implicit-def: $vgpr16
	v_cmpx_ne_u32_e64 v21, v22
	s_xor_b32 s16, exec_lo, s16
; %bb.11352:                            ;   in Loop: Header=BB6_11223 Depth=3
	v_cmp_lt_u32_e32 vcc_lo, 0xffffff, v17
	v_sub_nc_u32_e32 v16, v21, v22
	v_cndmask_b32_e64 v21, 0, 1, vcc_lo
	v_add_co_ci_u32_e64 v16, null, 0, v16, vcc_lo
	v_lshrrev_b32_e32 v17, v21, v17
; %bb.11353:                            ;   in Loop: Header=BB6_11223 Depth=3
	s_andn2_saveexec_b32 s16, s16
; %bb.11354:                            ;   in Loop: Header=BB6_11223 Depth=3
	v_bfe_u32 v16, v17, 23, 1
; %bb.11355:                            ;   in Loop: Header=BB6_11223 Depth=3
	s_or_b32 exec_lo, exec_lo, s16
	v_lshrrev_b32_e32 v17, 21, v17
	v_cmp_gt_i32_e32 vcc_lo, 32, v16
	v_min_i32_e32 v21, 31, v16
	v_and_b32_sdwa v6, v6, v117 dst_sel:DWORD dst_unused:UNUSED_PAD src0_sel:BYTE_3 src1_sel:DWORD
	v_cndmask_b32_e32 v17, 3, v17, vcc_lo
	v_lshlrev_b32_e32 v21, 2, v21
	v_and_b32_e32 v22, 3, v17
	v_or_b32_e32 v16, v16, v17
	v_or3_b32 v6, v21, v6, v22
	v_cmp_ne_u32_e32 vcc_lo, 0, v16
	v_cndmask_b32_e32 v99, 0, v6, vcc_lo
.LBB6_11356:                            ;   in Loop: Header=BB6_11223 Depth=3
	s_or_b32 exec_lo, exec_lo, s23
.LBB6_11357:                            ;   in Loop: Header=BB6_11223 Depth=3
	s_or_b32 exec_lo, exec_lo, s19
	flat_load_ubyte v6, v[12:13] offset:288 slc
	s_mov_b32 s16, 0
	s_mov_b32 s19, exec_lo
	s_waitcnt vmcnt(0) lgkmcnt(0)
	v_cmpx_lt_i16_e32 0x7f, v6
	s_xor_b32 s19, exec_lo, s19
	s_cbranch_execz .LBB6_12335
; %bb.11358:                            ;   in Loop: Header=BB6_11223 Depth=3
	s_mov_b32 s16, -1
	s_mov_b32 s23, exec_lo
	v_cmpx_eq_u16_e32 0x80, v6
; %bb.11359:                            ;   in Loop: Header=BB6_11223 Depth=3
	s_xor_b32 s16, exec_lo, -1
; %bb.11360:                            ;   in Loop: Header=BB6_11223 Depth=3
	s_or_b32 exec_lo, exec_lo, s23
	s_and_b32 s16, s16, exec_lo
	s_or_saveexec_b32 s19, s19
	v_mov_b32_e32 v16, 0x7f800001
	s_xor_b32 exec_lo, exec_lo, s19
	s_cbranch_execnz .LBB6_12336
.LBB6_11361:                            ;   in Loop: Header=BB6_11223 Depth=3
	s_or_b32 exec_lo, exec_lo, s19
	s_and_saveexec_b32 s19, s16
	s_cbranch_execz .LBB6_11363
.LBB6_11362:                            ;   in Loop: Header=BB6_11223 Depth=3
	v_and_b32_e32 v16, 0xffff, v6
	v_lshlrev_b32_e32 v6, 24, v6
	v_and_b32_e32 v17, 3, v16
	v_bfe_u32 v23, v16, 2, 5
	v_and_b32_e32 v6, 0x80000000, v6
	v_ffbh_u32_e32 v21, v17
	v_cmp_eq_u32_e32 vcc_lo, 0, v23
	v_min_u32_e32 v21, 32, v21
	v_subrev_nc_u32_e32 v22, 29, v21
	v_sub_nc_u32_e32 v21, 30, v21
	v_lshlrev_b32_e32 v16, v22, v16
	v_cndmask_b32_e32 v21, v23, v21, vcc_lo
	v_and_b32_e32 v16, 3, v16
	v_cndmask_b32_e32 v16, v17, v16, vcc_lo
	v_lshl_add_u32 v17, v21, 23, 0x37800000
	v_lshlrev_b32_e32 v16, 21, v16
	v_or3_b32 v16, v6, v17, v16
.LBB6_11363:                            ;   in Loop: Header=BB6_11223 Depth=3
	s_or_b32 exec_lo, exec_lo, s19
	v_mul_f32_e32 v6, v0, v16
	v_mov_b32_e32 v113, 0x80
	s_mov_b32 s19, exec_lo
	v_and_b32_e32 v16, 0x7f800000, v6
	v_cmpx_ne_u32_e32 0x7f800000, v16
	s_cbranch_execz .LBB6_11371
; %bb.11364:                            ;   in Loop: Header=BB6_11223 Depth=3
	v_mov_b32_e32 v113, 0
	s_mov_b32 s23, exec_lo
	v_cmpx_ne_u32_e32 0, v6
	s_cbranch_execz .LBB6_11370
; %bb.11365:                            ;   in Loop: Header=BB6_11223 Depth=3
	v_bfe_u32 v16, v6, 23, 8
	v_and_b32_e32 v17, 0x7fffff, v6
	v_sub_nc_u32_e32 v21, 0x70, v16
	v_cmp_gt_u32_e32 vcc_lo, 0x71, v16
	v_or_b32_e32 v22, 0x800000, v17
	v_cndmask_b32_e32 v21, 0, v21, vcc_lo
	v_cmp_eq_u32_e32 vcc_lo, 0, v16
	v_add_nc_u32_e32 v16, 0xffffff91, v16
	v_cndmask_b32_e64 v21, v21, 0x6f, vcc_lo
	v_cndmask_b32_e32 v17, v22, v17, vcc_lo
	v_cndmask_b32_e64 v16, v16, 0xffffff92, vcc_lo
	v_lshl_add_u32 v22, 0x200000, v21, -1
	v_lshrrev_b32_e32 v23, v21, v17
	v_lshlrev_b32_e64 v26, v21, 0x100000
	v_add_nc_u32_e32 v21, v21, v16
	v_and_b32_e32 v17, v22, v17
	v_bfe_u32 v25, v23, 21, 1
	v_cmp_eq_u32_e64 s16, v17, v26
	v_add_nc_u32_e32 v22, -1, v25
	v_cndmask_b32_e64 v17, 0, v22, s16
	v_lshrrev_b32_e32 v22, 23, v23
	s_mov_b32 s16, exec_lo
	v_add_nc_u32_e32 v17, v17, v23
	v_xor_b32_e32 v22, 1, v22
	v_and_b32_e32 v16, 0x1fffff, v17
	v_add_nc_u32_e32 v17, v16, v23
                                        ; implicit-def: $vgpr16
	v_cmpx_ne_u32_e64 v21, v22
	s_xor_b32 s16, exec_lo, s16
; %bb.11366:                            ;   in Loop: Header=BB6_11223 Depth=3
	v_cmp_lt_u32_e32 vcc_lo, 0xffffff, v17
	v_sub_nc_u32_e32 v16, v21, v22
	v_cndmask_b32_e64 v21, 0, 1, vcc_lo
	v_add_co_ci_u32_e64 v16, null, 0, v16, vcc_lo
	v_lshrrev_b32_e32 v17, v21, v17
; %bb.11367:                            ;   in Loop: Header=BB6_11223 Depth=3
	s_andn2_saveexec_b32 s16, s16
; %bb.11368:                            ;   in Loop: Header=BB6_11223 Depth=3
	v_bfe_u32 v16, v17, 23, 1
; %bb.11369:                            ;   in Loop: Header=BB6_11223 Depth=3
	s_or_b32 exec_lo, exec_lo, s16
	v_lshrrev_b32_e32 v17, 21, v17
	v_cmp_gt_i32_e32 vcc_lo, 32, v16
	v_min_i32_e32 v21, 31, v16
	v_and_b32_sdwa v6, v6, v117 dst_sel:DWORD dst_unused:UNUSED_PAD src0_sel:BYTE_3 src1_sel:DWORD
	v_cndmask_b32_e32 v17, 3, v17, vcc_lo
	v_lshlrev_b32_e32 v21, 2, v21
	v_and_b32_e32 v22, 3, v17
	v_or_b32_e32 v16, v16, v17
	v_or3_b32 v6, v21, v6, v22
	v_cmp_ne_u32_e32 vcc_lo, 0, v16
	v_cndmask_b32_e32 v113, 0, v6, vcc_lo
.LBB6_11370:                            ;   in Loop: Header=BB6_11223 Depth=3
	s_or_b32 exec_lo, exec_lo, s23
.LBB6_11371:                            ;   in Loop: Header=BB6_11223 Depth=3
	s_or_b32 exec_lo, exec_lo, s19
	flat_load_ubyte v6, v[12:13] offset:320 slc
	s_mov_b32 s16, 0
	s_mov_b32 s19, exec_lo
	s_waitcnt vmcnt(0) lgkmcnt(0)
	v_cmpx_lt_i16_e32 0x7f, v6
	s_xor_b32 s19, exec_lo, s19
	s_cbranch_execz .LBB6_12337
; %bb.11372:                            ;   in Loop: Header=BB6_11223 Depth=3
	s_mov_b32 s16, -1
	s_mov_b32 s23, exec_lo
	v_cmpx_eq_u16_e32 0x80, v6
; %bb.11373:                            ;   in Loop: Header=BB6_11223 Depth=3
	s_xor_b32 s16, exec_lo, -1
; %bb.11374:                            ;   in Loop: Header=BB6_11223 Depth=3
	s_or_b32 exec_lo, exec_lo, s23
	s_and_b32 s16, s16, exec_lo
	s_or_saveexec_b32 s19, s19
	v_mov_b32_e32 v16, 0x7f800001
	s_xor_b32 exec_lo, exec_lo, s19
	s_cbranch_execnz .LBB6_12338
.LBB6_11375:                            ;   in Loop: Header=BB6_11223 Depth=3
	s_or_b32 exec_lo, exec_lo, s19
	s_and_saveexec_b32 s19, s16
	s_cbranch_execz .LBB6_11377
.LBB6_11376:                            ;   in Loop: Header=BB6_11223 Depth=3
	v_and_b32_e32 v16, 0xffff, v6
	v_lshlrev_b32_e32 v6, 24, v6
	v_and_b32_e32 v17, 3, v16
	v_bfe_u32 v23, v16, 2, 5
	v_and_b32_e32 v6, 0x80000000, v6
	v_ffbh_u32_e32 v21, v17
	v_cmp_eq_u32_e32 vcc_lo, 0, v23
	v_min_u32_e32 v21, 32, v21
	v_subrev_nc_u32_e32 v22, 29, v21
	v_sub_nc_u32_e32 v21, 30, v21
	v_lshlrev_b32_e32 v16, v22, v16
	v_cndmask_b32_e32 v21, v23, v21, vcc_lo
	v_and_b32_e32 v16, 3, v16
	v_cndmask_b32_e32 v16, v17, v16, vcc_lo
	v_lshl_add_u32 v17, v21, 23, 0x37800000
	v_lshlrev_b32_e32 v16, 21, v16
	v_or3_b32 v16, v6, v17, v16
.LBB6_11377:                            ;   in Loop: Header=BB6_11223 Depth=3
	s_or_b32 exec_lo, exec_lo, s19
	v_mul_f32_e32 v6, v0, v16
	v_mov_b32_e32 v102, 0x80
	s_mov_b32 s19, exec_lo
	v_and_b32_e32 v16, 0x7f800000, v6
	v_cmpx_ne_u32_e32 0x7f800000, v16
	s_cbranch_execz .LBB6_11385
; %bb.11378:                            ;   in Loop: Header=BB6_11223 Depth=3
	v_mov_b32_e32 v102, 0
	s_mov_b32 s23, exec_lo
	v_cmpx_ne_u32_e32 0, v6
	s_cbranch_execz .LBB6_11384
; %bb.11379:                            ;   in Loop: Header=BB6_11223 Depth=3
	v_bfe_u32 v16, v6, 23, 8
	v_and_b32_e32 v17, 0x7fffff, v6
	v_sub_nc_u32_e32 v21, 0x70, v16
	v_cmp_gt_u32_e32 vcc_lo, 0x71, v16
	v_or_b32_e32 v22, 0x800000, v17
	v_cndmask_b32_e32 v21, 0, v21, vcc_lo
	v_cmp_eq_u32_e32 vcc_lo, 0, v16
	v_add_nc_u32_e32 v16, 0xffffff91, v16
	v_cndmask_b32_e64 v21, v21, 0x6f, vcc_lo
	v_cndmask_b32_e32 v17, v22, v17, vcc_lo
	v_cndmask_b32_e64 v16, v16, 0xffffff92, vcc_lo
	v_lshl_add_u32 v22, 0x200000, v21, -1
	v_lshrrev_b32_e32 v23, v21, v17
	v_lshlrev_b32_e64 v26, v21, 0x100000
	v_add_nc_u32_e32 v21, v21, v16
	v_and_b32_e32 v17, v22, v17
	v_bfe_u32 v25, v23, 21, 1
	v_cmp_eq_u32_e64 s16, v17, v26
	v_add_nc_u32_e32 v22, -1, v25
	v_cndmask_b32_e64 v17, 0, v22, s16
	v_lshrrev_b32_e32 v22, 23, v23
	s_mov_b32 s16, exec_lo
	v_add_nc_u32_e32 v17, v17, v23
	v_xor_b32_e32 v22, 1, v22
	v_and_b32_e32 v16, 0x1fffff, v17
	v_add_nc_u32_e32 v17, v16, v23
                                        ; implicit-def: $vgpr16
	v_cmpx_ne_u32_e64 v21, v22
	s_xor_b32 s16, exec_lo, s16
; %bb.11380:                            ;   in Loop: Header=BB6_11223 Depth=3
	v_cmp_lt_u32_e32 vcc_lo, 0xffffff, v17
	v_sub_nc_u32_e32 v16, v21, v22
	v_cndmask_b32_e64 v21, 0, 1, vcc_lo
	v_add_co_ci_u32_e64 v16, null, 0, v16, vcc_lo
	v_lshrrev_b32_e32 v17, v21, v17
; %bb.11381:                            ;   in Loop: Header=BB6_11223 Depth=3
	s_andn2_saveexec_b32 s16, s16
; %bb.11382:                            ;   in Loop: Header=BB6_11223 Depth=3
	v_bfe_u32 v16, v17, 23, 1
; %bb.11383:                            ;   in Loop: Header=BB6_11223 Depth=3
	s_or_b32 exec_lo, exec_lo, s16
	v_lshrrev_b32_e32 v17, 21, v17
	v_cmp_gt_i32_e32 vcc_lo, 32, v16
	v_min_i32_e32 v21, 31, v16
	v_and_b32_sdwa v6, v6, v117 dst_sel:DWORD dst_unused:UNUSED_PAD src0_sel:BYTE_3 src1_sel:DWORD
	v_cndmask_b32_e32 v17, 3, v17, vcc_lo
	v_lshlrev_b32_e32 v21, 2, v21
	v_and_b32_e32 v22, 3, v17
	v_or_b32_e32 v16, v16, v17
	v_or3_b32 v6, v21, v6, v22
	v_cmp_ne_u32_e32 vcc_lo, 0, v16
	v_cndmask_b32_e32 v102, 0, v6, vcc_lo
.LBB6_11384:                            ;   in Loop: Header=BB6_11223 Depth=3
	s_or_b32 exec_lo, exec_lo, s23
.LBB6_11385:                            ;   in Loop: Header=BB6_11223 Depth=3
	s_or_b32 exec_lo, exec_lo, s19
	flat_load_ubyte v6, v[12:13] offset:352 slc
	s_mov_b32 s16, 0
	s_mov_b32 s19, exec_lo
	s_waitcnt vmcnt(0) lgkmcnt(0)
	v_cmpx_lt_i16_e32 0x7f, v6
	s_xor_b32 s19, exec_lo, s19
	s_cbranch_execz .LBB6_12339
; %bb.11386:                            ;   in Loop: Header=BB6_11223 Depth=3
	s_mov_b32 s16, -1
	s_mov_b32 s23, exec_lo
	v_cmpx_eq_u16_e32 0x80, v6
; %bb.11387:                            ;   in Loop: Header=BB6_11223 Depth=3
	s_xor_b32 s16, exec_lo, -1
; %bb.11388:                            ;   in Loop: Header=BB6_11223 Depth=3
	s_or_b32 exec_lo, exec_lo, s23
	s_and_b32 s16, s16, exec_lo
	s_or_saveexec_b32 s19, s19
	v_mov_b32_e32 v16, 0x7f800001
	s_xor_b32 exec_lo, exec_lo, s19
	s_cbranch_execnz .LBB6_12340
.LBB6_11389:                            ;   in Loop: Header=BB6_11223 Depth=3
	s_or_b32 exec_lo, exec_lo, s19
	s_and_saveexec_b32 s19, s16
	s_cbranch_execz .LBB6_11391
.LBB6_11390:                            ;   in Loop: Header=BB6_11223 Depth=3
	v_and_b32_e32 v16, 0xffff, v6
	v_lshlrev_b32_e32 v6, 24, v6
	v_and_b32_e32 v17, 3, v16
	v_bfe_u32 v23, v16, 2, 5
	v_and_b32_e32 v6, 0x80000000, v6
	v_ffbh_u32_e32 v21, v17
	v_cmp_eq_u32_e32 vcc_lo, 0, v23
	v_min_u32_e32 v21, 32, v21
	v_subrev_nc_u32_e32 v22, 29, v21
	v_sub_nc_u32_e32 v21, 30, v21
	v_lshlrev_b32_e32 v16, v22, v16
	v_cndmask_b32_e32 v21, v23, v21, vcc_lo
	v_and_b32_e32 v16, 3, v16
	v_cndmask_b32_e32 v16, v17, v16, vcc_lo
	v_lshl_add_u32 v17, v21, 23, 0x37800000
	v_lshlrev_b32_e32 v16, 21, v16
	v_or3_b32 v16, v6, v17, v16
.LBB6_11391:                            ;   in Loop: Header=BB6_11223 Depth=3
	s_or_b32 exec_lo, exec_lo, s19
	v_mul_f32_e32 v6, v0, v16
	v_mov_b32_e32 v101, 0x80
	s_mov_b32 s19, exec_lo
	v_and_b32_e32 v16, 0x7f800000, v6
	v_cmpx_ne_u32_e32 0x7f800000, v16
	s_cbranch_execz .LBB6_11399
; %bb.11392:                            ;   in Loop: Header=BB6_11223 Depth=3
	v_mov_b32_e32 v101, 0
	s_mov_b32 s23, exec_lo
	v_cmpx_ne_u32_e32 0, v6
	s_cbranch_execz .LBB6_11398
; %bb.11393:                            ;   in Loop: Header=BB6_11223 Depth=3
	v_bfe_u32 v16, v6, 23, 8
	v_and_b32_e32 v17, 0x7fffff, v6
	v_sub_nc_u32_e32 v21, 0x70, v16
	v_cmp_gt_u32_e32 vcc_lo, 0x71, v16
	v_or_b32_e32 v22, 0x800000, v17
	v_cndmask_b32_e32 v21, 0, v21, vcc_lo
	v_cmp_eq_u32_e32 vcc_lo, 0, v16
	v_add_nc_u32_e32 v16, 0xffffff91, v16
	v_cndmask_b32_e64 v21, v21, 0x6f, vcc_lo
	v_cndmask_b32_e32 v17, v22, v17, vcc_lo
	v_cndmask_b32_e64 v16, v16, 0xffffff92, vcc_lo
	v_lshl_add_u32 v22, 0x200000, v21, -1
	v_lshrrev_b32_e32 v23, v21, v17
	v_lshlrev_b32_e64 v26, v21, 0x100000
	v_add_nc_u32_e32 v21, v21, v16
	v_and_b32_e32 v17, v22, v17
	v_bfe_u32 v25, v23, 21, 1
	v_cmp_eq_u32_e64 s16, v17, v26
	v_add_nc_u32_e32 v22, -1, v25
	v_cndmask_b32_e64 v17, 0, v22, s16
	v_lshrrev_b32_e32 v22, 23, v23
	s_mov_b32 s16, exec_lo
	v_add_nc_u32_e32 v17, v17, v23
	v_xor_b32_e32 v22, 1, v22
	v_and_b32_e32 v16, 0x1fffff, v17
	v_add_nc_u32_e32 v17, v16, v23
                                        ; implicit-def: $vgpr16
	v_cmpx_ne_u32_e64 v21, v22
	s_xor_b32 s16, exec_lo, s16
; %bb.11394:                            ;   in Loop: Header=BB6_11223 Depth=3
	v_cmp_lt_u32_e32 vcc_lo, 0xffffff, v17
	v_sub_nc_u32_e32 v16, v21, v22
	v_cndmask_b32_e64 v21, 0, 1, vcc_lo
	v_add_co_ci_u32_e64 v16, null, 0, v16, vcc_lo
	v_lshrrev_b32_e32 v17, v21, v17
; %bb.11395:                            ;   in Loop: Header=BB6_11223 Depth=3
	s_andn2_saveexec_b32 s16, s16
; %bb.11396:                            ;   in Loop: Header=BB6_11223 Depth=3
	v_bfe_u32 v16, v17, 23, 1
; %bb.11397:                            ;   in Loop: Header=BB6_11223 Depth=3
	s_or_b32 exec_lo, exec_lo, s16
	v_lshrrev_b32_e32 v17, 21, v17
	v_cmp_gt_i32_e32 vcc_lo, 32, v16
	v_min_i32_e32 v21, 31, v16
	v_and_b32_sdwa v6, v6, v117 dst_sel:DWORD dst_unused:UNUSED_PAD src0_sel:BYTE_3 src1_sel:DWORD
	v_cndmask_b32_e32 v17, 3, v17, vcc_lo
	v_lshlrev_b32_e32 v21, 2, v21
	v_and_b32_e32 v22, 3, v17
	v_or_b32_e32 v16, v16, v17
	v_or3_b32 v6, v21, v6, v22
	v_cmp_ne_u32_e32 vcc_lo, 0, v16
	v_cndmask_b32_e32 v101, 0, v6, vcc_lo
.LBB6_11398:                            ;   in Loop: Header=BB6_11223 Depth=3
	s_or_b32 exec_lo, exec_lo, s23
.LBB6_11399:                            ;   in Loop: Header=BB6_11223 Depth=3
	s_or_b32 exec_lo, exec_lo, s19
	flat_load_ubyte v6, v[12:13] offset:384 slc
	s_mov_b32 s16, 0
	s_mov_b32 s19, exec_lo
	s_waitcnt vmcnt(0) lgkmcnt(0)
	v_cmpx_lt_i16_e32 0x7f, v6
	s_xor_b32 s19, exec_lo, s19
	s_cbranch_execz .LBB6_12341
; %bb.11400:                            ;   in Loop: Header=BB6_11223 Depth=3
	s_mov_b32 s16, -1
	s_mov_b32 s23, exec_lo
	v_cmpx_eq_u16_e32 0x80, v6
; %bb.11401:                            ;   in Loop: Header=BB6_11223 Depth=3
	s_xor_b32 s16, exec_lo, -1
; %bb.11402:                            ;   in Loop: Header=BB6_11223 Depth=3
	s_or_b32 exec_lo, exec_lo, s23
	s_and_b32 s16, s16, exec_lo
	s_or_saveexec_b32 s19, s19
	v_mov_b32_e32 v16, 0x7f800001
	s_xor_b32 exec_lo, exec_lo, s19
	s_cbranch_execnz .LBB6_12342
.LBB6_11403:                            ;   in Loop: Header=BB6_11223 Depth=3
	s_or_b32 exec_lo, exec_lo, s19
	s_and_saveexec_b32 s19, s16
	s_cbranch_execz .LBB6_11405
.LBB6_11404:                            ;   in Loop: Header=BB6_11223 Depth=3
	v_and_b32_e32 v16, 0xffff, v6
	v_lshlrev_b32_e32 v6, 24, v6
	v_and_b32_e32 v17, 3, v16
	v_bfe_u32 v23, v16, 2, 5
	v_and_b32_e32 v6, 0x80000000, v6
	v_ffbh_u32_e32 v21, v17
	v_cmp_eq_u32_e32 vcc_lo, 0, v23
	v_min_u32_e32 v21, 32, v21
	v_subrev_nc_u32_e32 v22, 29, v21
	v_sub_nc_u32_e32 v21, 30, v21
	v_lshlrev_b32_e32 v16, v22, v16
	v_cndmask_b32_e32 v21, v23, v21, vcc_lo
	v_and_b32_e32 v16, 3, v16
	v_cndmask_b32_e32 v16, v17, v16, vcc_lo
	v_lshl_add_u32 v17, v21, 23, 0x37800000
	v_lshlrev_b32_e32 v16, 21, v16
	v_or3_b32 v16, v6, v17, v16
.LBB6_11405:                            ;   in Loop: Header=BB6_11223 Depth=3
	s_or_b32 exec_lo, exec_lo, s19
	v_mul_f32_e32 v6, v0, v16
	v_mov_b32_e32 v97, 0x80
	s_mov_b32 s19, exec_lo
	v_and_b32_e32 v16, 0x7f800000, v6
	v_cmpx_ne_u32_e32 0x7f800000, v16
	s_cbranch_execz .LBB6_11413
; %bb.11406:                            ;   in Loop: Header=BB6_11223 Depth=3
	v_mov_b32_e32 v97, 0
	s_mov_b32 s23, exec_lo
	v_cmpx_ne_u32_e32 0, v6
	s_cbranch_execz .LBB6_11412
; %bb.11407:                            ;   in Loop: Header=BB6_11223 Depth=3
	v_bfe_u32 v16, v6, 23, 8
	v_and_b32_e32 v17, 0x7fffff, v6
	v_sub_nc_u32_e32 v21, 0x70, v16
	v_cmp_gt_u32_e32 vcc_lo, 0x71, v16
	v_or_b32_e32 v22, 0x800000, v17
	v_cndmask_b32_e32 v21, 0, v21, vcc_lo
	v_cmp_eq_u32_e32 vcc_lo, 0, v16
	v_add_nc_u32_e32 v16, 0xffffff91, v16
	v_cndmask_b32_e64 v21, v21, 0x6f, vcc_lo
	v_cndmask_b32_e32 v17, v22, v17, vcc_lo
	v_cndmask_b32_e64 v16, v16, 0xffffff92, vcc_lo
	v_lshl_add_u32 v22, 0x200000, v21, -1
	v_lshrrev_b32_e32 v23, v21, v17
	v_lshlrev_b32_e64 v26, v21, 0x100000
	v_add_nc_u32_e32 v21, v21, v16
	v_and_b32_e32 v17, v22, v17
	v_bfe_u32 v25, v23, 21, 1
	v_cmp_eq_u32_e64 s16, v17, v26
	v_add_nc_u32_e32 v22, -1, v25
	v_cndmask_b32_e64 v17, 0, v22, s16
	v_lshrrev_b32_e32 v22, 23, v23
	s_mov_b32 s16, exec_lo
	v_add_nc_u32_e32 v17, v17, v23
	v_xor_b32_e32 v22, 1, v22
	v_and_b32_e32 v16, 0x1fffff, v17
	v_add_nc_u32_e32 v17, v16, v23
                                        ; implicit-def: $vgpr16
	v_cmpx_ne_u32_e64 v21, v22
	s_xor_b32 s16, exec_lo, s16
; %bb.11408:                            ;   in Loop: Header=BB6_11223 Depth=3
	v_cmp_lt_u32_e32 vcc_lo, 0xffffff, v17
	v_sub_nc_u32_e32 v16, v21, v22
	v_cndmask_b32_e64 v21, 0, 1, vcc_lo
	v_add_co_ci_u32_e64 v16, null, 0, v16, vcc_lo
	v_lshrrev_b32_e32 v17, v21, v17
; %bb.11409:                            ;   in Loop: Header=BB6_11223 Depth=3
	s_andn2_saveexec_b32 s16, s16
; %bb.11410:                            ;   in Loop: Header=BB6_11223 Depth=3
	v_bfe_u32 v16, v17, 23, 1
; %bb.11411:                            ;   in Loop: Header=BB6_11223 Depth=3
	s_or_b32 exec_lo, exec_lo, s16
	v_lshrrev_b32_e32 v17, 21, v17
	v_cmp_gt_i32_e32 vcc_lo, 32, v16
	v_min_i32_e32 v21, 31, v16
	v_and_b32_sdwa v6, v6, v117 dst_sel:DWORD dst_unused:UNUSED_PAD src0_sel:BYTE_3 src1_sel:DWORD
	v_cndmask_b32_e32 v17, 3, v17, vcc_lo
	v_lshlrev_b32_e32 v21, 2, v21
	v_and_b32_e32 v22, 3, v17
	v_or_b32_e32 v16, v16, v17
	v_or3_b32 v6, v21, v6, v22
	v_cmp_ne_u32_e32 vcc_lo, 0, v16
	v_cndmask_b32_e32 v97, 0, v6, vcc_lo
.LBB6_11412:                            ;   in Loop: Header=BB6_11223 Depth=3
	s_or_b32 exec_lo, exec_lo, s23
.LBB6_11413:                            ;   in Loop: Header=BB6_11223 Depth=3
	s_or_b32 exec_lo, exec_lo, s19
	flat_load_ubyte v6, v[12:13] offset:416 slc
	s_mov_b32 s16, 0
	s_mov_b32 s19, exec_lo
	s_waitcnt vmcnt(0) lgkmcnt(0)
	v_cmpx_lt_i16_e32 0x7f, v6
	s_xor_b32 s19, exec_lo, s19
	s_cbranch_execz .LBB6_12343
; %bb.11414:                            ;   in Loop: Header=BB6_11223 Depth=3
	s_mov_b32 s16, -1
	s_mov_b32 s23, exec_lo
	v_cmpx_eq_u16_e32 0x80, v6
; %bb.11415:                            ;   in Loop: Header=BB6_11223 Depth=3
	s_xor_b32 s16, exec_lo, -1
; %bb.11416:                            ;   in Loop: Header=BB6_11223 Depth=3
	s_or_b32 exec_lo, exec_lo, s23
	s_and_b32 s16, s16, exec_lo
	s_or_saveexec_b32 s19, s19
	v_mov_b32_e32 v16, 0x7f800001
	s_xor_b32 exec_lo, exec_lo, s19
	s_cbranch_execnz .LBB6_12344
.LBB6_11417:                            ;   in Loop: Header=BB6_11223 Depth=3
	s_or_b32 exec_lo, exec_lo, s19
	s_and_saveexec_b32 s19, s16
	s_cbranch_execz .LBB6_11419
.LBB6_11418:                            ;   in Loop: Header=BB6_11223 Depth=3
	v_and_b32_e32 v16, 0xffff, v6
	v_lshlrev_b32_e32 v6, 24, v6
	v_and_b32_e32 v17, 3, v16
	v_bfe_u32 v23, v16, 2, 5
	v_and_b32_e32 v6, 0x80000000, v6
	v_ffbh_u32_e32 v21, v17
	v_cmp_eq_u32_e32 vcc_lo, 0, v23
	v_min_u32_e32 v21, 32, v21
	v_subrev_nc_u32_e32 v22, 29, v21
	v_sub_nc_u32_e32 v21, 30, v21
	v_lshlrev_b32_e32 v16, v22, v16
	v_cndmask_b32_e32 v21, v23, v21, vcc_lo
	v_and_b32_e32 v16, 3, v16
	v_cndmask_b32_e32 v16, v17, v16, vcc_lo
	v_lshl_add_u32 v17, v21, 23, 0x37800000
	v_lshlrev_b32_e32 v16, 21, v16
	v_or3_b32 v16, v6, v17, v16
.LBB6_11419:                            ;   in Loop: Header=BB6_11223 Depth=3
	s_or_b32 exec_lo, exec_lo, s19
	v_mul_f32_e32 v6, v0, v16
	v_mov_b32_e32 v96, 0x80
	s_mov_b32 s19, exec_lo
	v_and_b32_e32 v16, 0x7f800000, v6
	v_cmpx_ne_u32_e32 0x7f800000, v16
	s_cbranch_execz .LBB6_11427
; %bb.11420:                            ;   in Loop: Header=BB6_11223 Depth=3
	v_mov_b32_e32 v96, 0
	s_mov_b32 s23, exec_lo
	v_cmpx_ne_u32_e32 0, v6
	s_cbranch_execz .LBB6_11426
; %bb.11421:                            ;   in Loop: Header=BB6_11223 Depth=3
	v_bfe_u32 v16, v6, 23, 8
	v_and_b32_e32 v17, 0x7fffff, v6
	v_sub_nc_u32_e32 v21, 0x70, v16
	v_cmp_gt_u32_e32 vcc_lo, 0x71, v16
	v_or_b32_e32 v22, 0x800000, v17
	v_cndmask_b32_e32 v21, 0, v21, vcc_lo
	v_cmp_eq_u32_e32 vcc_lo, 0, v16
	v_add_nc_u32_e32 v16, 0xffffff91, v16
	v_cndmask_b32_e64 v21, v21, 0x6f, vcc_lo
	v_cndmask_b32_e32 v17, v22, v17, vcc_lo
	v_cndmask_b32_e64 v16, v16, 0xffffff92, vcc_lo
	v_lshl_add_u32 v22, 0x200000, v21, -1
	v_lshrrev_b32_e32 v23, v21, v17
	v_lshlrev_b32_e64 v26, v21, 0x100000
	v_add_nc_u32_e32 v21, v21, v16
	v_and_b32_e32 v17, v22, v17
	v_bfe_u32 v25, v23, 21, 1
	v_cmp_eq_u32_e64 s16, v17, v26
	v_add_nc_u32_e32 v22, -1, v25
	v_cndmask_b32_e64 v17, 0, v22, s16
	v_lshrrev_b32_e32 v22, 23, v23
	s_mov_b32 s16, exec_lo
	v_add_nc_u32_e32 v17, v17, v23
	v_xor_b32_e32 v22, 1, v22
	v_and_b32_e32 v16, 0x1fffff, v17
	v_add_nc_u32_e32 v17, v16, v23
                                        ; implicit-def: $vgpr16
	v_cmpx_ne_u32_e64 v21, v22
	s_xor_b32 s16, exec_lo, s16
; %bb.11422:                            ;   in Loop: Header=BB6_11223 Depth=3
	v_cmp_lt_u32_e32 vcc_lo, 0xffffff, v17
	v_sub_nc_u32_e32 v16, v21, v22
	v_cndmask_b32_e64 v21, 0, 1, vcc_lo
	v_add_co_ci_u32_e64 v16, null, 0, v16, vcc_lo
	v_lshrrev_b32_e32 v17, v21, v17
; %bb.11423:                            ;   in Loop: Header=BB6_11223 Depth=3
	s_andn2_saveexec_b32 s16, s16
; %bb.11424:                            ;   in Loop: Header=BB6_11223 Depth=3
	v_bfe_u32 v16, v17, 23, 1
; %bb.11425:                            ;   in Loop: Header=BB6_11223 Depth=3
	s_or_b32 exec_lo, exec_lo, s16
	v_lshrrev_b32_e32 v17, 21, v17
	v_cmp_gt_i32_e32 vcc_lo, 32, v16
	v_min_i32_e32 v21, 31, v16
	v_and_b32_sdwa v6, v6, v117 dst_sel:DWORD dst_unused:UNUSED_PAD src0_sel:BYTE_3 src1_sel:DWORD
	v_cndmask_b32_e32 v17, 3, v17, vcc_lo
	v_lshlrev_b32_e32 v21, 2, v21
	v_and_b32_e32 v22, 3, v17
	v_or_b32_e32 v16, v16, v17
	v_or3_b32 v6, v21, v6, v22
	v_cmp_ne_u32_e32 vcc_lo, 0, v16
	v_cndmask_b32_e32 v96, 0, v6, vcc_lo
.LBB6_11426:                            ;   in Loop: Header=BB6_11223 Depth=3
	s_or_b32 exec_lo, exec_lo, s23
.LBB6_11427:                            ;   in Loop: Header=BB6_11223 Depth=3
	s_or_b32 exec_lo, exec_lo, s19
	flat_load_ubyte v6, v[12:13] offset:448 slc
	s_mov_b32 s16, 0
	s_mov_b32 s19, exec_lo
	s_waitcnt vmcnt(0) lgkmcnt(0)
	v_cmpx_lt_i16_e32 0x7f, v6
	s_xor_b32 s19, exec_lo, s19
	s_cbranch_execz .LBB6_12345
; %bb.11428:                            ;   in Loop: Header=BB6_11223 Depth=3
	s_mov_b32 s16, -1
	s_mov_b32 s23, exec_lo
	v_cmpx_eq_u16_e32 0x80, v6
; %bb.11429:                            ;   in Loop: Header=BB6_11223 Depth=3
	s_xor_b32 s16, exec_lo, -1
; %bb.11430:                            ;   in Loop: Header=BB6_11223 Depth=3
	s_or_b32 exec_lo, exec_lo, s23
	s_and_b32 s16, s16, exec_lo
	s_or_saveexec_b32 s19, s19
	v_mov_b32_e32 v16, 0x7f800001
	s_xor_b32 exec_lo, exec_lo, s19
	s_cbranch_execnz .LBB6_12346
.LBB6_11431:                            ;   in Loop: Header=BB6_11223 Depth=3
	s_or_b32 exec_lo, exec_lo, s19
	s_and_saveexec_b32 s19, s16
	s_cbranch_execz .LBB6_11433
.LBB6_11432:                            ;   in Loop: Header=BB6_11223 Depth=3
	v_and_b32_e32 v16, 0xffff, v6
	v_lshlrev_b32_e32 v6, 24, v6
	v_and_b32_e32 v17, 3, v16
	v_bfe_u32 v23, v16, 2, 5
	v_and_b32_e32 v6, 0x80000000, v6
	v_ffbh_u32_e32 v21, v17
	v_cmp_eq_u32_e32 vcc_lo, 0, v23
	v_min_u32_e32 v21, 32, v21
	v_subrev_nc_u32_e32 v22, 29, v21
	v_sub_nc_u32_e32 v21, 30, v21
	v_lshlrev_b32_e32 v16, v22, v16
	v_cndmask_b32_e32 v21, v23, v21, vcc_lo
	v_and_b32_e32 v16, 3, v16
	v_cndmask_b32_e32 v16, v17, v16, vcc_lo
	v_lshl_add_u32 v17, v21, 23, 0x37800000
	v_lshlrev_b32_e32 v16, 21, v16
	v_or3_b32 v16, v6, v17, v16
.LBB6_11433:                            ;   in Loop: Header=BB6_11223 Depth=3
	s_or_b32 exec_lo, exec_lo, s19
	v_mul_f32_e32 v6, v0, v16
	v_mov_b32_e32 v85, 0x80
	s_mov_b32 s19, exec_lo
	v_and_b32_e32 v16, 0x7f800000, v6
	v_cmpx_ne_u32_e32 0x7f800000, v16
	s_cbranch_execz .LBB6_11441
; %bb.11434:                            ;   in Loop: Header=BB6_11223 Depth=3
	v_mov_b32_e32 v85, 0
	s_mov_b32 s23, exec_lo
	v_cmpx_ne_u32_e32 0, v6
	s_cbranch_execz .LBB6_11440
; %bb.11435:                            ;   in Loop: Header=BB6_11223 Depth=3
	v_bfe_u32 v16, v6, 23, 8
	v_and_b32_e32 v17, 0x7fffff, v6
	v_sub_nc_u32_e32 v21, 0x70, v16
	v_cmp_gt_u32_e32 vcc_lo, 0x71, v16
	v_or_b32_e32 v22, 0x800000, v17
	v_cndmask_b32_e32 v21, 0, v21, vcc_lo
	v_cmp_eq_u32_e32 vcc_lo, 0, v16
	v_add_nc_u32_e32 v16, 0xffffff91, v16
	v_cndmask_b32_e64 v21, v21, 0x6f, vcc_lo
	v_cndmask_b32_e32 v17, v22, v17, vcc_lo
	v_cndmask_b32_e64 v16, v16, 0xffffff92, vcc_lo
	v_lshl_add_u32 v22, 0x200000, v21, -1
	v_lshrrev_b32_e32 v23, v21, v17
	v_lshlrev_b32_e64 v26, v21, 0x100000
	v_add_nc_u32_e32 v21, v21, v16
	v_and_b32_e32 v17, v22, v17
	v_bfe_u32 v25, v23, 21, 1
	v_cmp_eq_u32_e64 s16, v17, v26
	v_add_nc_u32_e32 v22, -1, v25
	v_cndmask_b32_e64 v17, 0, v22, s16
	v_lshrrev_b32_e32 v22, 23, v23
	s_mov_b32 s16, exec_lo
	v_add_nc_u32_e32 v17, v17, v23
	v_xor_b32_e32 v22, 1, v22
	v_and_b32_e32 v16, 0x1fffff, v17
	v_add_nc_u32_e32 v17, v16, v23
                                        ; implicit-def: $vgpr16
	v_cmpx_ne_u32_e64 v21, v22
	s_xor_b32 s16, exec_lo, s16
; %bb.11436:                            ;   in Loop: Header=BB6_11223 Depth=3
	v_cmp_lt_u32_e32 vcc_lo, 0xffffff, v17
	v_sub_nc_u32_e32 v16, v21, v22
	v_cndmask_b32_e64 v21, 0, 1, vcc_lo
	v_add_co_ci_u32_e64 v16, null, 0, v16, vcc_lo
	v_lshrrev_b32_e32 v17, v21, v17
; %bb.11437:                            ;   in Loop: Header=BB6_11223 Depth=3
	s_andn2_saveexec_b32 s16, s16
; %bb.11438:                            ;   in Loop: Header=BB6_11223 Depth=3
	v_bfe_u32 v16, v17, 23, 1
; %bb.11439:                            ;   in Loop: Header=BB6_11223 Depth=3
	s_or_b32 exec_lo, exec_lo, s16
	v_lshrrev_b32_e32 v17, 21, v17
	v_cmp_gt_i32_e32 vcc_lo, 32, v16
	v_min_i32_e32 v21, 31, v16
	v_and_b32_sdwa v6, v6, v117 dst_sel:DWORD dst_unused:UNUSED_PAD src0_sel:BYTE_3 src1_sel:DWORD
	v_cndmask_b32_e32 v17, 3, v17, vcc_lo
	v_lshlrev_b32_e32 v21, 2, v21
	v_and_b32_e32 v22, 3, v17
	v_or_b32_e32 v16, v16, v17
	v_or3_b32 v6, v21, v6, v22
	v_cmp_ne_u32_e32 vcc_lo, 0, v16
	v_cndmask_b32_e32 v85, 0, v6, vcc_lo
.LBB6_11440:                            ;   in Loop: Header=BB6_11223 Depth=3
	s_or_b32 exec_lo, exec_lo, s23
.LBB6_11441:                            ;   in Loop: Header=BB6_11223 Depth=3
	s_or_b32 exec_lo, exec_lo, s19
	flat_load_ubyte v6, v[12:13] offset:480 slc
	s_mov_b32 s16, 0
	s_mov_b32 s19, exec_lo
	s_waitcnt vmcnt(0) lgkmcnt(0)
	v_cmpx_lt_i16_e32 0x7f, v6
	s_xor_b32 s19, exec_lo, s19
	s_cbranch_execz .LBB6_12347
; %bb.11442:                            ;   in Loop: Header=BB6_11223 Depth=3
	s_mov_b32 s16, -1
	s_mov_b32 s23, exec_lo
	v_cmpx_eq_u16_e32 0x80, v6
; %bb.11443:                            ;   in Loop: Header=BB6_11223 Depth=3
	s_xor_b32 s16, exec_lo, -1
; %bb.11444:                            ;   in Loop: Header=BB6_11223 Depth=3
	s_or_b32 exec_lo, exec_lo, s23
	s_and_b32 s16, s16, exec_lo
	s_or_saveexec_b32 s19, s19
	v_mov_b32_e32 v16, 0x7f800001
	s_xor_b32 exec_lo, exec_lo, s19
	s_cbranch_execnz .LBB6_12348
.LBB6_11445:                            ;   in Loop: Header=BB6_11223 Depth=3
	s_or_b32 exec_lo, exec_lo, s19
	s_and_saveexec_b32 s19, s16
	s_cbranch_execz .LBB6_11447
.LBB6_11446:                            ;   in Loop: Header=BB6_11223 Depth=3
	v_and_b32_e32 v16, 0xffff, v6
	v_lshlrev_b32_e32 v6, 24, v6
	v_and_b32_e32 v17, 3, v16
	v_bfe_u32 v23, v16, 2, 5
	v_and_b32_e32 v6, 0x80000000, v6
	v_ffbh_u32_e32 v21, v17
	v_cmp_eq_u32_e32 vcc_lo, 0, v23
	v_min_u32_e32 v21, 32, v21
	v_subrev_nc_u32_e32 v22, 29, v21
	v_sub_nc_u32_e32 v21, 30, v21
	v_lshlrev_b32_e32 v16, v22, v16
	v_cndmask_b32_e32 v21, v23, v21, vcc_lo
	v_and_b32_e32 v16, 3, v16
	v_cndmask_b32_e32 v16, v17, v16, vcc_lo
	v_lshl_add_u32 v17, v21, 23, 0x37800000
	v_lshlrev_b32_e32 v16, 21, v16
	v_or3_b32 v16, v6, v17, v16
.LBB6_11447:                            ;   in Loop: Header=BB6_11223 Depth=3
	s_or_b32 exec_lo, exec_lo, s19
	v_mul_f32_e32 v6, v0, v16
	v_mov_b32_e32 v84, 0x80
	s_mov_b32 s19, exec_lo
	v_and_b32_e32 v16, 0x7f800000, v6
	v_cmpx_ne_u32_e32 0x7f800000, v16
	s_cbranch_execz .LBB6_11455
; %bb.11448:                            ;   in Loop: Header=BB6_11223 Depth=3
	v_mov_b32_e32 v84, 0
	s_mov_b32 s23, exec_lo
	v_cmpx_ne_u32_e32 0, v6
	s_cbranch_execz .LBB6_11454
; %bb.11449:                            ;   in Loop: Header=BB6_11223 Depth=3
	v_bfe_u32 v16, v6, 23, 8
	v_and_b32_e32 v17, 0x7fffff, v6
	v_sub_nc_u32_e32 v21, 0x70, v16
	v_cmp_gt_u32_e32 vcc_lo, 0x71, v16
	v_or_b32_e32 v22, 0x800000, v17
	v_cndmask_b32_e32 v21, 0, v21, vcc_lo
	v_cmp_eq_u32_e32 vcc_lo, 0, v16
	v_add_nc_u32_e32 v16, 0xffffff91, v16
	v_cndmask_b32_e64 v21, v21, 0x6f, vcc_lo
	v_cndmask_b32_e32 v17, v22, v17, vcc_lo
	v_cndmask_b32_e64 v16, v16, 0xffffff92, vcc_lo
	v_lshl_add_u32 v22, 0x200000, v21, -1
	v_lshrrev_b32_e32 v23, v21, v17
	v_lshlrev_b32_e64 v26, v21, 0x100000
	v_add_nc_u32_e32 v21, v21, v16
	v_and_b32_e32 v17, v22, v17
	v_bfe_u32 v25, v23, 21, 1
	v_cmp_eq_u32_e64 s16, v17, v26
	v_add_nc_u32_e32 v22, -1, v25
	v_cndmask_b32_e64 v17, 0, v22, s16
	v_lshrrev_b32_e32 v22, 23, v23
	s_mov_b32 s16, exec_lo
	v_add_nc_u32_e32 v17, v17, v23
	v_xor_b32_e32 v22, 1, v22
	v_and_b32_e32 v16, 0x1fffff, v17
	v_add_nc_u32_e32 v17, v16, v23
                                        ; implicit-def: $vgpr16
	v_cmpx_ne_u32_e64 v21, v22
	s_xor_b32 s16, exec_lo, s16
; %bb.11450:                            ;   in Loop: Header=BB6_11223 Depth=3
	v_cmp_lt_u32_e32 vcc_lo, 0xffffff, v17
	v_sub_nc_u32_e32 v16, v21, v22
	v_cndmask_b32_e64 v21, 0, 1, vcc_lo
	v_add_co_ci_u32_e64 v16, null, 0, v16, vcc_lo
	v_lshrrev_b32_e32 v17, v21, v17
; %bb.11451:                            ;   in Loop: Header=BB6_11223 Depth=3
	s_andn2_saveexec_b32 s16, s16
; %bb.11452:                            ;   in Loop: Header=BB6_11223 Depth=3
	v_bfe_u32 v16, v17, 23, 1
; %bb.11453:                            ;   in Loop: Header=BB6_11223 Depth=3
	s_or_b32 exec_lo, exec_lo, s16
	v_lshrrev_b32_e32 v17, 21, v17
	v_cmp_gt_i32_e32 vcc_lo, 32, v16
	v_min_i32_e32 v21, 31, v16
	v_and_b32_sdwa v6, v6, v117 dst_sel:DWORD dst_unused:UNUSED_PAD src0_sel:BYTE_3 src1_sel:DWORD
	v_cndmask_b32_e32 v17, 3, v17, vcc_lo
	v_lshlrev_b32_e32 v21, 2, v21
	v_and_b32_e32 v22, 3, v17
	v_or_b32_e32 v16, v16, v17
	v_or3_b32 v6, v21, v6, v22
	v_cmp_ne_u32_e32 vcc_lo, 0, v16
	v_cndmask_b32_e32 v84, 0, v6, vcc_lo
.LBB6_11454:                            ;   in Loop: Header=BB6_11223 Depth=3
	s_or_b32 exec_lo, exec_lo, s23
.LBB6_11455:                            ;   in Loop: Header=BB6_11223 Depth=3
	s_or_b32 exec_lo, exec_lo, s19
	flat_load_ubyte v6, v[12:13] offset:512 slc
	s_mov_b32 s16, 0
	s_mov_b32 s19, exec_lo
	s_waitcnt vmcnt(0) lgkmcnt(0)
	v_cmpx_lt_i16_e32 0x7f, v6
	s_xor_b32 s19, exec_lo, s19
	s_cbranch_execz .LBB6_12349
; %bb.11456:                            ;   in Loop: Header=BB6_11223 Depth=3
	s_mov_b32 s16, -1
	s_mov_b32 s23, exec_lo
	v_cmpx_eq_u16_e32 0x80, v6
; %bb.11457:                            ;   in Loop: Header=BB6_11223 Depth=3
	s_xor_b32 s16, exec_lo, -1
; %bb.11458:                            ;   in Loop: Header=BB6_11223 Depth=3
	s_or_b32 exec_lo, exec_lo, s23
	s_and_b32 s16, s16, exec_lo
	s_or_saveexec_b32 s19, s19
	v_mov_b32_e32 v16, 0x7f800001
	s_xor_b32 exec_lo, exec_lo, s19
	s_cbranch_execnz .LBB6_12350
.LBB6_11459:                            ;   in Loop: Header=BB6_11223 Depth=3
	s_or_b32 exec_lo, exec_lo, s19
	s_and_saveexec_b32 s19, s16
	s_cbranch_execz .LBB6_11461
.LBB6_11460:                            ;   in Loop: Header=BB6_11223 Depth=3
	v_and_b32_e32 v16, 0xffff, v6
	v_lshlrev_b32_e32 v6, 24, v6
	v_and_b32_e32 v17, 3, v16
	v_bfe_u32 v23, v16, 2, 5
	v_and_b32_e32 v6, 0x80000000, v6
	v_ffbh_u32_e32 v21, v17
	v_cmp_eq_u32_e32 vcc_lo, 0, v23
	v_min_u32_e32 v21, 32, v21
	v_subrev_nc_u32_e32 v22, 29, v21
	v_sub_nc_u32_e32 v21, 30, v21
	v_lshlrev_b32_e32 v16, v22, v16
	v_cndmask_b32_e32 v21, v23, v21, vcc_lo
	v_and_b32_e32 v16, 3, v16
	v_cndmask_b32_e32 v16, v17, v16, vcc_lo
	v_lshl_add_u32 v17, v21, 23, 0x37800000
	v_lshlrev_b32_e32 v16, 21, v16
	v_or3_b32 v16, v6, v17, v16
.LBB6_11461:                            ;   in Loop: Header=BB6_11223 Depth=3
	s_or_b32 exec_lo, exec_lo, s19
	v_mul_f32_e32 v6, v0, v16
	v_mov_b32_e32 v82, 0x80
	s_mov_b32 s19, exec_lo
	v_and_b32_e32 v16, 0x7f800000, v6
	v_cmpx_ne_u32_e32 0x7f800000, v16
	s_cbranch_execz .LBB6_11469
; %bb.11462:                            ;   in Loop: Header=BB6_11223 Depth=3
	v_mov_b32_e32 v82, 0
	s_mov_b32 s23, exec_lo
	v_cmpx_ne_u32_e32 0, v6
	s_cbranch_execz .LBB6_11468
; %bb.11463:                            ;   in Loop: Header=BB6_11223 Depth=3
	v_bfe_u32 v16, v6, 23, 8
	v_and_b32_e32 v17, 0x7fffff, v6
	v_sub_nc_u32_e32 v21, 0x70, v16
	v_cmp_gt_u32_e32 vcc_lo, 0x71, v16
	v_or_b32_e32 v22, 0x800000, v17
	v_cndmask_b32_e32 v21, 0, v21, vcc_lo
	v_cmp_eq_u32_e32 vcc_lo, 0, v16
	v_add_nc_u32_e32 v16, 0xffffff91, v16
	v_cndmask_b32_e64 v21, v21, 0x6f, vcc_lo
	v_cndmask_b32_e32 v17, v22, v17, vcc_lo
	v_cndmask_b32_e64 v16, v16, 0xffffff92, vcc_lo
	v_lshl_add_u32 v22, 0x200000, v21, -1
	v_lshrrev_b32_e32 v23, v21, v17
	v_lshlrev_b32_e64 v26, v21, 0x100000
	v_add_nc_u32_e32 v21, v21, v16
	v_and_b32_e32 v17, v22, v17
	v_bfe_u32 v25, v23, 21, 1
	v_cmp_eq_u32_e64 s16, v17, v26
	v_add_nc_u32_e32 v22, -1, v25
	v_cndmask_b32_e64 v17, 0, v22, s16
	v_lshrrev_b32_e32 v22, 23, v23
	s_mov_b32 s16, exec_lo
	v_add_nc_u32_e32 v17, v17, v23
	v_xor_b32_e32 v22, 1, v22
	v_and_b32_e32 v16, 0x1fffff, v17
	v_add_nc_u32_e32 v17, v16, v23
                                        ; implicit-def: $vgpr16
	v_cmpx_ne_u32_e64 v21, v22
	s_xor_b32 s16, exec_lo, s16
; %bb.11464:                            ;   in Loop: Header=BB6_11223 Depth=3
	v_cmp_lt_u32_e32 vcc_lo, 0xffffff, v17
	v_sub_nc_u32_e32 v16, v21, v22
	v_cndmask_b32_e64 v21, 0, 1, vcc_lo
	v_add_co_ci_u32_e64 v16, null, 0, v16, vcc_lo
	v_lshrrev_b32_e32 v17, v21, v17
; %bb.11465:                            ;   in Loop: Header=BB6_11223 Depth=3
	s_andn2_saveexec_b32 s16, s16
; %bb.11466:                            ;   in Loop: Header=BB6_11223 Depth=3
	v_bfe_u32 v16, v17, 23, 1
; %bb.11467:                            ;   in Loop: Header=BB6_11223 Depth=3
	s_or_b32 exec_lo, exec_lo, s16
	v_lshrrev_b32_e32 v17, 21, v17
	v_cmp_gt_i32_e32 vcc_lo, 32, v16
	v_min_i32_e32 v21, 31, v16
	v_and_b32_sdwa v6, v6, v117 dst_sel:DWORD dst_unused:UNUSED_PAD src0_sel:BYTE_3 src1_sel:DWORD
	v_cndmask_b32_e32 v17, 3, v17, vcc_lo
	v_lshlrev_b32_e32 v21, 2, v21
	v_and_b32_e32 v22, 3, v17
	v_or_b32_e32 v16, v16, v17
	v_or3_b32 v6, v21, v6, v22
	v_cmp_ne_u32_e32 vcc_lo, 0, v16
	v_cndmask_b32_e32 v82, 0, v6, vcc_lo
.LBB6_11468:                            ;   in Loop: Header=BB6_11223 Depth=3
	s_or_b32 exec_lo, exec_lo, s23
.LBB6_11469:                            ;   in Loop: Header=BB6_11223 Depth=3
	s_or_b32 exec_lo, exec_lo, s19
	flat_load_ubyte v6, v[12:13] offset:544 slc
	s_mov_b32 s16, 0
	s_mov_b32 s19, exec_lo
	s_waitcnt vmcnt(0) lgkmcnt(0)
	v_cmpx_lt_i16_e32 0x7f, v6
	s_xor_b32 s19, exec_lo, s19
	s_cbranch_execz .LBB6_12351
; %bb.11470:                            ;   in Loop: Header=BB6_11223 Depth=3
	s_mov_b32 s16, -1
	s_mov_b32 s23, exec_lo
	v_cmpx_eq_u16_e32 0x80, v6
; %bb.11471:                            ;   in Loop: Header=BB6_11223 Depth=3
	s_xor_b32 s16, exec_lo, -1
; %bb.11472:                            ;   in Loop: Header=BB6_11223 Depth=3
	s_or_b32 exec_lo, exec_lo, s23
	s_and_b32 s16, s16, exec_lo
	s_or_saveexec_b32 s19, s19
	v_mov_b32_e32 v16, 0x7f800001
	s_xor_b32 exec_lo, exec_lo, s19
	s_cbranch_execnz .LBB6_12352
.LBB6_11473:                            ;   in Loop: Header=BB6_11223 Depth=3
	s_or_b32 exec_lo, exec_lo, s19
	s_and_saveexec_b32 s19, s16
	s_cbranch_execz .LBB6_11475
.LBB6_11474:                            ;   in Loop: Header=BB6_11223 Depth=3
	v_and_b32_e32 v16, 0xffff, v6
	v_lshlrev_b32_e32 v6, 24, v6
	v_and_b32_e32 v17, 3, v16
	v_bfe_u32 v23, v16, 2, 5
	v_and_b32_e32 v6, 0x80000000, v6
	v_ffbh_u32_e32 v21, v17
	v_cmp_eq_u32_e32 vcc_lo, 0, v23
	v_min_u32_e32 v21, 32, v21
	v_subrev_nc_u32_e32 v22, 29, v21
	v_sub_nc_u32_e32 v21, 30, v21
	v_lshlrev_b32_e32 v16, v22, v16
	v_cndmask_b32_e32 v21, v23, v21, vcc_lo
	v_and_b32_e32 v16, 3, v16
	v_cndmask_b32_e32 v16, v17, v16, vcc_lo
	v_lshl_add_u32 v17, v21, 23, 0x37800000
	v_lshlrev_b32_e32 v16, 21, v16
	v_or3_b32 v16, v6, v17, v16
.LBB6_11475:                            ;   in Loop: Header=BB6_11223 Depth=3
	s_or_b32 exec_lo, exec_lo, s19
	v_mul_f32_e32 v6, v0, v16
	v_mov_b32_e32 v80, 0x80
	s_mov_b32 s19, exec_lo
	v_and_b32_e32 v16, 0x7f800000, v6
	v_cmpx_ne_u32_e32 0x7f800000, v16
	s_cbranch_execz .LBB6_11483
; %bb.11476:                            ;   in Loop: Header=BB6_11223 Depth=3
	v_mov_b32_e32 v80, 0
	s_mov_b32 s23, exec_lo
	v_cmpx_ne_u32_e32 0, v6
	s_cbranch_execz .LBB6_11482
; %bb.11477:                            ;   in Loop: Header=BB6_11223 Depth=3
	v_bfe_u32 v16, v6, 23, 8
	v_and_b32_e32 v17, 0x7fffff, v6
	v_sub_nc_u32_e32 v21, 0x70, v16
	v_cmp_gt_u32_e32 vcc_lo, 0x71, v16
	v_or_b32_e32 v22, 0x800000, v17
	v_cndmask_b32_e32 v21, 0, v21, vcc_lo
	v_cmp_eq_u32_e32 vcc_lo, 0, v16
	v_add_nc_u32_e32 v16, 0xffffff91, v16
	v_cndmask_b32_e64 v21, v21, 0x6f, vcc_lo
	v_cndmask_b32_e32 v17, v22, v17, vcc_lo
	v_cndmask_b32_e64 v16, v16, 0xffffff92, vcc_lo
	v_lshl_add_u32 v22, 0x200000, v21, -1
	v_lshrrev_b32_e32 v23, v21, v17
	v_lshlrev_b32_e64 v26, v21, 0x100000
	v_add_nc_u32_e32 v21, v21, v16
	v_and_b32_e32 v17, v22, v17
	v_bfe_u32 v25, v23, 21, 1
	v_cmp_eq_u32_e64 s16, v17, v26
	v_add_nc_u32_e32 v22, -1, v25
	v_cndmask_b32_e64 v17, 0, v22, s16
	v_lshrrev_b32_e32 v22, 23, v23
	s_mov_b32 s16, exec_lo
	v_add_nc_u32_e32 v17, v17, v23
	v_xor_b32_e32 v22, 1, v22
	v_and_b32_e32 v16, 0x1fffff, v17
	v_add_nc_u32_e32 v17, v16, v23
                                        ; implicit-def: $vgpr16
	v_cmpx_ne_u32_e64 v21, v22
	s_xor_b32 s16, exec_lo, s16
; %bb.11478:                            ;   in Loop: Header=BB6_11223 Depth=3
	v_cmp_lt_u32_e32 vcc_lo, 0xffffff, v17
	v_sub_nc_u32_e32 v16, v21, v22
	v_cndmask_b32_e64 v21, 0, 1, vcc_lo
	v_add_co_ci_u32_e64 v16, null, 0, v16, vcc_lo
	v_lshrrev_b32_e32 v17, v21, v17
; %bb.11479:                            ;   in Loop: Header=BB6_11223 Depth=3
	s_andn2_saveexec_b32 s16, s16
; %bb.11480:                            ;   in Loop: Header=BB6_11223 Depth=3
	v_bfe_u32 v16, v17, 23, 1
; %bb.11481:                            ;   in Loop: Header=BB6_11223 Depth=3
	s_or_b32 exec_lo, exec_lo, s16
	v_lshrrev_b32_e32 v17, 21, v17
	v_cmp_gt_i32_e32 vcc_lo, 32, v16
	v_min_i32_e32 v21, 31, v16
	v_and_b32_sdwa v6, v6, v117 dst_sel:DWORD dst_unused:UNUSED_PAD src0_sel:BYTE_3 src1_sel:DWORD
	v_cndmask_b32_e32 v17, 3, v17, vcc_lo
	v_lshlrev_b32_e32 v21, 2, v21
	v_and_b32_e32 v22, 3, v17
	v_or_b32_e32 v16, v16, v17
	v_or3_b32 v6, v21, v6, v22
	v_cmp_ne_u32_e32 vcc_lo, 0, v16
	v_cndmask_b32_e32 v80, 0, v6, vcc_lo
.LBB6_11482:                            ;   in Loop: Header=BB6_11223 Depth=3
	s_or_b32 exec_lo, exec_lo, s23
.LBB6_11483:                            ;   in Loop: Header=BB6_11223 Depth=3
	s_or_b32 exec_lo, exec_lo, s19
	flat_load_ubyte v6, v[12:13] offset:576 slc
	s_mov_b32 s16, 0
	s_mov_b32 s19, exec_lo
	s_waitcnt vmcnt(0) lgkmcnt(0)
	v_cmpx_lt_i16_e32 0x7f, v6
	s_xor_b32 s19, exec_lo, s19
	s_cbranch_execz .LBB6_12353
; %bb.11484:                            ;   in Loop: Header=BB6_11223 Depth=3
	s_mov_b32 s16, -1
	s_mov_b32 s23, exec_lo
	v_cmpx_eq_u16_e32 0x80, v6
; %bb.11485:                            ;   in Loop: Header=BB6_11223 Depth=3
	s_xor_b32 s16, exec_lo, -1
; %bb.11486:                            ;   in Loop: Header=BB6_11223 Depth=3
	s_or_b32 exec_lo, exec_lo, s23
	s_and_b32 s16, s16, exec_lo
	s_or_saveexec_b32 s19, s19
	v_mov_b32_e32 v16, 0x7f800001
	s_xor_b32 exec_lo, exec_lo, s19
	s_cbranch_execnz .LBB6_12354
.LBB6_11487:                            ;   in Loop: Header=BB6_11223 Depth=3
	s_or_b32 exec_lo, exec_lo, s19
	s_and_saveexec_b32 s19, s16
	s_cbranch_execz .LBB6_11489
.LBB6_11488:                            ;   in Loop: Header=BB6_11223 Depth=3
	v_and_b32_e32 v16, 0xffff, v6
	v_lshlrev_b32_e32 v6, 24, v6
	v_and_b32_e32 v17, 3, v16
	v_bfe_u32 v23, v16, 2, 5
	v_and_b32_e32 v6, 0x80000000, v6
	v_ffbh_u32_e32 v21, v17
	v_cmp_eq_u32_e32 vcc_lo, 0, v23
	v_min_u32_e32 v21, 32, v21
	v_subrev_nc_u32_e32 v22, 29, v21
	v_sub_nc_u32_e32 v21, 30, v21
	v_lshlrev_b32_e32 v16, v22, v16
	v_cndmask_b32_e32 v21, v23, v21, vcc_lo
	v_and_b32_e32 v16, 3, v16
	v_cndmask_b32_e32 v16, v17, v16, vcc_lo
	v_lshl_add_u32 v17, v21, 23, 0x37800000
	v_lshlrev_b32_e32 v16, 21, v16
	v_or3_b32 v16, v6, v17, v16
.LBB6_11489:                            ;   in Loop: Header=BB6_11223 Depth=3
	s_or_b32 exec_lo, exec_lo, s19
	v_mul_f32_e32 v6, v0, v16
	v_mov_b32_e32 v66, 0x80
	s_mov_b32 s19, exec_lo
	v_and_b32_e32 v16, 0x7f800000, v6
	v_cmpx_ne_u32_e32 0x7f800000, v16
	s_cbranch_execz .LBB6_11497
; %bb.11490:                            ;   in Loop: Header=BB6_11223 Depth=3
	v_mov_b32_e32 v66, 0
	s_mov_b32 s23, exec_lo
	v_cmpx_ne_u32_e32 0, v6
	s_cbranch_execz .LBB6_11496
; %bb.11491:                            ;   in Loop: Header=BB6_11223 Depth=3
	v_bfe_u32 v16, v6, 23, 8
	v_and_b32_e32 v17, 0x7fffff, v6
	v_sub_nc_u32_e32 v21, 0x70, v16
	v_cmp_gt_u32_e32 vcc_lo, 0x71, v16
	v_or_b32_e32 v22, 0x800000, v17
	v_cndmask_b32_e32 v21, 0, v21, vcc_lo
	v_cmp_eq_u32_e32 vcc_lo, 0, v16
	v_add_nc_u32_e32 v16, 0xffffff91, v16
	v_cndmask_b32_e64 v21, v21, 0x6f, vcc_lo
	v_cndmask_b32_e32 v17, v22, v17, vcc_lo
	v_cndmask_b32_e64 v16, v16, 0xffffff92, vcc_lo
	v_lshl_add_u32 v22, 0x200000, v21, -1
	v_lshrrev_b32_e32 v23, v21, v17
	v_lshlrev_b32_e64 v26, v21, 0x100000
	v_add_nc_u32_e32 v21, v21, v16
	v_and_b32_e32 v17, v22, v17
	v_bfe_u32 v25, v23, 21, 1
	v_cmp_eq_u32_e64 s16, v17, v26
	v_add_nc_u32_e32 v22, -1, v25
	v_cndmask_b32_e64 v17, 0, v22, s16
	v_lshrrev_b32_e32 v22, 23, v23
	s_mov_b32 s16, exec_lo
	v_add_nc_u32_e32 v17, v17, v23
	v_xor_b32_e32 v22, 1, v22
	v_and_b32_e32 v16, 0x1fffff, v17
	v_add_nc_u32_e32 v17, v16, v23
                                        ; implicit-def: $vgpr16
	v_cmpx_ne_u32_e64 v21, v22
	s_xor_b32 s16, exec_lo, s16
; %bb.11492:                            ;   in Loop: Header=BB6_11223 Depth=3
	v_cmp_lt_u32_e32 vcc_lo, 0xffffff, v17
	v_sub_nc_u32_e32 v16, v21, v22
	v_cndmask_b32_e64 v21, 0, 1, vcc_lo
	v_add_co_ci_u32_e64 v16, null, 0, v16, vcc_lo
	v_lshrrev_b32_e32 v17, v21, v17
; %bb.11493:                            ;   in Loop: Header=BB6_11223 Depth=3
	s_andn2_saveexec_b32 s16, s16
; %bb.11494:                            ;   in Loop: Header=BB6_11223 Depth=3
	v_bfe_u32 v16, v17, 23, 1
; %bb.11495:                            ;   in Loop: Header=BB6_11223 Depth=3
	s_or_b32 exec_lo, exec_lo, s16
	v_lshrrev_b32_e32 v17, 21, v17
	v_cmp_gt_i32_e32 vcc_lo, 32, v16
	v_min_i32_e32 v21, 31, v16
	v_and_b32_sdwa v6, v6, v117 dst_sel:DWORD dst_unused:UNUSED_PAD src0_sel:BYTE_3 src1_sel:DWORD
	v_cndmask_b32_e32 v17, 3, v17, vcc_lo
	v_lshlrev_b32_e32 v21, 2, v21
	v_and_b32_e32 v22, 3, v17
	v_or_b32_e32 v16, v16, v17
	v_or3_b32 v6, v21, v6, v22
	v_cmp_ne_u32_e32 vcc_lo, 0, v16
	v_cndmask_b32_e32 v66, 0, v6, vcc_lo
.LBB6_11496:                            ;   in Loop: Header=BB6_11223 Depth=3
	s_or_b32 exec_lo, exec_lo, s23
.LBB6_11497:                            ;   in Loop: Header=BB6_11223 Depth=3
	s_or_b32 exec_lo, exec_lo, s19
	flat_load_ubyte v6, v[12:13] offset:608 slc
	s_mov_b32 s16, 0
	s_mov_b32 s19, exec_lo
	s_waitcnt vmcnt(0) lgkmcnt(0)
	v_cmpx_lt_i16_e32 0x7f, v6
	s_xor_b32 s19, exec_lo, s19
	s_cbranch_execz .LBB6_12355
; %bb.11498:                            ;   in Loop: Header=BB6_11223 Depth=3
	s_mov_b32 s16, -1
	s_mov_b32 s23, exec_lo
	v_cmpx_eq_u16_e32 0x80, v6
; %bb.11499:                            ;   in Loop: Header=BB6_11223 Depth=3
	s_xor_b32 s16, exec_lo, -1
; %bb.11500:                            ;   in Loop: Header=BB6_11223 Depth=3
	s_or_b32 exec_lo, exec_lo, s23
	s_and_b32 s16, s16, exec_lo
	s_or_saveexec_b32 s19, s19
	v_mov_b32_e32 v16, 0x7f800001
	s_xor_b32 exec_lo, exec_lo, s19
	s_cbranch_execnz .LBB6_12356
.LBB6_11501:                            ;   in Loop: Header=BB6_11223 Depth=3
	s_or_b32 exec_lo, exec_lo, s19
	s_and_saveexec_b32 s19, s16
	s_cbranch_execz .LBB6_11503
.LBB6_11502:                            ;   in Loop: Header=BB6_11223 Depth=3
	v_and_b32_e32 v16, 0xffff, v6
	v_lshlrev_b32_e32 v6, 24, v6
	v_and_b32_e32 v17, 3, v16
	v_bfe_u32 v23, v16, 2, 5
	v_and_b32_e32 v6, 0x80000000, v6
	v_ffbh_u32_e32 v21, v17
	v_cmp_eq_u32_e32 vcc_lo, 0, v23
	v_min_u32_e32 v21, 32, v21
	v_subrev_nc_u32_e32 v22, 29, v21
	v_sub_nc_u32_e32 v21, 30, v21
	v_lshlrev_b32_e32 v16, v22, v16
	v_cndmask_b32_e32 v21, v23, v21, vcc_lo
	v_and_b32_e32 v16, 3, v16
	v_cndmask_b32_e32 v16, v17, v16, vcc_lo
	v_lshl_add_u32 v17, v21, 23, 0x37800000
	v_lshlrev_b32_e32 v16, 21, v16
	v_or3_b32 v16, v6, v17, v16
.LBB6_11503:                            ;   in Loop: Header=BB6_11223 Depth=3
	s_or_b32 exec_lo, exec_lo, s19
	v_mul_f32_e32 v6, v0, v16
	v_mov_b32_e32 v54, 0x80
	s_mov_b32 s19, exec_lo
	v_and_b32_e32 v16, 0x7f800000, v6
	v_cmpx_ne_u32_e32 0x7f800000, v16
	s_cbranch_execz .LBB6_11511
; %bb.11504:                            ;   in Loop: Header=BB6_11223 Depth=3
	v_mov_b32_e32 v54, 0
	s_mov_b32 s23, exec_lo
	v_cmpx_ne_u32_e32 0, v6
	s_cbranch_execz .LBB6_11510
; %bb.11505:                            ;   in Loop: Header=BB6_11223 Depth=3
	v_bfe_u32 v16, v6, 23, 8
	v_and_b32_e32 v17, 0x7fffff, v6
	v_sub_nc_u32_e32 v21, 0x70, v16
	v_cmp_gt_u32_e32 vcc_lo, 0x71, v16
	v_or_b32_e32 v22, 0x800000, v17
	v_cndmask_b32_e32 v21, 0, v21, vcc_lo
	v_cmp_eq_u32_e32 vcc_lo, 0, v16
	v_add_nc_u32_e32 v16, 0xffffff91, v16
	v_cndmask_b32_e64 v21, v21, 0x6f, vcc_lo
	v_cndmask_b32_e32 v17, v22, v17, vcc_lo
	v_cndmask_b32_e64 v16, v16, 0xffffff92, vcc_lo
	v_lshl_add_u32 v22, 0x200000, v21, -1
	v_lshrrev_b32_e32 v23, v21, v17
	v_lshlrev_b32_e64 v26, v21, 0x100000
	v_add_nc_u32_e32 v21, v21, v16
	v_and_b32_e32 v17, v22, v17
	v_bfe_u32 v25, v23, 21, 1
	v_cmp_eq_u32_e64 s16, v17, v26
	v_add_nc_u32_e32 v22, -1, v25
	v_cndmask_b32_e64 v17, 0, v22, s16
	v_lshrrev_b32_e32 v22, 23, v23
	s_mov_b32 s16, exec_lo
	v_add_nc_u32_e32 v17, v17, v23
	v_xor_b32_e32 v22, 1, v22
	v_and_b32_e32 v16, 0x1fffff, v17
	v_add_nc_u32_e32 v17, v16, v23
                                        ; implicit-def: $vgpr16
	v_cmpx_ne_u32_e64 v21, v22
	s_xor_b32 s16, exec_lo, s16
; %bb.11506:                            ;   in Loop: Header=BB6_11223 Depth=3
	v_cmp_lt_u32_e32 vcc_lo, 0xffffff, v17
	v_sub_nc_u32_e32 v16, v21, v22
	v_cndmask_b32_e64 v21, 0, 1, vcc_lo
	v_add_co_ci_u32_e64 v16, null, 0, v16, vcc_lo
	v_lshrrev_b32_e32 v17, v21, v17
; %bb.11507:                            ;   in Loop: Header=BB6_11223 Depth=3
	s_andn2_saveexec_b32 s16, s16
; %bb.11508:                            ;   in Loop: Header=BB6_11223 Depth=3
	v_bfe_u32 v16, v17, 23, 1
; %bb.11509:                            ;   in Loop: Header=BB6_11223 Depth=3
	s_or_b32 exec_lo, exec_lo, s16
	v_lshrrev_b32_e32 v17, 21, v17
	v_cmp_gt_i32_e32 vcc_lo, 32, v16
	v_min_i32_e32 v21, 31, v16
	v_and_b32_sdwa v6, v6, v117 dst_sel:DWORD dst_unused:UNUSED_PAD src0_sel:BYTE_3 src1_sel:DWORD
	v_cndmask_b32_e32 v17, 3, v17, vcc_lo
	v_lshlrev_b32_e32 v21, 2, v21
	v_and_b32_e32 v22, 3, v17
	v_or_b32_e32 v16, v16, v17
	v_or3_b32 v6, v21, v6, v22
	v_cmp_ne_u32_e32 vcc_lo, 0, v16
	v_cndmask_b32_e32 v54, 0, v6, vcc_lo
.LBB6_11510:                            ;   in Loop: Header=BB6_11223 Depth=3
	s_or_b32 exec_lo, exec_lo, s23
.LBB6_11511:                            ;   in Loop: Header=BB6_11223 Depth=3
	s_or_b32 exec_lo, exec_lo, s19
	flat_load_ubyte v6, v[12:13] offset:640 slc
	s_mov_b32 s16, 0
	s_mov_b32 s19, exec_lo
	s_waitcnt vmcnt(0) lgkmcnt(0)
	v_cmpx_lt_i16_e32 0x7f, v6
	s_xor_b32 s19, exec_lo, s19
	s_cbranch_execz .LBB6_12357
; %bb.11512:                            ;   in Loop: Header=BB6_11223 Depth=3
	s_mov_b32 s16, -1
	s_mov_b32 s23, exec_lo
	v_cmpx_eq_u16_e32 0x80, v6
; %bb.11513:                            ;   in Loop: Header=BB6_11223 Depth=3
	s_xor_b32 s16, exec_lo, -1
; %bb.11514:                            ;   in Loop: Header=BB6_11223 Depth=3
	s_or_b32 exec_lo, exec_lo, s23
	s_and_b32 s16, s16, exec_lo
	s_or_saveexec_b32 s19, s19
	v_mov_b32_e32 v16, 0x7f800001
	s_xor_b32 exec_lo, exec_lo, s19
	s_cbranch_execnz .LBB6_12358
.LBB6_11515:                            ;   in Loop: Header=BB6_11223 Depth=3
	s_or_b32 exec_lo, exec_lo, s19
	s_and_saveexec_b32 s19, s16
	s_cbranch_execz .LBB6_11517
.LBB6_11516:                            ;   in Loop: Header=BB6_11223 Depth=3
	v_and_b32_e32 v16, 0xffff, v6
	v_lshlrev_b32_e32 v6, 24, v6
	v_and_b32_e32 v17, 3, v16
	v_bfe_u32 v23, v16, 2, 5
	v_and_b32_e32 v6, 0x80000000, v6
	v_ffbh_u32_e32 v21, v17
	v_cmp_eq_u32_e32 vcc_lo, 0, v23
	v_min_u32_e32 v21, 32, v21
	v_subrev_nc_u32_e32 v22, 29, v21
	v_sub_nc_u32_e32 v21, 30, v21
	v_lshlrev_b32_e32 v16, v22, v16
	v_cndmask_b32_e32 v21, v23, v21, vcc_lo
	v_and_b32_e32 v16, 3, v16
	v_cndmask_b32_e32 v16, v17, v16, vcc_lo
	v_lshl_add_u32 v17, v21, 23, 0x37800000
	v_lshlrev_b32_e32 v16, 21, v16
	v_or3_b32 v16, v6, v17, v16
.LBB6_11517:                            ;   in Loop: Header=BB6_11223 Depth=3
	s_or_b32 exec_lo, exec_lo, s19
	v_mul_f32_e32 v6, v0, v16
	v_mov_b32_e32 v52, 0x80
	s_mov_b32 s19, exec_lo
	v_and_b32_e32 v16, 0x7f800000, v6
	v_cmpx_ne_u32_e32 0x7f800000, v16
	s_cbranch_execz .LBB6_11525
; %bb.11518:                            ;   in Loop: Header=BB6_11223 Depth=3
	v_mov_b32_e32 v52, 0
	s_mov_b32 s23, exec_lo
	v_cmpx_ne_u32_e32 0, v6
	s_cbranch_execz .LBB6_11524
; %bb.11519:                            ;   in Loop: Header=BB6_11223 Depth=3
	v_bfe_u32 v16, v6, 23, 8
	v_and_b32_e32 v17, 0x7fffff, v6
	v_sub_nc_u32_e32 v21, 0x70, v16
	v_cmp_gt_u32_e32 vcc_lo, 0x71, v16
	v_or_b32_e32 v22, 0x800000, v17
	v_cndmask_b32_e32 v21, 0, v21, vcc_lo
	v_cmp_eq_u32_e32 vcc_lo, 0, v16
	v_add_nc_u32_e32 v16, 0xffffff91, v16
	v_cndmask_b32_e64 v21, v21, 0x6f, vcc_lo
	v_cndmask_b32_e32 v17, v22, v17, vcc_lo
	v_cndmask_b32_e64 v16, v16, 0xffffff92, vcc_lo
	v_lshl_add_u32 v22, 0x200000, v21, -1
	v_lshrrev_b32_e32 v23, v21, v17
	v_lshlrev_b32_e64 v26, v21, 0x100000
	v_add_nc_u32_e32 v21, v21, v16
	v_and_b32_e32 v17, v22, v17
	v_bfe_u32 v25, v23, 21, 1
	v_cmp_eq_u32_e64 s16, v17, v26
	v_add_nc_u32_e32 v22, -1, v25
	v_cndmask_b32_e64 v17, 0, v22, s16
	v_lshrrev_b32_e32 v22, 23, v23
	s_mov_b32 s16, exec_lo
	v_add_nc_u32_e32 v17, v17, v23
	v_xor_b32_e32 v22, 1, v22
	v_and_b32_e32 v16, 0x1fffff, v17
	v_add_nc_u32_e32 v17, v16, v23
                                        ; implicit-def: $vgpr16
	v_cmpx_ne_u32_e64 v21, v22
	s_xor_b32 s16, exec_lo, s16
; %bb.11520:                            ;   in Loop: Header=BB6_11223 Depth=3
	v_cmp_lt_u32_e32 vcc_lo, 0xffffff, v17
	v_sub_nc_u32_e32 v16, v21, v22
	v_cndmask_b32_e64 v21, 0, 1, vcc_lo
	v_add_co_ci_u32_e64 v16, null, 0, v16, vcc_lo
	v_lshrrev_b32_e32 v17, v21, v17
; %bb.11521:                            ;   in Loop: Header=BB6_11223 Depth=3
	s_andn2_saveexec_b32 s16, s16
; %bb.11522:                            ;   in Loop: Header=BB6_11223 Depth=3
	v_bfe_u32 v16, v17, 23, 1
; %bb.11523:                            ;   in Loop: Header=BB6_11223 Depth=3
	s_or_b32 exec_lo, exec_lo, s16
	v_lshrrev_b32_e32 v17, 21, v17
	v_cmp_gt_i32_e32 vcc_lo, 32, v16
	v_min_i32_e32 v21, 31, v16
	v_and_b32_sdwa v6, v6, v117 dst_sel:DWORD dst_unused:UNUSED_PAD src0_sel:BYTE_3 src1_sel:DWORD
	v_cndmask_b32_e32 v17, 3, v17, vcc_lo
	v_lshlrev_b32_e32 v21, 2, v21
	v_and_b32_e32 v22, 3, v17
	v_or_b32_e32 v16, v16, v17
	v_or3_b32 v6, v21, v6, v22
	v_cmp_ne_u32_e32 vcc_lo, 0, v16
	v_cndmask_b32_e32 v52, 0, v6, vcc_lo
.LBB6_11524:                            ;   in Loop: Header=BB6_11223 Depth=3
	s_or_b32 exec_lo, exec_lo, s23
.LBB6_11525:                            ;   in Loop: Header=BB6_11223 Depth=3
	s_or_b32 exec_lo, exec_lo, s19
	flat_load_ubyte v6, v[12:13] offset:672 slc
	s_mov_b32 s16, 0
	s_mov_b32 s19, exec_lo
	s_waitcnt vmcnt(0) lgkmcnt(0)
	v_cmpx_lt_i16_e32 0x7f, v6
	s_xor_b32 s19, exec_lo, s19
	s_cbranch_execz .LBB6_12359
; %bb.11526:                            ;   in Loop: Header=BB6_11223 Depth=3
	s_mov_b32 s16, -1
	s_mov_b32 s23, exec_lo
	v_cmpx_eq_u16_e32 0x80, v6
; %bb.11527:                            ;   in Loop: Header=BB6_11223 Depth=3
	s_xor_b32 s16, exec_lo, -1
; %bb.11528:                            ;   in Loop: Header=BB6_11223 Depth=3
	s_or_b32 exec_lo, exec_lo, s23
	s_and_b32 s16, s16, exec_lo
	s_or_saveexec_b32 s19, s19
	v_mov_b32_e32 v16, 0x7f800001
	s_xor_b32 exec_lo, exec_lo, s19
	s_cbranch_execnz .LBB6_12360
.LBB6_11529:                            ;   in Loop: Header=BB6_11223 Depth=3
	s_or_b32 exec_lo, exec_lo, s19
	s_and_saveexec_b32 s19, s16
	s_cbranch_execz .LBB6_11531
.LBB6_11530:                            ;   in Loop: Header=BB6_11223 Depth=3
	v_and_b32_e32 v16, 0xffff, v6
	v_lshlrev_b32_e32 v6, 24, v6
	v_and_b32_e32 v17, 3, v16
	v_bfe_u32 v23, v16, 2, 5
	v_and_b32_e32 v6, 0x80000000, v6
	v_ffbh_u32_e32 v21, v17
	v_cmp_eq_u32_e32 vcc_lo, 0, v23
	v_min_u32_e32 v21, 32, v21
	v_subrev_nc_u32_e32 v22, 29, v21
	v_sub_nc_u32_e32 v21, 30, v21
	v_lshlrev_b32_e32 v16, v22, v16
	v_cndmask_b32_e32 v21, v23, v21, vcc_lo
	v_and_b32_e32 v16, 3, v16
	v_cndmask_b32_e32 v16, v17, v16, vcc_lo
	v_lshl_add_u32 v17, v21, 23, 0x37800000
	v_lshlrev_b32_e32 v16, 21, v16
	v_or3_b32 v16, v6, v17, v16
.LBB6_11531:                            ;   in Loop: Header=BB6_11223 Depth=3
	s_or_b32 exec_lo, exec_lo, s19
	v_mul_f32_e32 v6, v0, v16
	v_mov_b32_e32 v50, 0x80
	s_mov_b32 s19, exec_lo
	v_and_b32_e32 v16, 0x7f800000, v6
	v_cmpx_ne_u32_e32 0x7f800000, v16
	s_cbranch_execz .LBB6_11539
; %bb.11532:                            ;   in Loop: Header=BB6_11223 Depth=3
	v_mov_b32_e32 v50, 0
	s_mov_b32 s23, exec_lo
	v_cmpx_ne_u32_e32 0, v6
	s_cbranch_execz .LBB6_11538
; %bb.11533:                            ;   in Loop: Header=BB6_11223 Depth=3
	v_bfe_u32 v16, v6, 23, 8
	v_and_b32_e32 v17, 0x7fffff, v6
	v_sub_nc_u32_e32 v21, 0x70, v16
	v_cmp_gt_u32_e32 vcc_lo, 0x71, v16
	v_or_b32_e32 v22, 0x800000, v17
	v_cndmask_b32_e32 v21, 0, v21, vcc_lo
	v_cmp_eq_u32_e32 vcc_lo, 0, v16
	v_add_nc_u32_e32 v16, 0xffffff91, v16
	v_cndmask_b32_e64 v21, v21, 0x6f, vcc_lo
	v_cndmask_b32_e32 v17, v22, v17, vcc_lo
	v_cndmask_b32_e64 v16, v16, 0xffffff92, vcc_lo
	v_lshl_add_u32 v22, 0x200000, v21, -1
	v_lshrrev_b32_e32 v23, v21, v17
	v_lshlrev_b32_e64 v26, v21, 0x100000
	v_add_nc_u32_e32 v21, v21, v16
	v_and_b32_e32 v17, v22, v17
	v_bfe_u32 v25, v23, 21, 1
	v_cmp_eq_u32_e64 s16, v17, v26
	v_add_nc_u32_e32 v22, -1, v25
	v_cndmask_b32_e64 v17, 0, v22, s16
	v_lshrrev_b32_e32 v22, 23, v23
	s_mov_b32 s16, exec_lo
	v_add_nc_u32_e32 v17, v17, v23
	v_xor_b32_e32 v22, 1, v22
	v_and_b32_e32 v16, 0x1fffff, v17
	v_add_nc_u32_e32 v17, v16, v23
                                        ; implicit-def: $vgpr16
	v_cmpx_ne_u32_e64 v21, v22
	s_xor_b32 s16, exec_lo, s16
; %bb.11534:                            ;   in Loop: Header=BB6_11223 Depth=3
	v_cmp_lt_u32_e32 vcc_lo, 0xffffff, v17
	v_sub_nc_u32_e32 v16, v21, v22
	v_cndmask_b32_e64 v21, 0, 1, vcc_lo
	v_add_co_ci_u32_e64 v16, null, 0, v16, vcc_lo
	v_lshrrev_b32_e32 v17, v21, v17
; %bb.11535:                            ;   in Loop: Header=BB6_11223 Depth=3
	s_andn2_saveexec_b32 s16, s16
; %bb.11536:                            ;   in Loop: Header=BB6_11223 Depth=3
	v_bfe_u32 v16, v17, 23, 1
; %bb.11537:                            ;   in Loop: Header=BB6_11223 Depth=3
	s_or_b32 exec_lo, exec_lo, s16
	v_lshrrev_b32_e32 v17, 21, v17
	v_cmp_gt_i32_e32 vcc_lo, 32, v16
	v_min_i32_e32 v21, 31, v16
	v_and_b32_sdwa v6, v6, v117 dst_sel:DWORD dst_unused:UNUSED_PAD src0_sel:BYTE_3 src1_sel:DWORD
	v_cndmask_b32_e32 v17, 3, v17, vcc_lo
	v_lshlrev_b32_e32 v21, 2, v21
	v_and_b32_e32 v22, 3, v17
	v_or_b32_e32 v16, v16, v17
	v_or3_b32 v6, v21, v6, v22
	v_cmp_ne_u32_e32 vcc_lo, 0, v16
	v_cndmask_b32_e32 v50, 0, v6, vcc_lo
.LBB6_11538:                            ;   in Loop: Header=BB6_11223 Depth=3
	s_or_b32 exec_lo, exec_lo, s23
.LBB6_11539:                            ;   in Loop: Header=BB6_11223 Depth=3
	s_or_b32 exec_lo, exec_lo, s19
	flat_load_ubyte v6, v[12:13] offset:704 slc
	s_mov_b32 s16, 0
	s_mov_b32 s19, exec_lo
	s_waitcnt vmcnt(0) lgkmcnt(0)
	v_cmpx_lt_i16_e32 0x7f, v6
	s_xor_b32 s19, exec_lo, s19
	s_cbranch_execz .LBB6_12361
; %bb.11540:                            ;   in Loop: Header=BB6_11223 Depth=3
	s_mov_b32 s16, -1
	s_mov_b32 s23, exec_lo
	v_cmpx_eq_u16_e32 0x80, v6
; %bb.11541:                            ;   in Loop: Header=BB6_11223 Depth=3
	s_xor_b32 s16, exec_lo, -1
; %bb.11542:                            ;   in Loop: Header=BB6_11223 Depth=3
	s_or_b32 exec_lo, exec_lo, s23
	s_and_b32 s16, s16, exec_lo
	s_or_saveexec_b32 s19, s19
	v_mov_b32_e32 v16, 0x7f800001
	s_xor_b32 exec_lo, exec_lo, s19
	s_cbranch_execnz .LBB6_12362
.LBB6_11543:                            ;   in Loop: Header=BB6_11223 Depth=3
	s_or_b32 exec_lo, exec_lo, s19
	s_and_saveexec_b32 s19, s16
	s_cbranch_execz .LBB6_11545
.LBB6_11544:                            ;   in Loop: Header=BB6_11223 Depth=3
	v_and_b32_e32 v16, 0xffff, v6
	v_lshlrev_b32_e32 v6, 24, v6
	v_and_b32_e32 v17, 3, v16
	v_bfe_u32 v23, v16, 2, 5
	v_and_b32_e32 v6, 0x80000000, v6
	v_ffbh_u32_e32 v21, v17
	v_cmp_eq_u32_e32 vcc_lo, 0, v23
	v_min_u32_e32 v21, 32, v21
	v_subrev_nc_u32_e32 v22, 29, v21
	v_sub_nc_u32_e32 v21, 30, v21
	v_lshlrev_b32_e32 v16, v22, v16
	v_cndmask_b32_e32 v21, v23, v21, vcc_lo
	v_and_b32_e32 v16, 3, v16
	v_cndmask_b32_e32 v16, v17, v16, vcc_lo
	v_lshl_add_u32 v17, v21, 23, 0x37800000
	v_lshlrev_b32_e32 v16, 21, v16
	v_or3_b32 v16, v6, v17, v16
.LBB6_11545:                            ;   in Loop: Header=BB6_11223 Depth=3
	s_or_b32 exec_lo, exec_lo, s19
	v_mul_f32_e32 v6, v0, v16
	v_mov_b32_e32 v36, 0x80
	s_mov_b32 s19, exec_lo
	v_and_b32_e32 v16, 0x7f800000, v6
	v_cmpx_ne_u32_e32 0x7f800000, v16
	s_cbranch_execz .LBB6_11553
; %bb.11546:                            ;   in Loop: Header=BB6_11223 Depth=3
	v_mov_b32_e32 v36, 0
	s_mov_b32 s23, exec_lo
	v_cmpx_ne_u32_e32 0, v6
	s_cbranch_execz .LBB6_11552
; %bb.11547:                            ;   in Loop: Header=BB6_11223 Depth=3
	v_bfe_u32 v16, v6, 23, 8
	v_and_b32_e32 v17, 0x7fffff, v6
	v_sub_nc_u32_e32 v21, 0x70, v16
	v_cmp_gt_u32_e32 vcc_lo, 0x71, v16
	v_or_b32_e32 v22, 0x800000, v17
	v_cndmask_b32_e32 v21, 0, v21, vcc_lo
	v_cmp_eq_u32_e32 vcc_lo, 0, v16
	v_add_nc_u32_e32 v16, 0xffffff91, v16
	v_cndmask_b32_e64 v21, v21, 0x6f, vcc_lo
	v_cndmask_b32_e32 v17, v22, v17, vcc_lo
	v_cndmask_b32_e64 v16, v16, 0xffffff92, vcc_lo
	v_lshl_add_u32 v22, 0x200000, v21, -1
	v_lshrrev_b32_e32 v23, v21, v17
	v_lshlrev_b32_e64 v26, v21, 0x100000
	v_add_nc_u32_e32 v21, v21, v16
	v_and_b32_e32 v17, v22, v17
	v_bfe_u32 v25, v23, 21, 1
	v_cmp_eq_u32_e64 s16, v17, v26
	v_add_nc_u32_e32 v22, -1, v25
	v_cndmask_b32_e64 v17, 0, v22, s16
	v_lshrrev_b32_e32 v22, 23, v23
	s_mov_b32 s16, exec_lo
	v_add_nc_u32_e32 v17, v17, v23
	v_xor_b32_e32 v22, 1, v22
	v_and_b32_e32 v16, 0x1fffff, v17
	v_add_nc_u32_e32 v17, v16, v23
                                        ; implicit-def: $vgpr16
	v_cmpx_ne_u32_e64 v21, v22
	s_xor_b32 s16, exec_lo, s16
; %bb.11548:                            ;   in Loop: Header=BB6_11223 Depth=3
	v_cmp_lt_u32_e32 vcc_lo, 0xffffff, v17
	v_sub_nc_u32_e32 v16, v21, v22
	v_cndmask_b32_e64 v21, 0, 1, vcc_lo
	v_add_co_ci_u32_e64 v16, null, 0, v16, vcc_lo
	v_lshrrev_b32_e32 v17, v21, v17
; %bb.11549:                            ;   in Loop: Header=BB6_11223 Depth=3
	s_andn2_saveexec_b32 s16, s16
; %bb.11550:                            ;   in Loop: Header=BB6_11223 Depth=3
	v_bfe_u32 v16, v17, 23, 1
; %bb.11551:                            ;   in Loop: Header=BB6_11223 Depth=3
	s_or_b32 exec_lo, exec_lo, s16
	v_lshrrev_b32_e32 v17, 21, v17
	v_cmp_gt_i32_e32 vcc_lo, 32, v16
	v_min_i32_e32 v21, 31, v16
	v_and_b32_sdwa v6, v6, v117 dst_sel:DWORD dst_unused:UNUSED_PAD src0_sel:BYTE_3 src1_sel:DWORD
	v_cndmask_b32_e32 v17, 3, v17, vcc_lo
	v_lshlrev_b32_e32 v21, 2, v21
	v_and_b32_e32 v22, 3, v17
	v_or_b32_e32 v16, v16, v17
	v_or3_b32 v6, v21, v6, v22
	v_cmp_ne_u32_e32 vcc_lo, 0, v16
	v_cndmask_b32_e32 v36, 0, v6, vcc_lo
.LBB6_11552:                            ;   in Loop: Header=BB6_11223 Depth=3
	s_or_b32 exec_lo, exec_lo, s23
.LBB6_11553:                            ;   in Loop: Header=BB6_11223 Depth=3
	s_or_b32 exec_lo, exec_lo, s19
	flat_load_ubyte v6, v[12:13] offset:736 slc
	s_mov_b32 s16, 0
	s_mov_b32 s19, exec_lo
	s_waitcnt vmcnt(0) lgkmcnt(0)
	v_cmpx_lt_i16_e32 0x7f, v6
	s_xor_b32 s19, exec_lo, s19
	s_cbranch_execz .LBB6_12363
; %bb.11554:                            ;   in Loop: Header=BB6_11223 Depth=3
	s_mov_b32 s16, -1
	s_mov_b32 s23, exec_lo
	v_cmpx_eq_u16_e32 0x80, v6
; %bb.11555:                            ;   in Loop: Header=BB6_11223 Depth=3
	s_xor_b32 s16, exec_lo, -1
; %bb.11556:                            ;   in Loop: Header=BB6_11223 Depth=3
	s_or_b32 exec_lo, exec_lo, s23
	s_and_b32 s16, s16, exec_lo
	s_or_saveexec_b32 s19, s19
	v_mov_b32_e32 v16, 0x7f800001
	s_xor_b32 exec_lo, exec_lo, s19
	s_cbranch_execnz .LBB6_12364
.LBB6_11557:                            ;   in Loop: Header=BB6_11223 Depth=3
	s_or_b32 exec_lo, exec_lo, s19
	s_and_saveexec_b32 s19, s16
	s_cbranch_execz .LBB6_11559
.LBB6_11558:                            ;   in Loop: Header=BB6_11223 Depth=3
	v_and_b32_e32 v16, 0xffff, v6
	v_lshlrev_b32_e32 v6, 24, v6
	v_and_b32_e32 v17, 3, v16
	v_bfe_u32 v23, v16, 2, 5
	v_and_b32_e32 v6, 0x80000000, v6
	v_ffbh_u32_e32 v21, v17
	v_cmp_eq_u32_e32 vcc_lo, 0, v23
	v_min_u32_e32 v21, 32, v21
	v_subrev_nc_u32_e32 v22, 29, v21
	v_sub_nc_u32_e32 v21, 30, v21
	v_lshlrev_b32_e32 v16, v22, v16
	v_cndmask_b32_e32 v21, v23, v21, vcc_lo
	v_and_b32_e32 v16, 3, v16
	v_cndmask_b32_e32 v16, v17, v16, vcc_lo
	v_lshl_add_u32 v17, v21, 23, 0x37800000
	v_lshlrev_b32_e32 v16, 21, v16
	v_or3_b32 v16, v6, v17, v16
.LBB6_11559:                            ;   in Loop: Header=BB6_11223 Depth=3
	s_or_b32 exec_lo, exec_lo, s19
	v_mul_f32_e32 v6, v0, v16
	v_mov_b32_e32 v30, 0x80
	s_mov_b32 s19, exec_lo
	v_and_b32_e32 v16, 0x7f800000, v6
	v_cmpx_ne_u32_e32 0x7f800000, v16
	s_cbranch_execz .LBB6_11567
; %bb.11560:                            ;   in Loop: Header=BB6_11223 Depth=3
	v_mov_b32_e32 v30, 0
	s_mov_b32 s23, exec_lo
	v_cmpx_ne_u32_e32 0, v6
	s_cbranch_execz .LBB6_11566
; %bb.11561:                            ;   in Loop: Header=BB6_11223 Depth=3
	v_bfe_u32 v16, v6, 23, 8
	v_and_b32_e32 v17, 0x7fffff, v6
	v_sub_nc_u32_e32 v21, 0x70, v16
	v_cmp_gt_u32_e32 vcc_lo, 0x71, v16
	v_or_b32_e32 v22, 0x800000, v17
	v_cndmask_b32_e32 v21, 0, v21, vcc_lo
	v_cmp_eq_u32_e32 vcc_lo, 0, v16
	v_add_nc_u32_e32 v16, 0xffffff91, v16
	v_cndmask_b32_e64 v21, v21, 0x6f, vcc_lo
	v_cndmask_b32_e32 v17, v22, v17, vcc_lo
	v_cndmask_b32_e64 v16, v16, 0xffffff92, vcc_lo
	v_lshl_add_u32 v22, 0x200000, v21, -1
	v_lshrrev_b32_e32 v23, v21, v17
	v_lshlrev_b32_e64 v26, v21, 0x100000
	v_add_nc_u32_e32 v21, v21, v16
	v_and_b32_e32 v17, v22, v17
	v_bfe_u32 v25, v23, 21, 1
	v_cmp_eq_u32_e64 s16, v17, v26
	v_add_nc_u32_e32 v22, -1, v25
	v_cndmask_b32_e64 v17, 0, v22, s16
	v_lshrrev_b32_e32 v22, 23, v23
	s_mov_b32 s16, exec_lo
	v_add_nc_u32_e32 v17, v17, v23
	v_xor_b32_e32 v22, 1, v22
	v_and_b32_e32 v16, 0x1fffff, v17
	v_add_nc_u32_e32 v17, v16, v23
                                        ; implicit-def: $vgpr16
	v_cmpx_ne_u32_e64 v21, v22
	s_xor_b32 s16, exec_lo, s16
; %bb.11562:                            ;   in Loop: Header=BB6_11223 Depth=3
	v_cmp_lt_u32_e32 vcc_lo, 0xffffff, v17
	v_sub_nc_u32_e32 v16, v21, v22
	v_cndmask_b32_e64 v21, 0, 1, vcc_lo
	v_add_co_ci_u32_e64 v16, null, 0, v16, vcc_lo
	v_lshrrev_b32_e32 v17, v21, v17
; %bb.11563:                            ;   in Loop: Header=BB6_11223 Depth=3
	s_andn2_saveexec_b32 s16, s16
; %bb.11564:                            ;   in Loop: Header=BB6_11223 Depth=3
	v_bfe_u32 v16, v17, 23, 1
; %bb.11565:                            ;   in Loop: Header=BB6_11223 Depth=3
	s_or_b32 exec_lo, exec_lo, s16
	v_lshrrev_b32_e32 v17, 21, v17
	v_cmp_gt_i32_e32 vcc_lo, 32, v16
	v_min_i32_e32 v21, 31, v16
	v_and_b32_sdwa v6, v6, v117 dst_sel:DWORD dst_unused:UNUSED_PAD src0_sel:BYTE_3 src1_sel:DWORD
	v_cndmask_b32_e32 v17, 3, v17, vcc_lo
	v_lshlrev_b32_e32 v21, 2, v21
	v_and_b32_e32 v22, 3, v17
	v_or_b32_e32 v16, v16, v17
	v_or3_b32 v6, v21, v6, v22
	v_cmp_ne_u32_e32 vcc_lo, 0, v16
	v_cndmask_b32_e32 v30, 0, v6, vcc_lo
.LBB6_11566:                            ;   in Loop: Header=BB6_11223 Depth=3
	s_or_b32 exec_lo, exec_lo, s23
.LBB6_11567:                            ;   in Loop: Header=BB6_11223 Depth=3
	s_or_b32 exec_lo, exec_lo, s19
	flat_load_ubyte v6, v[12:13] offset:768 slc
	s_mov_b32 s16, 0
	s_mov_b32 s19, exec_lo
	s_waitcnt vmcnt(0) lgkmcnt(0)
	v_cmpx_lt_i16_e32 0x7f, v6
	s_xor_b32 s19, exec_lo, s19
	s_cbranch_execz .LBB6_12365
; %bb.11568:                            ;   in Loop: Header=BB6_11223 Depth=3
	s_mov_b32 s16, -1
	s_mov_b32 s23, exec_lo
	v_cmpx_eq_u16_e32 0x80, v6
; %bb.11569:                            ;   in Loop: Header=BB6_11223 Depth=3
	s_xor_b32 s16, exec_lo, -1
; %bb.11570:                            ;   in Loop: Header=BB6_11223 Depth=3
	s_or_b32 exec_lo, exec_lo, s23
	s_and_b32 s16, s16, exec_lo
	s_or_saveexec_b32 s19, s19
	v_mov_b32_e32 v16, 0x7f800001
	s_xor_b32 exec_lo, exec_lo, s19
	s_cbranch_execnz .LBB6_12366
.LBB6_11571:                            ;   in Loop: Header=BB6_11223 Depth=3
	s_or_b32 exec_lo, exec_lo, s19
	s_and_saveexec_b32 s19, s16
	s_cbranch_execz .LBB6_11573
.LBB6_11572:                            ;   in Loop: Header=BB6_11223 Depth=3
	v_and_b32_e32 v16, 0xffff, v6
	v_lshlrev_b32_e32 v6, 24, v6
	v_and_b32_e32 v17, 3, v16
	v_bfe_u32 v23, v16, 2, 5
	v_and_b32_e32 v6, 0x80000000, v6
	v_ffbh_u32_e32 v21, v17
	v_cmp_eq_u32_e32 vcc_lo, 0, v23
	v_min_u32_e32 v21, 32, v21
	v_subrev_nc_u32_e32 v22, 29, v21
	v_sub_nc_u32_e32 v21, 30, v21
	v_lshlrev_b32_e32 v16, v22, v16
	v_cndmask_b32_e32 v21, v23, v21, vcc_lo
	v_and_b32_e32 v16, 3, v16
	v_cndmask_b32_e32 v16, v17, v16, vcc_lo
	v_lshl_add_u32 v17, v21, 23, 0x37800000
	v_lshlrev_b32_e32 v16, 21, v16
	v_or3_b32 v16, v6, v17, v16
.LBB6_11573:                            ;   in Loop: Header=BB6_11223 Depth=3
	s_or_b32 exec_lo, exec_lo, s19
	v_mul_f32_e32 v6, v0, v16
	v_mov_b32_e32 v29, 0x80
	s_mov_b32 s19, exec_lo
	v_and_b32_e32 v16, 0x7f800000, v6
	v_cmpx_ne_u32_e32 0x7f800000, v16
	s_cbranch_execz .LBB6_11581
; %bb.11574:                            ;   in Loop: Header=BB6_11223 Depth=3
	v_mov_b32_e32 v29, 0
	s_mov_b32 s23, exec_lo
	v_cmpx_ne_u32_e32 0, v6
	s_cbranch_execz .LBB6_11580
; %bb.11575:                            ;   in Loop: Header=BB6_11223 Depth=3
	v_bfe_u32 v16, v6, 23, 8
	v_and_b32_e32 v17, 0x7fffff, v6
	v_sub_nc_u32_e32 v21, 0x70, v16
	v_cmp_gt_u32_e32 vcc_lo, 0x71, v16
	v_or_b32_e32 v22, 0x800000, v17
	v_cndmask_b32_e32 v21, 0, v21, vcc_lo
	v_cmp_eq_u32_e32 vcc_lo, 0, v16
	v_add_nc_u32_e32 v16, 0xffffff91, v16
	v_cndmask_b32_e64 v21, v21, 0x6f, vcc_lo
	v_cndmask_b32_e32 v17, v22, v17, vcc_lo
	v_cndmask_b32_e64 v16, v16, 0xffffff92, vcc_lo
	v_lshl_add_u32 v22, 0x200000, v21, -1
	v_lshrrev_b32_e32 v23, v21, v17
	v_lshlrev_b32_e64 v26, v21, 0x100000
	v_add_nc_u32_e32 v21, v21, v16
	v_and_b32_e32 v17, v22, v17
	v_bfe_u32 v25, v23, 21, 1
	v_cmp_eq_u32_e64 s16, v17, v26
	v_add_nc_u32_e32 v22, -1, v25
	v_cndmask_b32_e64 v17, 0, v22, s16
	v_lshrrev_b32_e32 v22, 23, v23
	s_mov_b32 s16, exec_lo
	v_add_nc_u32_e32 v17, v17, v23
	v_xor_b32_e32 v22, 1, v22
	v_and_b32_e32 v16, 0x1fffff, v17
	v_add_nc_u32_e32 v17, v16, v23
                                        ; implicit-def: $vgpr16
	v_cmpx_ne_u32_e64 v21, v22
	s_xor_b32 s16, exec_lo, s16
; %bb.11576:                            ;   in Loop: Header=BB6_11223 Depth=3
	v_cmp_lt_u32_e32 vcc_lo, 0xffffff, v17
	v_sub_nc_u32_e32 v16, v21, v22
	v_cndmask_b32_e64 v21, 0, 1, vcc_lo
	v_add_co_ci_u32_e64 v16, null, 0, v16, vcc_lo
	v_lshrrev_b32_e32 v17, v21, v17
; %bb.11577:                            ;   in Loop: Header=BB6_11223 Depth=3
	s_andn2_saveexec_b32 s16, s16
; %bb.11578:                            ;   in Loop: Header=BB6_11223 Depth=3
	v_bfe_u32 v16, v17, 23, 1
; %bb.11579:                            ;   in Loop: Header=BB6_11223 Depth=3
	s_or_b32 exec_lo, exec_lo, s16
	v_lshrrev_b32_e32 v17, 21, v17
	v_cmp_gt_i32_e32 vcc_lo, 32, v16
	v_min_i32_e32 v21, 31, v16
	v_and_b32_sdwa v6, v6, v117 dst_sel:DWORD dst_unused:UNUSED_PAD src0_sel:BYTE_3 src1_sel:DWORD
	v_cndmask_b32_e32 v17, 3, v17, vcc_lo
	v_lshlrev_b32_e32 v21, 2, v21
	v_and_b32_e32 v22, 3, v17
	v_or_b32_e32 v16, v16, v17
	v_or3_b32 v6, v21, v6, v22
	v_cmp_ne_u32_e32 vcc_lo, 0, v16
	v_cndmask_b32_e32 v29, 0, v6, vcc_lo
.LBB6_11580:                            ;   in Loop: Header=BB6_11223 Depth=3
	s_or_b32 exec_lo, exec_lo, s23
.LBB6_11581:                            ;   in Loop: Header=BB6_11223 Depth=3
	s_or_b32 exec_lo, exec_lo, s19
	flat_load_ubyte v6, v[12:13] offset:800 slc
	s_mov_b32 s16, 0
	s_mov_b32 s19, exec_lo
	s_waitcnt vmcnt(0) lgkmcnt(0)
	v_cmpx_lt_i16_e32 0x7f, v6
	s_xor_b32 s19, exec_lo, s19
	s_cbranch_execz .LBB6_12367
; %bb.11582:                            ;   in Loop: Header=BB6_11223 Depth=3
	s_mov_b32 s16, -1
	s_mov_b32 s23, exec_lo
	v_cmpx_eq_u16_e32 0x80, v6
; %bb.11583:                            ;   in Loop: Header=BB6_11223 Depth=3
	s_xor_b32 s16, exec_lo, -1
; %bb.11584:                            ;   in Loop: Header=BB6_11223 Depth=3
	s_or_b32 exec_lo, exec_lo, s23
	s_and_b32 s16, s16, exec_lo
	s_or_saveexec_b32 s19, s19
	v_mov_b32_e32 v16, 0x7f800001
	s_xor_b32 exec_lo, exec_lo, s19
	s_cbranch_execnz .LBB6_12368
.LBB6_11585:                            ;   in Loop: Header=BB6_11223 Depth=3
	s_or_b32 exec_lo, exec_lo, s19
	s_and_saveexec_b32 s19, s16
	s_cbranch_execz .LBB6_11587
.LBB6_11586:                            ;   in Loop: Header=BB6_11223 Depth=3
	v_and_b32_e32 v16, 0xffff, v6
	v_lshlrev_b32_e32 v6, 24, v6
	v_and_b32_e32 v17, 3, v16
	v_bfe_u32 v23, v16, 2, 5
	v_and_b32_e32 v6, 0x80000000, v6
	v_ffbh_u32_e32 v21, v17
	v_cmp_eq_u32_e32 vcc_lo, 0, v23
	v_min_u32_e32 v21, 32, v21
	v_subrev_nc_u32_e32 v22, 29, v21
	v_sub_nc_u32_e32 v21, 30, v21
	v_lshlrev_b32_e32 v16, v22, v16
	v_cndmask_b32_e32 v21, v23, v21, vcc_lo
	v_and_b32_e32 v16, 3, v16
	v_cndmask_b32_e32 v16, v17, v16, vcc_lo
	v_lshl_add_u32 v17, v21, 23, 0x37800000
	v_lshlrev_b32_e32 v16, 21, v16
	v_or3_b32 v16, v6, v17, v16
.LBB6_11587:                            ;   in Loop: Header=BB6_11223 Depth=3
	s_or_b32 exec_lo, exec_lo, s19
	v_mul_f32_e32 v6, v0, v16
	v_mov_b32_e32 v26, 0x80
	s_mov_b32 s19, exec_lo
	v_and_b32_e32 v16, 0x7f800000, v6
	v_cmpx_ne_u32_e32 0x7f800000, v16
	s_cbranch_execz .LBB6_11595
; %bb.11588:                            ;   in Loop: Header=BB6_11223 Depth=3
	v_mov_b32_e32 v26, 0
	s_mov_b32 s23, exec_lo
	v_cmpx_ne_u32_e32 0, v6
	s_cbranch_execz .LBB6_11594
; %bb.11589:                            ;   in Loop: Header=BB6_11223 Depth=3
	v_bfe_u32 v16, v6, 23, 8
	v_and_b32_e32 v17, 0x7fffff, v6
	v_sub_nc_u32_e32 v21, 0x70, v16
	v_cmp_gt_u32_e32 vcc_lo, 0x71, v16
	v_or_b32_e32 v22, 0x800000, v17
	v_cndmask_b32_e32 v21, 0, v21, vcc_lo
	v_cmp_eq_u32_e32 vcc_lo, 0, v16
	v_add_nc_u32_e32 v16, 0xffffff91, v16
	v_cndmask_b32_e64 v21, v21, 0x6f, vcc_lo
	v_cndmask_b32_e32 v17, v22, v17, vcc_lo
	v_cndmask_b32_e64 v16, v16, 0xffffff92, vcc_lo
	v_lshl_add_u32 v22, 0x200000, v21, -1
	v_lshrrev_b32_e32 v23, v21, v17
	v_lshlrev_b32_e64 v26, v21, 0x100000
	v_add_nc_u32_e32 v21, v21, v16
	v_and_b32_e32 v17, v22, v17
	v_bfe_u32 v25, v23, 21, 1
	v_cmp_eq_u32_e64 s16, v17, v26
	v_add_nc_u32_e32 v22, -1, v25
	v_cndmask_b32_e64 v17, 0, v22, s16
	v_lshrrev_b32_e32 v22, 23, v23
	s_mov_b32 s16, exec_lo
	v_add_nc_u32_e32 v17, v17, v23
	v_xor_b32_e32 v22, 1, v22
	v_and_b32_e32 v16, 0x1fffff, v17
	v_add_nc_u32_e32 v17, v16, v23
                                        ; implicit-def: $vgpr16
	v_cmpx_ne_u32_e64 v21, v22
	s_xor_b32 s16, exec_lo, s16
; %bb.11590:                            ;   in Loop: Header=BB6_11223 Depth=3
	v_cmp_lt_u32_e32 vcc_lo, 0xffffff, v17
	v_sub_nc_u32_e32 v16, v21, v22
	v_cndmask_b32_e64 v21, 0, 1, vcc_lo
	v_add_co_ci_u32_e64 v16, null, 0, v16, vcc_lo
	v_lshrrev_b32_e32 v17, v21, v17
; %bb.11591:                            ;   in Loop: Header=BB6_11223 Depth=3
	s_andn2_saveexec_b32 s16, s16
; %bb.11592:                            ;   in Loop: Header=BB6_11223 Depth=3
	v_bfe_u32 v16, v17, 23, 1
; %bb.11593:                            ;   in Loop: Header=BB6_11223 Depth=3
	s_or_b32 exec_lo, exec_lo, s16
	v_lshrrev_b32_e32 v17, 21, v17
	v_cmp_gt_i32_e32 vcc_lo, 32, v16
	v_min_i32_e32 v21, 31, v16
	v_and_b32_sdwa v6, v6, v117 dst_sel:DWORD dst_unused:UNUSED_PAD src0_sel:BYTE_3 src1_sel:DWORD
	v_cndmask_b32_e32 v17, 3, v17, vcc_lo
	v_lshlrev_b32_e32 v21, 2, v21
	v_and_b32_e32 v22, 3, v17
	v_or_b32_e32 v16, v16, v17
	v_or3_b32 v6, v21, v6, v22
	v_cmp_ne_u32_e32 vcc_lo, 0, v16
	v_cndmask_b32_e32 v26, 0, v6, vcc_lo
.LBB6_11594:                            ;   in Loop: Header=BB6_11223 Depth=3
	s_or_b32 exec_lo, exec_lo, s23
.LBB6_11595:                            ;   in Loop: Header=BB6_11223 Depth=3
	s_or_b32 exec_lo, exec_lo, s19
	flat_load_ubyte v6, v[12:13] offset:832 slc
	s_mov_b32 s16, 0
	s_mov_b32 s19, exec_lo
	s_waitcnt vmcnt(0) lgkmcnt(0)
	v_cmpx_lt_i16_e32 0x7f, v6
	s_xor_b32 s19, exec_lo, s19
	s_cbranch_execz .LBB6_12369
; %bb.11596:                            ;   in Loop: Header=BB6_11223 Depth=3
	s_mov_b32 s16, -1
	s_mov_b32 s23, exec_lo
	v_cmpx_eq_u16_e32 0x80, v6
; %bb.11597:                            ;   in Loop: Header=BB6_11223 Depth=3
	s_xor_b32 s16, exec_lo, -1
; %bb.11598:                            ;   in Loop: Header=BB6_11223 Depth=3
	s_or_b32 exec_lo, exec_lo, s23
	s_and_b32 s16, s16, exec_lo
	s_or_saveexec_b32 s19, s19
	v_mov_b32_e32 v16, 0x7f800001
	s_xor_b32 exec_lo, exec_lo, s19
	s_cbranch_execnz .LBB6_12370
.LBB6_11599:                            ;   in Loop: Header=BB6_11223 Depth=3
	s_or_b32 exec_lo, exec_lo, s19
	s_and_saveexec_b32 s19, s16
	s_cbranch_execz .LBB6_11601
.LBB6_11600:                            ;   in Loop: Header=BB6_11223 Depth=3
	v_and_b32_e32 v16, 0xffff, v6
	v_lshlrev_b32_e32 v6, 24, v6
	v_and_b32_e32 v17, 3, v16
	v_bfe_u32 v23, v16, 2, 5
	v_and_b32_e32 v6, 0x80000000, v6
	v_ffbh_u32_e32 v21, v17
	v_cmp_eq_u32_e32 vcc_lo, 0, v23
	v_min_u32_e32 v21, 32, v21
	v_subrev_nc_u32_e32 v22, 29, v21
	v_sub_nc_u32_e32 v21, 30, v21
	v_lshlrev_b32_e32 v16, v22, v16
	v_cndmask_b32_e32 v21, v23, v21, vcc_lo
	v_and_b32_e32 v16, 3, v16
	v_cndmask_b32_e32 v16, v17, v16, vcc_lo
	v_lshl_add_u32 v17, v21, 23, 0x37800000
	v_lshlrev_b32_e32 v16, 21, v16
	v_or3_b32 v16, v6, v17, v16
.LBB6_11601:                            ;   in Loop: Header=BB6_11223 Depth=3
	s_or_b32 exec_lo, exec_lo, s19
	v_mul_f32_e32 v6, v0, v16
	v_mov_b32_e32 v25, 0x80
	s_mov_b32 s19, exec_lo
	v_and_b32_e32 v16, 0x7f800000, v6
	v_cmpx_ne_u32_e32 0x7f800000, v16
	s_cbranch_execz .LBB6_11609
; %bb.11602:                            ;   in Loop: Header=BB6_11223 Depth=3
	v_mov_b32_e32 v25, 0
	s_mov_b32 s23, exec_lo
	v_cmpx_ne_u32_e32 0, v6
	s_cbranch_execz .LBB6_11608
; %bb.11603:                            ;   in Loop: Header=BB6_11223 Depth=3
	v_bfe_u32 v16, v6, 23, 8
	v_and_b32_e32 v17, 0x7fffff, v6
	v_sub_nc_u32_e32 v21, 0x70, v16
	v_cmp_gt_u32_e32 vcc_lo, 0x71, v16
	v_or_b32_e32 v22, 0x800000, v17
	v_cndmask_b32_e32 v21, 0, v21, vcc_lo
	v_cmp_eq_u32_e32 vcc_lo, 0, v16
	v_add_nc_u32_e32 v16, 0xffffff91, v16
	v_cndmask_b32_e64 v21, v21, 0x6f, vcc_lo
	v_cndmask_b32_e32 v17, v22, v17, vcc_lo
	v_cndmask_b32_e64 v16, v16, 0xffffff92, vcc_lo
	v_lshl_add_u32 v22, 0x200000, v21, -1
	v_lshrrev_b32_e32 v23, v21, v17
	v_lshlrev_b32_e64 v27, v21, 0x100000
	v_add_nc_u32_e32 v21, v21, v16
	v_and_b32_e32 v17, v22, v17
	v_bfe_u32 v25, v23, 21, 1
	v_cmp_eq_u32_e64 s16, v17, v27
	v_add_nc_u32_e32 v22, -1, v25
	v_cndmask_b32_e64 v17, 0, v22, s16
	v_lshrrev_b32_e32 v22, 23, v23
	s_mov_b32 s16, exec_lo
	v_add_nc_u32_e32 v17, v17, v23
	v_xor_b32_e32 v22, 1, v22
	v_and_b32_e32 v16, 0x1fffff, v17
	v_add_nc_u32_e32 v17, v16, v23
                                        ; implicit-def: $vgpr16
	v_cmpx_ne_u32_e64 v21, v22
	s_xor_b32 s16, exec_lo, s16
; %bb.11604:                            ;   in Loop: Header=BB6_11223 Depth=3
	v_cmp_lt_u32_e32 vcc_lo, 0xffffff, v17
	v_sub_nc_u32_e32 v16, v21, v22
	v_cndmask_b32_e64 v21, 0, 1, vcc_lo
	v_add_co_ci_u32_e64 v16, null, 0, v16, vcc_lo
	v_lshrrev_b32_e32 v17, v21, v17
; %bb.11605:                            ;   in Loop: Header=BB6_11223 Depth=3
	s_andn2_saveexec_b32 s16, s16
; %bb.11606:                            ;   in Loop: Header=BB6_11223 Depth=3
	v_bfe_u32 v16, v17, 23, 1
; %bb.11607:                            ;   in Loop: Header=BB6_11223 Depth=3
	s_or_b32 exec_lo, exec_lo, s16
	v_lshrrev_b32_e32 v17, 21, v17
	v_cmp_gt_i32_e32 vcc_lo, 32, v16
	v_min_i32_e32 v21, 31, v16
	v_and_b32_sdwa v6, v6, v117 dst_sel:DWORD dst_unused:UNUSED_PAD src0_sel:BYTE_3 src1_sel:DWORD
	v_cndmask_b32_e32 v17, 3, v17, vcc_lo
	v_lshlrev_b32_e32 v21, 2, v21
	v_and_b32_e32 v22, 3, v17
	v_or_b32_e32 v16, v16, v17
	v_or3_b32 v6, v21, v6, v22
	v_cmp_ne_u32_e32 vcc_lo, 0, v16
	v_cndmask_b32_e32 v25, 0, v6, vcc_lo
.LBB6_11608:                            ;   in Loop: Header=BB6_11223 Depth=3
	s_or_b32 exec_lo, exec_lo, s23
.LBB6_11609:                            ;   in Loop: Header=BB6_11223 Depth=3
	s_or_b32 exec_lo, exec_lo, s19
	flat_load_ubyte v6, v[12:13] offset:864 slc
	s_mov_b32 s16, 0
	s_mov_b32 s19, exec_lo
	s_waitcnt vmcnt(0) lgkmcnt(0)
	v_cmpx_lt_i16_e32 0x7f, v6
	s_xor_b32 s19, exec_lo, s19
	s_cbranch_execz .LBB6_12371
; %bb.11610:                            ;   in Loop: Header=BB6_11223 Depth=3
	s_mov_b32 s16, -1
	s_mov_b32 s23, exec_lo
	v_cmpx_eq_u16_e32 0x80, v6
; %bb.11611:                            ;   in Loop: Header=BB6_11223 Depth=3
	s_xor_b32 s16, exec_lo, -1
; %bb.11612:                            ;   in Loop: Header=BB6_11223 Depth=3
	s_or_b32 exec_lo, exec_lo, s23
	s_and_b32 s16, s16, exec_lo
	s_or_saveexec_b32 s19, s19
	v_mov_b32_e32 v16, 0x7f800001
	s_xor_b32 exec_lo, exec_lo, s19
	s_cbranch_execnz .LBB6_12372
.LBB6_11613:                            ;   in Loop: Header=BB6_11223 Depth=3
	s_or_b32 exec_lo, exec_lo, s19
	s_and_saveexec_b32 s19, s16
	s_cbranch_execz .LBB6_11615
.LBB6_11614:                            ;   in Loop: Header=BB6_11223 Depth=3
	v_and_b32_e32 v16, 0xffff, v6
	v_lshlrev_b32_e32 v6, 24, v6
	v_and_b32_e32 v17, 3, v16
	v_bfe_u32 v23, v16, 2, 5
	v_and_b32_e32 v6, 0x80000000, v6
	v_ffbh_u32_e32 v21, v17
	v_cmp_eq_u32_e32 vcc_lo, 0, v23
	v_min_u32_e32 v21, 32, v21
	v_subrev_nc_u32_e32 v22, 29, v21
	v_sub_nc_u32_e32 v21, 30, v21
	v_lshlrev_b32_e32 v16, v22, v16
	v_cndmask_b32_e32 v21, v23, v21, vcc_lo
	v_and_b32_e32 v16, 3, v16
	v_cndmask_b32_e32 v16, v17, v16, vcc_lo
	v_lshl_add_u32 v17, v21, 23, 0x37800000
	v_lshlrev_b32_e32 v16, 21, v16
	v_or3_b32 v16, v6, v17, v16
.LBB6_11615:                            ;   in Loop: Header=BB6_11223 Depth=3
	s_or_b32 exec_lo, exec_lo, s19
	v_mul_f32_e32 v6, v0, v16
	v_mov_b32_e32 v23, 0x80
	s_mov_b32 s19, exec_lo
	v_and_b32_e32 v16, 0x7f800000, v6
	v_cmpx_ne_u32_e32 0x7f800000, v16
	s_cbranch_execz .LBB6_11623
; %bb.11616:                            ;   in Loop: Header=BB6_11223 Depth=3
	v_mov_b32_e32 v23, 0
	s_mov_b32 s23, exec_lo
	v_cmpx_ne_u32_e32 0, v6
	s_cbranch_execz .LBB6_11622
; %bb.11617:                            ;   in Loop: Header=BB6_11223 Depth=3
	v_bfe_u32 v17, v6, 23, 8
	v_and_b32_e32 v16, 0x7fffff, v6
	v_cmp_gt_u32_e64 s16, 0x71, v17
	v_sub_nc_u32_e32 v21, 0x70, v17
	v_cmp_eq_u32_e32 vcc_lo, 0, v17
	v_or_b32_e32 v22, 0x800000, v16
	v_cndmask_b32_e64 v21, 0, v21, s16
	v_cndmask_b32_e32 v16, v22, v16, vcc_lo
	v_cndmask_b32_e64 v21, v21, 0x6f, vcc_lo
	v_lshl_add_u32 v22, 0x200000, v21, -1
	v_lshlrev_b32_e64 v23, v21, 0x100000
	v_and_b32_e32 v22, v22, v16
	v_cmp_eq_u32_e64 s16, v22, v23
	v_lshrrev_b32_e32 v22, v21, v16
	v_add_nc_u32_e32 v16, 0xffffff91, v17
	v_lshrrev_b32_e32 v17, 23, v22
	v_cndmask_b32_e64 v16, v16, 0xffffff92, vcc_lo
	v_xor_b32_e32 v17, 1, v17
	v_add_nc_u32_e32 v16, v21, v16
	v_bfe_u32 v21, v22, 21, 1
	v_add_nc_u32_e32 v21, -1, v21
	v_cndmask_b32_e64 v21, 0, v21, s16
	s_mov_b32 s16, exec_lo
	v_add_nc_u32_e32 v21, v21, v22
	v_and_b32_e32 v21, 0x1fffff, v21
	v_add_nc_u32_e32 v22, v21, v22
                                        ; implicit-def: $vgpr21
	v_cmpx_ne_u32_e64 v16, v17
	s_xor_b32 s16, exec_lo, s16
; %bb.11618:                            ;   in Loop: Header=BB6_11223 Depth=3
	v_cmp_lt_u32_e32 vcc_lo, 0xffffff, v22
	v_sub_nc_u32_e32 v16, v16, v17
	v_cndmask_b32_e64 v17, 0, 1, vcc_lo
	v_add_co_ci_u32_e64 v21, null, 0, v16, vcc_lo
	v_lshrrev_b32_e32 v22, v17, v22
; %bb.11619:                            ;   in Loop: Header=BB6_11223 Depth=3
	s_andn2_saveexec_b32 s16, s16
; %bb.11620:                            ;   in Loop: Header=BB6_11223 Depth=3
	v_bfe_u32 v21, v22, 23, 1
; %bb.11621:                            ;   in Loop: Header=BB6_11223 Depth=3
	s_or_b32 exec_lo, exec_lo, s16
	v_lshrrev_b32_e32 v16, 21, v22
	v_cmp_gt_i32_e32 vcc_lo, 32, v21
	v_min_i32_e32 v17, 31, v21
	v_and_b32_sdwa v6, v6, v117 dst_sel:DWORD dst_unused:UNUSED_PAD src0_sel:BYTE_3 src1_sel:DWORD
	v_cndmask_b32_e32 v16, 3, v16, vcc_lo
	v_lshlrev_b32_e32 v17, 2, v17
	v_and_b32_e32 v22, 3, v16
	v_or_b32_e32 v16, v21, v16
	v_or3_b32 v6, v17, v6, v22
	v_cmp_ne_u32_e32 vcc_lo, 0, v16
	v_cndmask_b32_e32 v23, 0, v6, vcc_lo
.LBB6_11622:                            ;   in Loop: Header=BB6_11223 Depth=3
	s_or_b32 exec_lo, exec_lo, s23
.LBB6_11623:                            ;   in Loop: Header=BB6_11223 Depth=3
	s_or_b32 exec_lo, exec_lo, s19
	flat_load_ubyte v6, v[12:13] offset:896 slc
	s_mov_b32 s16, 0
	s_mov_b32 s19, exec_lo
	s_waitcnt vmcnt(0) lgkmcnt(0)
	v_cmpx_lt_i16_e32 0x7f, v6
	s_xor_b32 s19, exec_lo, s19
	s_cbranch_execz .LBB6_12373
; %bb.11624:                            ;   in Loop: Header=BB6_11223 Depth=3
	s_mov_b32 s16, -1
	s_mov_b32 s23, exec_lo
	v_cmpx_eq_u16_e32 0x80, v6
; %bb.11625:                            ;   in Loop: Header=BB6_11223 Depth=3
	s_xor_b32 s16, exec_lo, -1
; %bb.11626:                            ;   in Loop: Header=BB6_11223 Depth=3
	s_or_b32 exec_lo, exec_lo, s23
	s_and_b32 s16, s16, exec_lo
	s_or_saveexec_b32 s19, s19
	v_mov_b32_e32 v16, 0x7f800001
	s_xor_b32 exec_lo, exec_lo, s19
	s_cbranch_execnz .LBB6_12374
.LBB6_11627:                            ;   in Loop: Header=BB6_11223 Depth=3
	s_or_b32 exec_lo, exec_lo, s19
	s_and_saveexec_b32 s19, s16
	s_cbranch_execz .LBB6_11629
.LBB6_11628:                            ;   in Loop: Header=BB6_11223 Depth=3
	v_and_b32_e32 v16, 0xffff, v6
	v_lshlrev_b32_e32 v6, 24, v6
	v_and_b32_e32 v17, 3, v16
	v_bfe_u32 v27, v16, 2, 5
	v_and_b32_e32 v6, 0x80000000, v6
	v_ffbh_u32_e32 v21, v17
	v_cmp_eq_u32_e32 vcc_lo, 0, v27
	v_min_u32_e32 v21, 32, v21
	v_subrev_nc_u32_e32 v22, 29, v21
	v_sub_nc_u32_e32 v21, 30, v21
	v_lshlrev_b32_e32 v16, v22, v16
	v_cndmask_b32_e32 v21, v27, v21, vcc_lo
	v_and_b32_e32 v16, 3, v16
	v_cndmask_b32_e32 v16, v17, v16, vcc_lo
	v_lshl_add_u32 v17, v21, 23, 0x37800000
	v_lshlrev_b32_e32 v16, 21, v16
	v_or3_b32 v16, v6, v17, v16
.LBB6_11629:                            ;   in Loop: Header=BB6_11223 Depth=3
	s_or_b32 exec_lo, exec_lo, s19
	v_mul_f32_e32 v6, v0, v16
	v_mov_b32_e32 v21, 0x80
	s_mov_b32 s19, exec_lo
	v_and_b32_e32 v16, 0x7f800000, v6
	v_cmpx_ne_u32_e32 0x7f800000, v16
	s_cbranch_execz .LBB6_11637
; %bb.11630:                            ;   in Loop: Header=BB6_11223 Depth=3
	v_mov_b32_e32 v21, 0
	s_mov_b32 s23, exec_lo
	v_cmpx_ne_u32_e32 0, v6
	s_cbranch_execz .LBB6_11636
; %bb.11631:                            ;   in Loop: Header=BB6_11223 Depth=3
	v_bfe_u32 v17, v6, 23, 8
	v_and_b32_e32 v16, 0x7fffff, v6
	v_cmp_gt_u32_e64 s16, 0x71, v17
	v_sub_nc_u32_e32 v21, 0x70, v17
	v_cmp_eq_u32_e32 vcc_lo, 0, v17
	v_or_b32_e32 v22, 0x800000, v16
	v_cndmask_b32_e64 v21, 0, v21, s16
	v_cndmask_b32_e32 v16, v22, v16, vcc_lo
	v_cndmask_b32_e64 v21, v21, 0x6f, vcc_lo
	v_lshl_add_u32 v22, 0x200000, v21, -1
	v_lshlrev_b32_e64 v27, v21, 0x100000
	v_and_b32_e32 v22, v22, v16
	v_cmp_eq_u32_e64 s16, v22, v27
	v_lshrrev_b32_e32 v22, v21, v16
	v_add_nc_u32_e32 v16, 0xffffff91, v17
	v_lshrrev_b32_e32 v17, 23, v22
	v_cndmask_b32_e64 v16, v16, 0xffffff92, vcc_lo
	v_xor_b32_e32 v17, 1, v17
	v_add_nc_u32_e32 v16, v21, v16
	v_bfe_u32 v21, v22, 21, 1
	v_add_nc_u32_e32 v21, -1, v21
	v_cndmask_b32_e64 v21, 0, v21, s16
	s_mov_b32 s16, exec_lo
	v_add_nc_u32_e32 v21, v21, v22
	v_and_b32_e32 v21, 0x1fffff, v21
	v_add_nc_u32_e32 v22, v21, v22
                                        ; implicit-def: $vgpr21
	v_cmpx_ne_u32_e64 v16, v17
	s_xor_b32 s16, exec_lo, s16
; %bb.11632:                            ;   in Loop: Header=BB6_11223 Depth=3
	v_cmp_lt_u32_e32 vcc_lo, 0xffffff, v22
	v_sub_nc_u32_e32 v16, v16, v17
	v_cndmask_b32_e64 v17, 0, 1, vcc_lo
	v_add_co_ci_u32_e64 v21, null, 0, v16, vcc_lo
	v_lshrrev_b32_e32 v22, v17, v22
; %bb.11633:                            ;   in Loop: Header=BB6_11223 Depth=3
	s_andn2_saveexec_b32 s16, s16
; %bb.11634:                            ;   in Loop: Header=BB6_11223 Depth=3
	v_bfe_u32 v21, v22, 23, 1
; %bb.11635:                            ;   in Loop: Header=BB6_11223 Depth=3
	s_or_b32 exec_lo, exec_lo, s16
	v_lshrrev_b32_e32 v16, 21, v22
	v_cmp_gt_i32_e32 vcc_lo, 32, v21
	v_min_i32_e32 v17, 31, v21
	v_and_b32_sdwa v6, v6, v117 dst_sel:DWORD dst_unused:UNUSED_PAD src0_sel:BYTE_3 src1_sel:DWORD
	v_cndmask_b32_e32 v16, 3, v16, vcc_lo
	v_lshlrev_b32_e32 v17, 2, v17
	v_and_b32_e32 v22, 3, v16
	v_or_b32_e32 v16, v21, v16
	v_or3_b32 v6, v17, v6, v22
	v_cmp_ne_u32_e32 vcc_lo, 0, v16
	v_cndmask_b32_e32 v21, 0, v6, vcc_lo
.LBB6_11636:                            ;   in Loop: Header=BB6_11223 Depth=3
	s_or_b32 exec_lo, exec_lo, s23
.LBB6_11637:                            ;   in Loop: Header=BB6_11223 Depth=3
	s_or_b32 exec_lo, exec_lo, s19
	flat_load_ubyte v6, v[12:13] offset:928 slc
	s_mov_b32 s16, 0
	s_mov_b32 s19, exec_lo
	s_waitcnt vmcnt(0) lgkmcnt(0)
	v_cmpx_lt_i16_e32 0x7f, v6
	s_xor_b32 s19, exec_lo, s19
	s_cbranch_execz .LBB6_12375
; %bb.11638:                            ;   in Loop: Header=BB6_11223 Depth=3
	s_mov_b32 s16, -1
	s_mov_b32 s23, exec_lo
	v_cmpx_eq_u16_e32 0x80, v6
; %bb.11639:                            ;   in Loop: Header=BB6_11223 Depth=3
	s_xor_b32 s16, exec_lo, -1
; %bb.11640:                            ;   in Loop: Header=BB6_11223 Depth=3
	s_or_b32 exec_lo, exec_lo, s23
	s_and_b32 s16, s16, exec_lo
	s_or_saveexec_b32 s19, s19
	v_mov_b32_e32 v16, 0x7f800001
	s_xor_b32 exec_lo, exec_lo, s19
	s_cbranch_execnz .LBB6_12376
.LBB6_11641:                            ;   in Loop: Header=BB6_11223 Depth=3
	s_or_b32 exec_lo, exec_lo, s19
	s_and_saveexec_b32 s19, s16
	s_cbranch_execz .LBB6_11643
.LBB6_11642:                            ;   in Loop: Header=BB6_11223 Depth=3
	v_and_b32_e32 v16, 0xffff, v6
	v_lshlrev_b32_e32 v6, 24, v6
	v_and_b32_e32 v17, 3, v16
	v_bfe_u32 v31, v16, 2, 5
	v_and_b32_e32 v6, 0x80000000, v6
	v_ffbh_u32_e32 v22, v17
	v_cmp_eq_u32_e32 vcc_lo, 0, v31
	v_min_u32_e32 v22, 32, v22
	v_subrev_nc_u32_e32 v27, 29, v22
	v_sub_nc_u32_e32 v22, 30, v22
	v_lshlrev_b32_e32 v16, v27, v16
	v_cndmask_b32_e32 v22, v31, v22, vcc_lo
	v_and_b32_e32 v16, 3, v16
	v_cndmask_b32_e32 v16, v17, v16, vcc_lo
	v_lshl_add_u32 v17, v22, 23, 0x37800000
	v_lshlrev_b32_e32 v16, 21, v16
	v_or3_b32 v16, v6, v17, v16
.LBB6_11643:                            ;   in Loop: Header=BB6_11223 Depth=3
	s_or_b32 exec_lo, exec_lo, s19
	v_mul_f32_e32 v6, v0, v16
	v_mov_b32_e32 v17, 0x80
	s_mov_b32 s19, exec_lo
	v_and_b32_e32 v16, 0x7f800000, v6
	v_cmpx_ne_u32_e32 0x7f800000, v16
	s_cbranch_execz .LBB6_11651
; %bb.11644:                            ;   in Loop: Header=BB6_11223 Depth=3
	v_mov_b32_e32 v17, 0
	s_mov_b32 s23, exec_lo
	v_cmpx_ne_u32_e32 0, v6
	s_cbranch_execz .LBB6_11650
; %bb.11645:                            ;   in Loop: Header=BB6_11223 Depth=3
	v_bfe_u32 v17, v6, 23, 8
	v_and_b32_e32 v16, 0x7fffff, v6
	v_cmp_gt_u32_e64 s16, 0x71, v17
	v_sub_nc_u32_e32 v22, 0x70, v17
	v_cmp_eq_u32_e32 vcc_lo, 0, v17
	v_or_b32_e32 v27, 0x800000, v16
	v_cndmask_b32_e64 v22, 0, v22, s16
	v_cndmask_b32_e32 v16, v27, v16, vcc_lo
	v_cndmask_b32_e64 v22, v22, 0x6f, vcc_lo
	v_lshl_add_u32 v27, 0x200000, v22, -1
	v_lshlrev_b32_e64 v31, v22, 0x100000
	v_and_b32_e32 v27, v27, v16
	v_cmp_eq_u32_e64 s16, v27, v31
	v_lshrrev_b32_e32 v27, v22, v16
	v_add_nc_u32_e32 v16, 0xffffff91, v17
	v_lshrrev_b32_e32 v17, 23, v27
	v_cndmask_b32_e64 v16, v16, 0xffffff92, vcc_lo
	v_xor_b32_e32 v17, 1, v17
	v_add_nc_u32_e32 v16, v22, v16
	v_bfe_u32 v22, v27, 21, 1
	v_add_nc_u32_e32 v22, -1, v22
	v_cndmask_b32_e64 v22, 0, v22, s16
	s_mov_b32 s16, exec_lo
	v_add_nc_u32_e32 v22, v22, v27
	v_and_b32_e32 v22, 0x1fffff, v22
	v_add_nc_u32_e32 v27, v22, v27
                                        ; implicit-def: $vgpr22
	v_cmpx_ne_u32_e64 v16, v17
	s_xor_b32 s16, exec_lo, s16
; %bb.11646:                            ;   in Loop: Header=BB6_11223 Depth=3
	v_cmp_lt_u32_e32 vcc_lo, 0xffffff, v27
	v_sub_nc_u32_e32 v16, v16, v17
	v_cndmask_b32_e64 v17, 0, 1, vcc_lo
	v_add_co_ci_u32_e64 v22, null, 0, v16, vcc_lo
	v_lshrrev_b32_e32 v27, v17, v27
; %bb.11647:                            ;   in Loop: Header=BB6_11223 Depth=3
	s_andn2_saveexec_b32 s16, s16
; %bb.11648:                            ;   in Loop: Header=BB6_11223 Depth=3
	v_bfe_u32 v22, v27, 23, 1
; %bb.11649:                            ;   in Loop: Header=BB6_11223 Depth=3
	s_or_b32 exec_lo, exec_lo, s16
	v_lshrrev_b32_e32 v16, 21, v27
	v_cmp_gt_i32_e32 vcc_lo, 32, v22
	v_min_i32_e32 v17, 31, v22
	v_and_b32_sdwa v6, v6, v117 dst_sel:DWORD dst_unused:UNUSED_PAD src0_sel:BYTE_3 src1_sel:DWORD
	v_cndmask_b32_e32 v16, 3, v16, vcc_lo
	v_lshlrev_b32_e32 v17, 2, v17
	v_and_b32_e32 v27, 3, v16
	v_or_b32_e32 v16, v22, v16
	v_or3_b32 v6, v17, v6, v27
	v_cmp_ne_u32_e32 vcc_lo, 0, v16
	v_cndmask_b32_e32 v17, 0, v6, vcc_lo
.LBB6_11650:                            ;   in Loop: Header=BB6_11223 Depth=3
	s_or_b32 exec_lo, exec_lo, s23
.LBB6_11651:                            ;   in Loop: Header=BB6_11223 Depth=3
	s_or_b32 exec_lo, exec_lo, s19
	flat_load_ubyte v6, v[12:13] offset:960 slc
	s_mov_b32 s16, 0
	s_mov_b32 s19, exec_lo
	s_waitcnt vmcnt(0) lgkmcnt(0)
	v_cmpx_lt_i16_e32 0x7f, v6
	s_xor_b32 s19, exec_lo, s19
	s_cbranch_execz .LBB6_12377
; %bb.11652:                            ;   in Loop: Header=BB6_11223 Depth=3
	s_mov_b32 s16, -1
	s_mov_b32 s23, exec_lo
	v_cmpx_eq_u16_e32 0x80, v6
; %bb.11653:                            ;   in Loop: Header=BB6_11223 Depth=3
	s_xor_b32 s16, exec_lo, -1
; %bb.11654:                            ;   in Loop: Header=BB6_11223 Depth=3
	s_or_b32 exec_lo, exec_lo, s23
	s_and_b32 s16, s16, exec_lo
	s_or_saveexec_b32 s19, s19
	v_mov_b32_e32 v16, 0x7f800001
	s_xor_b32 exec_lo, exec_lo, s19
	s_cbranch_execnz .LBB6_12378
.LBB6_11655:                            ;   in Loop: Header=BB6_11223 Depth=3
	s_or_b32 exec_lo, exec_lo, s19
	s_and_saveexec_b32 s19, s16
	s_cbranch_execz .LBB6_11657
.LBB6_11656:                            ;   in Loop: Header=BB6_11223 Depth=3
	v_and_b32_e32 v16, 0xffff, v6
	v_lshlrev_b32_e32 v6, 24, v6
	v_and_b32_e32 v22, 3, v16
	v_bfe_u32 v51, v16, 2, 5
	v_and_b32_e32 v6, 0x80000000, v6
	v_ffbh_u32_e32 v27, v22
	v_cmp_eq_u32_e32 vcc_lo, 0, v51
	v_min_u32_e32 v27, 32, v27
	v_subrev_nc_u32_e32 v31, 29, v27
	v_sub_nc_u32_e32 v27, 30, v27
	v_lshlrev_b32_e32 v16, v31, v16
	v_cndmask_b32_e32 v27, v51, v27, vcc_lo
	v_and_b32_e32 v16, 3, v16
	v_cndmask_b32_e32 v16, v22, v16, vcc_lo
	v_lshl_add_u32 v22, v27, 23, 0x37800000
	v_lshlrev_b32_e32 v16, 21, v16
	v_or3_b32 v16, v6, v22, v16
.LBB6_11657:                            ;   in Loop: Header=BB6_11223 Depth=3
	s_or_b32 exec_lo, exec_lo, s19
	v_mul_f32_e32 v6, v0, v16
	v_and_b32_e32 v16, 0x7f800000, v6
	v_cmp_ne_u32_e32 vcc_lo, 0x7f800000, v16
	v_mov_b32_e32 v16, 0x80
	s_and_saveexec_b32 s19, vcc_lo
	s_cbranch_execz .LBB6_11665
; %bb.11658:                            ;   in Loop: Header=BB6_11223 Depth=3
	v_mov_b32_e32 v16, 0
	s_mov_b32 s23, exec_lo
	v_cmpx_ne_u32_e32 0, v6
	s_cbranch_execz .LBB6_11664
; %bb.11659:                            ;   in Loop: Header=BB6_11223 Depth=3
	v_bfe_u32 v22, v6, 23, 8
	v_and_b32_e32 v16, 0x7fffff, v6
	v_cmp_gt_u32_e64 s16, 0x71, v22
	v_sub_nc_u32_e32 v27, 0x70, v22
	v_cmp_eq_u32_e32 vcc_lo, 0, v22
	v_or_b32_e32 v31, 0x800000, v16
	v_cndmask_b32_e64 v27, 0, v27, s16
	v_cndmask_b32_e32 v16, v31, v16, vcc_lo
	v_cndmask_b32_e64 v27, v27, 0x6f, vcc_lo
	v_lshl_add_u32 v31, 0x200000, v27, -1
	v_lshlrev_b32_e64 v51, v27, 0x100000
	v_and_b32_e32 v31, v31, v16
	v_cmp_eq_u32_e64 s16, v31, v51
	v_lshrrev_b32_e32 v31, v27, v16
	v_add_nc_u32_e32 v16, 0xffffff91, v22
	v_lshrrev_b32_e32 v22, 23, v31
	v_cndmask_b32_e64 v16, v16, 0xffffff92, vcc_lo
	v_xor_b32_e32 v22, 1, v22
	v_add_nc_u32_e32 v16, v27, v16
	v_bfe_u32 v27, v31, 21, 1
	v_add_nc_u32_e32 v27, -1, v27
	v_cndmask_b32_e64 v27, 0, v27, s16
	s_mov_b32 s16, exec_lo
	v_add_nc_u32_e32 v27, v27, v31
	v_and_b32_e32 v27, 0x1fffff, v27
	v_add_nc_u32_e32 v27, v27, v31
                                        ; implicit-def: $vgpr31
	v_cmpx_ne_u32_e64 v16, v22
	s_xor_b32 s16, exec_lo, s16
; %bb.11660:                            ;   in Loop: Header=BB6_11223 Depth=3
	v_cmp_lt_u32_e32 vcc_lo, 0xffffff, v27
	v_sub_nc_u32_e32 v16, v16, v22
	v_cndmask_b32_e64 v22, 0, 1, vcc_lo
	v_add_co_ci_u32_e64 v31, null, 0, v16, vcc_lo
	v_lshrrev_b32_e32 v27, v22, v27
; %bb.11661:                            ;   in Loop: Header=BB6_11223 Depth=3
	s_andn2_saveexec_b32 s16, s16
; %bb.11662:                            ;   in Loop: Header=BB6_11223 Depth=3
	v_bfe_u32 v31, v27, 23, 1
; %bb.11663:                            ;   in Loop: Header=BB6_11223 Depth=3
	s_or_b32 exec_lo, exec_lo, s16
	v_lshrrev_b32_e32 v16, 21, v27
	v_cmp_gt_i32_e32 vcc_lo, 32, v31
	v_min_i32_e32 v22, 31, v31
	v_and_b32_sdwa v6, v6, v117 dst_sel:DWORD dst_unused:UNUSED_PAD src0_sel:BYTE_3 src1_sel:DWORD
	v_cndmask_b32_e32 v16, 3, v16, vcc_lo
	v_lshlrev_b32_e32 v22, 2, v22
	v_or_b32_e32 v27, v31, v16
	v_and_b32_e32 v16, 3, v16
	v_cmp_ne_u32_e32 vcc_lo, 0, v27
	v_or3_b32 v6, v22, v6, v16
	v_cndmask_b32_e32 v16, 0, v6, vcc_lo
.LBB6_11664:                            ;   in Loop: Header=BB6_11223 Depth=3
	s_or_b32 exec_lo, exec_lo, s23
.LBB6_11665:                            ;   in Loop: Header=BB6_11223 Depth=3
	s_or_b32 exec_lo, exec_lo, s19
	flat_load_ubyte v6, v[12:13] offset:992 slc
	s_mov_b32 s16, 0
	s_mov_b32 s19, exec_lo
	s_waitcnt vmcnt(0) lgkmcnt(0)
	v_cmpx_lt_i16_e32 0x7f, v6
	s_xor_b32 s19, exec_lo, s19
	s_cbranch_execz .LBB6_12379
; %bb.11666:                            ;   in Loop: Header=BB6_11223 Depth=3
	s_mov_b32 s16, -1
	s_mov_b32 s23, exec_lo
	v_cmpx_eq_u16_e32 0x80, v6
; %bb.11667:                            ;   in Loop: Header=BB6_11223 Depth=3
	s_xor_b32 s16, exec_lo, -1
; %bb.11668:                            ;   in Loop: Header=BB6_11223 Depth=3
	s_or_b32 exec_lo, exec_lo, s23
	s_and_b32 s16, s16, exec_lo
	s_or_saveexec_b32 s19, s19
	v_mov_b32_e32 v22, 0x7f800001
	s_xor_b32 exec_lo, exec_lo, s19
	s_cbranch_execnz .LBB6_12380
.LBB6_11669:                            ;   in Loop: Header=BB6_11223 Depth=3
	s_or_b32 exec_lo, exec_lo, s19
	s_and_saveexec_b32 s19, s16
	s_cbranch_execz .LBB6_11671
.LBB6_11670:                            ;   in Loop: Header=BB6_11223 Depth=3
	v_and_b32_e32 v22, 0xffff, v6
	v_lshlrev_b32_e32 v6, 24, v6
	v_and_b32_e32 v27, 3, v22
	v_bfe_u32 v55, v22, 2, 5
	v_and_b32_e32 v6, 0x80000000, v6
	v_ffbh_u32_e32 v31, v27
	v_cmp_eq_u32_e32 vcc_lo, 0, v55
	v_min_u32_e32 v31, 32, v31
	v_subrev_nc_u32_e32 v51, 29, v31
	v_sub_nc_u32_e32 v31, 30, v31
	v_lshlrev_b32_e32 v22, v51, v22
	v_cndmask_b32_e32 v31, v55, v31, vcc_lo
	v_and_b32_e32 v22, 3, v22
	v_cndmask_b32_e32 v22, v27, v22, vcc_lo
	v_lshl_add_u32 v27, v31, 23, 0x37800000
	v_lshlrev_b32_e32 v22, 21, v22
	v_or3_b32 v22, v6, v27, v22
.LBB6_11671:                            ;   in Loop: Header=BB6_11223 Depth=3
	s_or_b32 exec_lo, exec_lo, s19
	v_mul_f32_e32 v0, v0, v22
	v_and_b32_e32 v6, 0x7f800000, v0
	v_cmp_ne_u32_e32 vcc_lo, 0x7f800000, v6
	v_mov_b32_e32 v6, 0x80
	s_and_saveexec_b32 s19, vcc_lo
	s_cbranch_execz .LBB6_11679
; %bb.11672:                            ;   in Loop: Header=BB6_11223 Depth=3
	v_mov_b32_e32 v6, 0
	s_mov_b32 s23, exec_lo
	v_cmpx_ne_u32_e32 0, v0
	s_cbranch_execz .LBB6_11678
; %bb.11673:                            ;   in Loop: Header=BB6_11223 Depth=3
	v_bfe_u32 v22, v0, 23, 8
	v_and_b32_e32 v6, 0x7fffff, v0
	v_cmp_gt_u32_e64 s16, 0x71, v22
	v_sub_nc_u32_e32 v27, 0x70, v22
	v_cmp_eq_u32_e32 vcc_lo, 0, v22
	v_or_b32_e32 v31, 0x800000, v6
	v_cndmask_b32_e64 v27, 0, v27, s16
	v_cndmask_b32_e32 v6, v31, v6, vcc_lo
	v_cndmask_b32_e64 v27, v27, 0x6f, vcc_lo
	v_lshl_add_u32 v31, 0x200000, v27, -1
	v_lshlrev_b32_e64 v51, v27, 0x100000
	v_and_b32_e32 v31, v31, v6
	v_cmp_eq_u32_e64 s16, v31, v51
	v_lshrrev_b32_e32 v31, v27, v6
	v_add_nc_u32_e32 v6, 0xffffff91, v22
	v_lshrrev_b32_e32 v22, 23, v31
	v_cndmask_b32_e64 v6, v6, 0xffffff92, vcc_lo
	v_xor_b32_e32 v22, 1, v22
	v_add_nc_u32_e32 v6, v27, v6
	v_bfe_u32 v27, v31, 21, 1
	v_add_nc_u32_e32 v27, -1, v27
	v_cndmask_b32_e64 v27, 0, v27, s16
	s_mov_b32 s16, exec_lo
	v_add_nc_u32_e32 v27, v27, v31
	v_and_b32_e32 v27, 0x1fffff, v27
	v_add_nc_u32_e32 v27, v27, v31
                                        ; implicit-def: $vgpr31
	v_cmpx_ne_u32_e64 v6, v22
	s_xor_b32 s16, exec_lo, s16
; %bb.11674:                            ;   in Loop: Header=BB6_11223 Depth=3
	v_cmp_lt_u32_e32 vcc_lo, 0xffffff, v27
	v_sub_nc_u32_e32 v6, v6, v22
	v_cndmask_b32_e64 v22, 0, 1, vcc_lo
	v_add_co_ci_u32_e64 v31, null, 0, v6, vcc_lo
	v_lshrrev_b32_e32 v27, v22, v27
; %bb.11675:                            ;   in Loop: Header=BB6_11223 Depth=3
	s_andn2_saveexec_b32 s16, s16
; %bb.11676:                            ;   in Loop: Header=BB6_11223 Depth=3
	v_bfe_u32 v31, v27, 23, 1
; %bb.11677:                            ;   in Loop: Header=BB6_11223 Depth=3
	s_or_b32 exec_lo, exec_lo, s16
	v_lshrrev_b32_e32 v6, 21, v27
	v_cmp_gt_i32_e32 vcc_lo, 32, v31
	v_min_i32_e32 v22, 31, v31
	v_and_b32_sdwa v0, v0, v117 dst_sel:DWORD dst_unused:UNUSED_PAD src0_sel:BYTE_3 src1_sel:DWORD
	v_cndmask_b32_e32 v6, 3, v6, vcc_lo
	v_lshlrev_b32_e32 v22, 2, v22
	v_or_b32_e32 v27, v31, v6
	v_and_b32_e32 v6, 3, v6
	v_cmp_ne_u32_e32 vcc_lo, 0, v27
	v_or3_b32 v0, v22, v0, v6
	v_cndmask_b32_e32 v6, 0, v0, vcc_lo
.LBB6_11678:                            ;   in Loop: Header=BB6_11223 Depth=3
	s_or_b32 exec_lo, exec_lo, s23
.LBB6_11679:                            ;   in Loop: Header=BB6_11223 Depth=3
	s_or_b32 exec_lo, exec_lo, s19
	s_clause 0x1f
	flat_load_ubyte v79, v[14:15] slc
	flat_load_ubyte v78, v[14:15] offset:32 slc
	flat_load_ubyte v77, v[14:15] offset:64 slc
	;; [unrolled: 1-line block ×31, first 2 shown]
	v_cmp_gt_i16_sdwa s16, v7, v116 src0_sel:BYTE_0 src1_sel:DWORD
	s_mov_b32 s19, 0
	s_and_saveexec_b32 s23, s16
	s_xor_b32 s16, exec_lo, s23
	s_cbranch_execz .LBB6_12381
; %bb.11680:                            ;   in Loop: Header=BB6_11223 Depth=3
	v_cmp_eq_u16_sdwa s72, v7, v117 src0_sel:BYTE_0 src1_sel:DWORD
	s_mov_b32 s19, -1
	s_and_saveexec_b32 s23, s72
; %bb.11681:                            ;   in Loop: Header=BB6_11223 Depth=3
	s_xor_b32 s19, exec_lo, -1
; %bb.11682:                            ;   in Loop: Header=BB6_11223 Depth=3
	s_or_b32 exec_lo, exec_lo, s23
	s_and_b32 s19, s19, exec_lo
	s_or_saveexec_b32 s16, s16
	v_mov_b32_e32 v88, 0x7f800001
	s_xor_b32 exec_lo, exec_lo, s16
	s_cbranch_execnz .LBB6_12382
.LBB6_11683:                            ;   in Loop: Header=BB6_11223 Depth=3
	s_or_b32 exec_lo, exec_lo, s16
	s_and_saveexec_b32 s16, s19
	s_cbranch_execz .LBB6_11685
.LBB6_11684:                            ;   in Loop: Header=BB6_11223 Depth=3
	v_and_b32_e32 v88, 3, v7
	v_lshrrev_b16 v90, 2, v7
	v_ffbh_u32_e32 v89, v88
	v_and_b32_e32 v90, 31, v90
	v_min_u32_e32 v89, 32, v89
	v_cmp_eq_u32_e32 vcc_lo, 0, v90
	v_subrev_nc_u32_e32 v91, 29, v89
	v_sub_nc_u32_e32 v89, 30, v89
	v_lshlrev_b32_e32 v91, v91, v7
	v_lshlrev_b32_e32 v7, 24, v7
	v_cndmask_b32_e32 v89, v90, v89, vcc_lo
	v_and_b32_e32 v91, 3, v91
	v_and_b32_e32 v7, 0x80000000, v7
	v_lshl_add_u32 v89, v89, 23, 0x37800000
	v_cndmask_b32_e32 v88, v88, v91, vcc_lo
	v_lshlrev_b32_e32 v88, 21, v88
	v_or3_b32 v88, v7, v89, v88
.LBB6_11685:                            ;   in Loop: Header=BB6_11223 Depth=3
	s_or_b32 exec_lo, exec_lo, s16
	s_waitcnt vmcnt(31) lgkmcnt(31)
	v_cmp_gt_i16_sdwa s16, v79, v116 src0_sel:BYTE_0 src1_sel:DWORD
	s_mov_b32 s19, 0
	s_and_saveexec_b32 s23, s16
	s_xor_b32 s16, exec_lo, s23
	s_cbranch_execz .LBB6_12383
; %bb.11686:                            ;   in Loop: Header=BB6_11223 Depth=3
	v_cmp_eq_u16_sdwa s72, v79, v117 src0_sel:BYTE_0 src1_sel:DWORD
	s_mov_b32 s19, -1
	s_and_saveexec_b32 s23, s72
; %bb.11687:                            ;   in Loop: Header=BB6_11223 Depth=3
	s_xor_b32 s19, exec_lo, -1
; %bb.11688:                            ;   in Loop: Header=BB6_11223 Depth=3
	s_or_b32 exec_lo, exec_lo, s23
	s_and_b32 s19, s19, exec_lo
	s_or_saveexec_b32 s16, s16
	v_mov_b32_e32 v7, 0x7f800001
	s_xor_b32 exec_lo, exec_lo, s16
	s_cbranch_execnz .LBB6_12384
.LBB6_11689:                            ;   in Loop: Header=BB6_11223 Depth=3
	s_or_b32 exec_lo, exec_lo, s16
	s_and_saveexec_b32 s16, s19
	s_cbranch_execz .LBB6_11691
.LBB6_11690:                            ;   in Loop: Header=BB6_11223 Depth=3
	v_and_b32_e32 v7, 3, v79
	v_lshrrev_b16 v90, 2, v79
	v_ffbh_u32_e32 v89, v7
	v_and_b32_e32 v90, 31, v90
	v_min_u32_e32 v89, 32, v89
	v_cmp_eq_u32_e32 vcc_lo, 0, v90
	v_subrev_nc_u32_e32 v91, 29, v89
	v_sub_nc_u32_e32 v89, 30, v89
	v_lshlrev_b32_e32 v91, v91, v79
	v_lshlrev_b32_e32 v79, 24, v79
	v_cndmask_b32_e32 v89, v90, v89, vcc_lo
	v_and_b32_e32 v91, 3, v91
	v_and_b32_e32 v79, 0x80000000, v79
	v_lshl_add_u32 v89, v89, 23, 0x37800000
	v_cndmask_b32_e32 v7, v7, v91, vcc_lo
	v_lshlrev_b32_e32 v7, 21, v7
	v_or3_b32 v7, v79, v89, v7
.LBB6_11691:                            ;   in Loop: Header=BB6_11223 Depth=3
	s_or_b32 exec_lo, exec_lo, s16
	v_add_f32_e32 v79, v88, v7
	v_and_b32_e32 v7, 0x7f800000, v79
	v_cmp_ne_u32_e32 vcc_lo, 0x7f800000, v7
	v_mov_b32_e32 v7, 0x80
	s_and_saveexec_b32 s19, vcc_lo
	s_cbranch_execz .LBB6_11699
; %bb.11692:                            ;   in Loop: Header=BB6_11223 Depth=3
	v_mov_b32_e32 v7, 0
	s_mov_b32 s23, exec_lo
	v_cmpx_ne_u32_e32 0, v79
	s_cbranch_execz .LBB6_11698
; %bb.11693:                            ;   in Loop: Header=BB6_11223 Depth=3
	v_bfe_u32 v88, v79, 23, 8
	v_and_b32_e32 v7, 0x7fffff, v79
	v_cmp_gt_u32_e64 s16, 0x71, v88
	v_sub_nc_u32_e32 v89, 0x70, v88
	v_cmp_eq_u32_e32 vcc_lo, 0, v88
	v_or_b32_e32 v90, 0x800000, v7
	v_cndmask_b32_e64 v89, 0, v89, s16
	v_cndmask_b32_e32 v7, v90, v7, vcc_lo
	v_cndmask_b32_e64 v89, v89, 0x6f, vcc_lo
	v_lshl_add_u32 v90, 0x200000, v89, -1
	v_lshlrev_b32_e64 v91, v89, 0x100000
	v_and_b32_e32 v90, v90, v7
	v_cmp_eq_u32_e64 s16, v90, v91
	v_lshrrev_b32_e32 v90, v89, v7
	v_add_nc_u32_e32 v7, 0xffffff91, v88
	v_lshrrev_b32_e32 v88, 23, v90
	v_cndmask_b32_e64 v7, v7, 0xffffff92, vcc_lo
	v_xor_b32_e32 v88, 1, v88
	v_add_nc_u32_e32 v7, v89, v7
	v_bfe_u32 v89, v90, 21, 1
	v_add_nc_u32_e32 v89, -1, v89
	v_cndmask_b32_e64 v89, 0, v89, s16
	s_mov_b32 s16, exec_lo
	v_add_nc_u32_e32 v89, v89, v90
	v_and_b32_e32 v89, 0x1fffff, v89
	v_add_nc_u32_e32 v89, v89, v90
                                        ; implicit-def: $vgpr90
	v_cmpx_ne_u32_e64 v7, v88
	s_xor_b32 s16, exec_lo, s16
; %bb.11694:                            ;   in Loop: Header=BB6_11223 Depth=3
	v_cmp_lt_u32_e32 vcc_lo, 0xffffff, v89
	v_sub_nc_u32_e32 v7, v7, v88
	v_cndmask_b32_e64 v88, 0, 1, vcc_lo
	v_add_co_ci_u32_e64 v90, null, 0, v7, vcc_lo
	v_lshrrev_b32_e32 v89, v88, v89
; %bb.11695:                            ;   in Loop: Header=BB6_11223 Depth=3
	s_andn2_saveexec_b32 s16, s16
; %bb.11696:                            ;   in Loop: Header=BB6_11223 Depth=3
	v_bfe_u32 v90, v89, 23, 1
; %bb.11697:                            ;   in Loop: Header=BB6_11223 Depth=3
	s_or_b32 exec_lo, exec_lo, s16
	v_and_b32_sdwa v7, v79, v117 dst_sel:DWORD dst_unused:UNUSED_PAD src0_sel:BYTE_3 src1_sel:DWORD
	v_lshrrev_b32_e32 v79, 21, v89
	v_cmp_gt_i32_e32 vcc_lo, 32, v90
	v_min_i32_e32 v88, 31, v90
	v_cndmask_b32_e32 v79, 3, v79, vcc_lo
	v_lshlrev_b32_e32 v88, 2, v88
	v_or_b32_e32 v89, v90, v79
	v_and_b32_e32 v79, 3, v79
	v_cmp_ne_u32_e32 vcc_lo, 0, v89
	v_or3_b32 v7, v88, v7, v79
	v_cndmask_b32_e32 v7, 0, v7, vcc_lo
.LBB6_11698:                            ;   in Loop: Header=BB6_11223 Depth=3
	s_or_b32 exec_lo, exec_lo, s23
.LBB6_11699:                            ;   in Loop: Header=BB6_11223 Depth=3
	s_or_b32 exec_lo, exec_lo, s19
	v_cmp_gt_i16_sdwa s16, v24, v116 src0_sel:BYTE_0 src1_sel:DWORD
	s_mov_b32 s19, 0
	s_and_saveexec_b32 s23, s16
	s_xor_b32 s16, exec_lo, s23
	s_cbranch_execz .LBB6_12385
; %bb.11700:                            ;   in Loop: Header=BB6_11223 Depth=3
	v_cmp_eq_u16_sdwa s72, v24, v117 src0_sel:BYTE_0 src1_sel:DWORD
	s_mov_b32 s19, -1
	s_and_saveexec_b32 s23, s72
; %bb.11701:                            ;   in Loop: Header=BB6_11223 Depth=3
	s_xor_b32 s19, exec_lo, -1
; %bb.11702:                            ;   in Loop: Header=BB6_11223 Depth=3
	s_or_b32 exec_lo, exec_lo, s23
	s_and_b32 s19, s19, exec_lo
	s_or_saveexec_b32 s16, s16
	v_mov_b32_e32 v79, 0x7f800001
	s_xor_b32 exec_lo, exec_lo, s16
	s_cbranch_execnz .LBB6_12386
.LBB6_11703:                            ;   in Loop: Header=BB6_11223 Depth=3
	s_or_b32 exec_lo, exec_lo, s16
	s_and_saveexec_b32 s16, s19
	s_cbranch_execz .LBB6_11705
.LBB6_11704:                            ;   in Loop: Header=BB6_11223 Depth=3
	v_and_b32_e32 v79, 3, v24
	v_lshrrev_b16 v89, 2, v24
	v_ffbh_u32_e32 v88, v79
	v_and_b32_e32 v89, 31, v89
	v_min_u32_e32 v88, 32, v88
	v_cmp_eq_u32_e32 vcc_lo, 0, v89
	v_subrev_nc_u32_e32 v90, 29, v88
	v_sub_nc_u32_e32 v88, 30, v88
	v_lshlrev_b32_e32 v90, v90, v24
	v_lshlrev_b32_e32 v24, 24, v24
	v_cndmask_b32_e32 v88, v89, v88, vcc_lo
	v_and_b32_e32 v90, 3, v90
	v_and_b32_e32 v24, 0x80000000, v24
	v_lshl_add_u32 v88, v88, 23, 0x37800000
	v_cndmask_b32_e32 v79, v79, v90, vcc_lo
	v_lshlrev_b32_e32 v79, 21, v79
	v_or3_b32 v79, v24, v88, v79
.LBB6_11705:                            ;   in Loop: Header=BB6_11223 Depth=3
	s_or_b32 exec_lo, exec_lo, s16
	s_waitcnt vmcnt(30) lgkmcnt(30)
	v_cmp_gt_i16_sdwa s19, v78, v116 src0_sel:BYTE_0 src1_sel:DWORD
	s_mov_b32 s16, 0
	s_and_saveexec_b32 s23, s19
	s_xor_b32 s19, exec_lo, s23
	s_cbranch_execz .LBB6_12387
; %bb.11706:                            ;   in Loop: Header=BB6_11223 Depth=3
	v_cmp_eq_u16_sdwa s72, v78, v117 src0_sel:BYTE_0 src1_sel:DWORD
	s_mov_b32 s16, -1
	s_and_saveexec_b32 s23, s72
; %bb.11707:                            ;   in Loop: Header=BB6_11223 Depth=3
	s_xor_b32 s16, exec_lo, -1
; %bb.11708:                            ;   in Loop: Header=BB6_11223 Depth=3
	s_or_b32 exec_lo, exec_lo, s23
	s_and_b32 s16, s16, exec_lo
	s_or_saveexec_b32 s19, s19
	v_mov_b32_e32 v24, 0x7f800001
	s_xor_b32 exec_lo, exec_lo, s19
	s_cbranch_execnz .LBB6_12388
.LBB6_11709:                            ;   in Loop: Header=BB6_11223 Depth=3
	s_or_b32 exec_lo, exec_lo, s19
	s_and_saveexec_b32 s19, s16
	s_cbranch_execz .LBB6_11711
.LBB6_11710:                            ;   in Loop: Header=BB6_11223 Depth=3
	v_and_b32_e32 v24, 3, v78
	v_lshrrev_b16 v89, 2, v78
	v_ffbh_u32_e32 v88, v24
	v_and_b32_e32 v89, 31, v89
	v_min_u32_e32 v88, 32, v88
	v_cmp_eq_u32_e32 vcc_lo, 0, v89
	v_subrev_nc_u32_e32 v90, 29, v88
	v_sub_nc_u32_e32 v88, 30, v88
	v_lshlrev_b32_e32 v90, v90, v78
	v_lshlrev_b32_e32 v78, 24, v78
	v_cndmask_b32_e32 v88, v89, v88, vcc_lo
	v_and_b32_e32 v90, 3, v90
	v_and_b32_e32 v78, 0x80000000, v78
	v_lshl_add_u32 v88, v88, 23, 0x37800000
	v_cndmask_b32_e32 v24, v24, v90, vcc_lo
	v_lshlrev_b32_e32 v24, 21, v24
	v_or3_b32 v24, v78, v88, v24
.LBB6_11711:                            ;   in Loop: Header=BB6_11223 Depth=3
	s_or_b32 exec_lo, exec_lo, s19
	v_add_f32_e32 v78, v79, v24
	v_and_b32_e32 v24, 0x7f800000, v78
	v_cmp_ne_u32_e32 vcc_lo, 0x7f800000, v24
	v_mov_b32_e32 v24, 0x80
	s_and_saveexec_b32 s19, vcc_lo
	s_cbranch_execz .LBB6_11719
; %bb.11712:                            ;   in Loop: Header=BB6_11223 Depth=3
	v_mov_b32_e32 v24, 0
	s_mov_b32 s23, exec_lo
	v_cmpx_ne_u32_e32 0, v78
	s_cbranch_execz .LBB6_11718
; %bb.11713:                            ;   in Loop: Header=BB6_11223 Depth=3
	v_bfe_u32 v79, v78, 23, 8
	v_and_b32_e32 v24, 0x7fffff, v78
	v_cmp_gt_u32_e64 s16, 0x71, v79
	v_sub_nc_u32_e32 v88, 0x70, v79
	v_cmp_eq_u32_e32 vcc_lo, 0, v79
	v_or_b32_e32 v89, 0x800000, v24
	v_cndmask_b32_e64 v88, 0, v88, s16
	v_cndmask_b32_e32 v24, v89, v24, vcc_lo
	v_cndmask_b32_e64 v88, v88, 0x6f, vcc_lo
	v_lshl_add_u32 v89, 0x200000, v88, -1
	v_lshlrev_b32_e64 v90, v88, 0x100000
	v_and_b32_e32 v89, v89, v24
	v_cmp_eq_u32_e64 s16, v89, v90
	v_lshrrev_b32_e32 v89, v88, v24
	v_add_nc_u32_e32 v24, 0xffffff91, v79
	v_lshrrev_b32_e32 v79, 23, v89
	v_cndmask_b32_e64 v24, v24, 0xffffff92, vcc_lo
	v_xor_b32_e32 v79, 1, v79
	v_add_nc_u32_e32 v24, v88, v24
	v_bfe_u32 v88, v89, 21, 1
	v_add_nc_u32_e32 v88, -1, v88
	v_cndmask_b32_e64 v88, 0, v88, s16
	s_mov_b32 s16, exec_lo
	v_add_nc_u32_e32 v88, v88, v89
	v_and_b32_e32 v88, 0x1fffff, v88
	v_add_nc_u32_e32 v88, v88, v89
                                        ; implicit-def: $vgpr89
	v_cmpx_ne_u32_e64 v24, v79
	s_xor_b32 s16, exec_lo, s16
; %bb.11714:                            ;   in Loop: Header=BB6_11223 Depth=3
	v_cmp_lt_u32_e32 vcc_lo, 0xffffff, v88
	v_sub_nc_u32_e32 v24, v24, v79
	v_cndmask_b32_e64 v79, 0, 1, vcc_lo
	v_add_co_ci_u32_e64 v89, null, 0, v24, vcc_lo
	v_lshrrev_b32_e32 v88, v79, v88
; %bb.11715:                            ;   in Loop: Header=BB6_11223 Depth=3
	s_andn2_saveexec_b32 s16, s16
; %bb.11716:                            ;   in Loop: Header=BB6_11223 Depth=3
	v_bfe_u32 v89, v88, 23, 1
; %bb.11717:                            ;   in Loop: Header=BB6_11223 Depth=3
	s_or_b32 exec_lo, exec_lo, s16
	v_and_b32_sdwa v24, v78, v117 dst_sel:DWORD dst_unused:UNUSED_PAD src0_sel:BYTE_3 src1_sel:DWORD
	v_lshrrev_b32_e32 v78, 21, v88
	v_cmp_gt_i32_e32 vcc_lo, 32, v89
	v_min_i32_e32 v79, 31, v89
	v_cndmask_b32_e32 v78, 3, v78, vcc_lo
	v_lshlrev_b32_e32 v79, 2, v79
	v_or_b32_e32 v88, v89, v78
	v_and_b32_e32 v78, 3, v78
	v_cmp_ne_u32_e32 vcc_lo, 0, v88
	v_or3_b32 v24, v79, v24, v78
	v_cndmask_b32_e32 v24, 0, v24, vcc_lo
.LBB6_11718:                            ;   in Loop: Header=BB6_11223 Depth=3
	s_or_b32 exec_lo, exec_lo, s23
.LBB6_11719:                            ;   in Loop: Header=BB6_11223 Depth=3
	s_or_b32 exec_lo, exec_lo, s19
	v_cmp_gt_i16_sdwa s16, v28, v116 src0_sel:BYTE_0 src1_sel:DWORD
	s_mov_b32 s19, 0
	s_and_saveexec_b32 s23, s16
	s_xor_b32 s16, exec_lo, s23
	s_cbranch_execz .LBB6_12389
; %bb.11720:                            ;   in Loop: Header=BB6_11223 Depth=3
	v_cmp_eq_u16_sdwa s72, v28, v117 src0_sel:BYTE_0 src1_sel:DWORD
	s_mov_b32 s19, -1
	s_and_saveexec_b32 s23, s72
; %bb.11721:                            ;   in Loop: Header=BB6_11223 Depth=3
	s_xor_b32 s19, exec_lo, -1
; %bb.11722:                            ;   in Loop: Header=BB6_11223 Depth=3
	s_or_b32 exec_lo, exec_lo, s23
	s_and_b32 s19, s19, exec_lo
	s_or_saveexec_b32 s16, s16
	v_mov_b32_e32 v78, 0x7f800001
	s_xor_b32 exec_lo, exec_lo, s16
	s_cbranch_execnz .LBB6_12390
.LBB6_11723:                            ;   in Loop: Header=BB6_11223 Depth=3
	s_or_b32 exec_lo, exec_lo, s16
	s_and_saveexec_b32 s16, s19
	s_cbranch_execz .LBB6_11725
.LBB6_11724:                            ;   in Loop: Header=BB6_11223 Depth=3
	v_and_b32_e32 v78, 3, v28
	v_lshrrev_b16 v88, 2, v28
	v_ffbh_u32_e32 v79, v78
	v_and_b32_e32 v88, 31, v88
	v_min_u32_e32 v79, 32, v79
	v_cmp_eq_u32_e32 vcc_lo, 0, v88
	v_subrev_nc_u32_e32 v89, 29, v79
	v_sub_nc_u32_e32 v79, 30, v79
	v_lshlrev_b32_e32 v89, v89, v28
	v_lshlrev_b32_e32 v28, 24, v28
	v_cndmask_b32_e32 v79, v88, v79, vcc_lo
	v_and_b32_e32 v89, 3, v89
	v_and_b32_e32 v28, 0x80000000, v28
	v_lshl_add_u32 v79, v79, 23, 0x37800000
	v_cndmask_b32_e32 v78, v78, v89, vcc_lo
	v_lshlrev_b32_e32 v78, 21, v78
	v_or3_b32 v78, v28, v79, v78
.LBB6_11725:                            ;   in Loop: Header=BB6_11223 Depth=3
	s_or_b32 exec_lo, exec_lo, s16
	s_waitcnt vmcnt(29) lgkmcnt(29)
	v_cmp_gt_i16_sdwa s19, v77, v116 src0_sel:BYTE_0 src1_sel:DWORD
	s_mov_b32 s16, 0
	s_and_saveexec_b32 s23, s19
	s_xor_b32 s19, exec_lo, s23
	s_cbranch_execz .LBB6_12391
; %bb.11726:                            ;   in Loop: Header=BB6_11223 Depth=3
	v_cmp_eq_u16_sdwa s72, v77, v117 src0_sel:BYTE_0 src1_sel:DWORD
	s_mov_b32 s16, -1
	s_and_saveexec_b32 s23, s72
; %bb.11727:                            ;   in Loop: Header=BB6_11223 Depth=3
	s_xor_b32 s16, exec_lo, -1
; %bb.11728:                            ;   in Loop: Header=BB6_11223 Depth=3
	s_or_b32 exec_lo, exec_lo, s23
	s_and_b32 s16, s16, exec_lo
	s_or_saveexec_b32 s19, s19
	v_mov_b32_e32 v28, 0x7f800001
	s_xor_b32 exec_lo, exec_lo, s19
	s_cbranch_execnz .LBB6_12392
.LBB6_11729:                            ;   in Loop: Header=BB6_11223 Depth=3
	s_or_b32 exec_lo, exec_lo, s19
	s_and_saveexec_b32 s19, s16
	s_cbranch_execz .LBB6_11731
.LBB6_11730:                            ;   in Loop: Header=BB6_11223 Depth=3
	v_and_b32_e32 v28, 3, v77
	v_lshrrev_b16 v88, 2, v77
	v_ffbh_u32_e32 v79, v28
	v_and_b32_e32 v88, 31, v88
	v_min_u32_e32 v79, 32, v79
	v_cmp_eq_u32_e32 vcc_lo, 0, v88
	v_subrev_nc_u32_e32 v89, 29, v79
	v_sub_nc_u32_e32 v79, 30, v79
	v_lshlrev_b32_e32 v89, v89, v77
	v_lshlrev_b32_e32 v77, 24, v77
	v_cndmask_b32_e32 v79, v88, v79, vcc_lo
	v_and_b32_e32 v89, 3, v89
	v_and_b32_e32 v77, 0x80000000, v77
	v_lshl_add_u32 v79, v79, 23, 0x37800000
	v_cndmask_b32_e32 v28, v28, v89, vcc_lo
	v_lshlrev_b32_e32 v28, 21, v28
	v_or3_b32 v28, v77, v79, v28
.LBB6_11731:                            ;   in Loop: Header=BB6_11223 Depth=3
	s_or_b32 exec_lo, exec_lo, s19
	v_add_f32_e32 v77, v78, v28
	v_and_b32_e32 v28, 0x7f800000, v77
	v_cmp_ne_u32_e32 vcc_lo, 0x7f800000, v28
	v_mov_b32_e32 v28, 0x80
	s_and_saveexec_b32 s19, vcc_lo
	s_cbranch_execz .LBB6_11739
; %bb.11732:                            ;   in Loop: Header=BB6_11223 Depth=3
	v_mov_b32_e32 v28, 0
	s_mov_b32 s23, exec_lo
	v_cmpx_ne_u32_e32 0, v77
	s_cbranch_execz .LBB6_11738
; %bb.11733:                            ;   in Loop: Header=BB6_11223 Depth=3
	v_bfe_u32 v78, v77, 23, 8
	v_and_b32_e32 v28, 0x7fffff, v77
	v_cmp_gt_u32_e64 s16, 0x71, v78
	v_sub_nc_u32_e32 v79, 0x70, v78
	v_cmp_eq_u32_e32 vcc_lo, 0, v78
	v_or_b32_e32 v88, 0x800000, v28
	v_cndmask_b32_e64 v79, 0, v79, s16
	v_cndmask_b32_e32 v28, v88, v28, vcc_lo
	v_cndmask_b32_e64 v79, v79, 0x6f, vcc_lo
	v_lshl_add_u32 v88, 0x200000, v79, -1
	v_lshlrev_b32_e64 v89, v79, 0x100000
	v_and_b32_e32 v88, v88, v28
	v_cmp_eq_u32_e64 s16, v88, v89
	v_lshrrev_b32_e32 v88, v79, v28
	v_add_nc_u32_e32 v28, 0xffffff91, v78
	v_lshrrev_b32_e32 v78, 23, v88
	v_cndmask_b32_e64 v28, v28, 0xffffff92, vcc_lo
	v_xor_b32_e32 v78, 1, v78
	v_add_nc_u32_e32 v28, v79, v28
	v_bfe_u32 v79, v88, 21, 1
	v_add_nc_u32_e32 v79, -1, v79
	v_cndmask_b32_e64 v79, 0, v79, s16
	s_mov_b32 s16, exec_lo
	v_add_nc_u32_e32 v79, v79, v88
	v_and_b32_e32 v79, 0x1fffff, v79
	v_add_nc_u32_e32 v79, v79, v88
                                        ; implicit-def: $vgpr88
	v_cmpx_ne_u32_e64 v28, v78
	s_xor_b32 s16, exec_lo, s16
; %bb.11734:                            ;   in Loop: Header=BB6_11223 Depth=3
	v_cmp_lt_u32_e32 vcc_lo, 0xffffff, v79
	v_sub_nc_u32_e32 v28, v28, v78
	v_cndmask_b32_e64 v78, 0, 1, vcc_lo
	v_add_co_ci_u32_e64 v88, null, 0, v28, vcc_lo
	v_lshrrev_b32_e32 v79, v78, v79
; %bb.11735:                            ;   in Loop: Header=BB6_11223 Depth=3
	s_andn2_saveexec_b32 s16, s16
; %bb.11736:                            ;   in Loop: Header=BB6_11223 Depth=3
	v_bfe_u32 v88, v79, 23, 1
; %bb.11737:                            ;   in Loop: Header=BB6_11223 Depth=3
	s_or_b32 exec_lo, exec_lo, s16
	v_and_b32_sdwa v28, v77, v117 dst_sel:DWORD dst_unused:UNUSED_PAD src0_sel:BYTE_3 src1_sel:DWORD
	v_lshrrev_b32_e32 v77, 21, v79
	v_cmp_gt_i32_e32 vcc_lo, 32, v88
	v_min_i32_e32 v78, 31, v88
	v_cndmask_b32_e32 v77, 3, v77, vcc_lo
	v_lshlrev_b32_e32 v78, 2, v78
	v_or_b32_e32 v79, v88, v77
	v_and_b32_e32 v77, 3, v77
	v_cmp_ne_u32_e32 vcc_lo, 0, v79
	v_or3_b32 v28, v78, v28, v77
	v_cndmask_b32_e32 v28, 0, v28, vcc_lo
.LBB6_11738:                            ;   in Loop: Header=BB6_11223 Depth=3
	s_or_b32 exec_lo, exec_lo, s23
.LBB6_11739:                            ;   in Loop: Header=BB6_11223 Depth=3
	s_or_b32 exec_lo, exec_lo, s19
	v_cmp_gt_i16_sdwa s16, v37, v116 src0_sel:BYTE_0 src1_sel:DWORD
	s_mov_b32 s19, 0
	s_and_saveexec_b32 s23, s16
	s_xor_b32 s16, exec_lo, s23
	s_cbranch_execz .LBB6_12393
; %bb.11740:                            ;   in Loop: Header=BB6_11223 Depth=3
	v_cmp_eq_u16_sdwa s72, v37, v117 src0_sel:BYTE_0 src1_sel:DWORD
	s_mov_b32 s19, -1
	s_and_saveexec_b32 s23, s72
; %bb.11741:                            ;   in Loop: Header=BB6_11223 Depth=3
	s_xor_b32 s19, exec_lo, -1
; %bb.11742:                            ;   in Loop: Header=BB6_11223 Depth=3
	s_or_b32 exec_lo, exec_lo, s23
	s_and_b32 s19, s19, exec_lo
	s_or_saveexec_b32 s16, s16
	v_mov_b32_e32 v77, 0x7f800001
	s_xor_b32 exec_lo, exec_lo, s16
	s_cbranch_execnz .LBB6_12394
.LBB6_11743:                            ;   in Loop: Header=BB6_11223 Depth=3
	s_or_b32 exec_lo, exec_lo, s16
	s_and_saveexec_b32 s16, s19
	s_cbranch_execz .LBB6_11745
.LBB6_11744:                            ;   in Loop: Header=BB6_11223 Depth=3
	v_and_b32_e32 v77, 3, v37
	v_lshrrev_b16 v79, 2, v37
	v_ffbh_u32_e32 v78, v77
	v_and_b32_e32 v79, 31, v79
	v_min_u32_e32 v78, 32, v78
	v_cmp_eq_u32_e32 vcc_lo, 0, v79
	v_subrev_nc_u32_e32 v88, 29, v78
	v_sub_nc_u32_e32 v78, 30, v78
	v_lshlrev_b32_e32 v88, v88, v37
	v_lshlrev_b32_e32 v37, 24, v37
	v_cndmask_b32_e32 v78, v79, v78, vcc_lo
	v_and_b32_e32 v88, 3, v88
	v_and_b32_e32 v37, 0x80000000, v37
	v_lshl_add_u32 v78, v78, 23, 0x37800000
	v_cndmask_b32_e32 v77, v77, v88, vcc_lo
	v_lshlrev_b32_e32 v77, 21, v77
	v_or3_b32 v77, v37, v78, v77
.LBB6_11745:                            ;   in Loop: Header=BB6_11223 Depth=3
	s_or_b32 exec_lo, exec_lo, s16
	s_waitcnt vmcnt(28) lgkmcnt(28)
	v_cmp_gt_i16_sdwa s19, v76, v116 src0_sel:BYTE_0 src1_sel:DWORD
	s_mov_b32 s16, 0
	s_and_saveexec_b32 s23, s19
	s_xor_b32 s19, exec_lo, s23
	s_cbranch_execz .LBB6_12395
; %bb.11746:                            ;   in Loop: Header=BB6_11223 Depth=3
	v_cmp_eq_u16_sdwa s72, v76, v117 src0_sel:BYTE_0 src1_sel:DWORD
	s_mov_b32 s16, -1
	s_and_saveexec_b32 s23, s72
; %bb.11747:                            ;   in Loop: Header=BB6_11223 Depth=3
	s_xor_b32 s16, exec_lo, -1
; %bb.11748:                            ;   in Loop: Header=BB6_11223 Depth=3
	s_or_b32 exec_lo, exec_lo, s23
	s_and_b32 s16, s16, exec_lo
	s_or_saveexec_b32 s19, s19
	v_mov_b32_e32 v37, 0x7f800001
	s_xor_b32 exec_lo, exec_lo, s19
	s_cbranch_execnz .LBB6_12396
.LBB6_11749:                            ;   in Loop: Header=BB6_11223 Depth=3
	s_or_b32 exec_lo, exec_lo, s19
	s_and_saveexec_b32 s19, s16
	s_cbranch_execz .LBB6_11751
.LBB6_11750:                            ;   in Loop: Header=BB6_11223 Depth=3
	v_and_b32_e32 v37, 3, v76
	v_lshrrev_b16 v79, 2, v76
	v_ffbh_u32_e32 v78, v37
	v_and_b32_e32 v79, 31, v79
	v_min_u32_e32 v78, 32, v78
	v_cmp_eq_u32_e32 vcc_lo, 0, v79
	v_subrev_nc_u32_e32 v88, 29, v78
	v_sub_nc_u32_e32 v78, 30, v78
	v_lshlrev_b32_e32 v88, v88, v76
	v_lshlrev_b32_e32 v76, 24, v76
	v_cndmask_b32_e32 v78, v79, v78, vcc_lo
	v_and_b32_e32 v88, 3, v88
	v_and_b32_e32 v76, 0x80000000, v76
	v_lshl_add_u32 v78, v78, 23, 0x37800000
	v_cndmask_b32_e32 v37, v37, v88, vcc_lo
	v_lshlrev_b32_e32 v37, 21, v37
	v_or3_b32 v37, v76, v78, v37
.LBB6_11751:                            ;   in Loop: Header=BB6_11223 Depth=3
	s_or_b32 exec_lo, exec_lo, s19
	v_add_f32_e32 v76, v77, v37
	v_and_b32_e32 v37, 0x7f800000, v76
	v_cmp_ne_u32_e32 vcc_lo, 0x7f800000, v37
	v_mov_b32_e32 v37, 0x80
	s_and_saveexec_b32 s19, vcc_lo
	s_cbranch_execz .LBB6_11759
; %bb.11752:                            ;   in Loop: Header=BB6_11223 Depth=3
	v_mov_b32_e32 v37, 0
	s_mov_b32 s23, exec_lo
	v_cmpx_ne_u32_e32 0, v76
	s_cbranch_execz .LBB6_11758
; %bb.11753:                            ;   in Loop: Header=BB6_11223 Depth=3
	v_bfe_u32 v77, v76, 23, 8
	v_and_b32_e32 v37, 0x7fffff, v76
	v_cmp_gt_u32_e64 s16, 0x71, v77
	v_sub_nc_u32_e32 v78, 0x70, v77
	v_cmp_eq_u32_e32 vcc_lo, 0, v77
	v_or_b32_e32 v79, 0x800000, v37
	v_cndmask_b32_e64 v78, 0, v78, s16
	v_cndmask_b32_e32 v37, v79, v37, vcc_lo
	v_cndmask_b32_e64 v78, v78, 0x6f, vcc_lo
	v_lshl_add_u32 v79, 0x200000, v78, -1
	v_lshlrev_b32_e64 v88, v78, 0x100000
	v_and_b32_e32 v79, v79, v37
	v_cmp_eq_u32_e64 s16, v79, v88
	v_lshrrev_b32_e32 v79, v78, v37
	v_add_nc_u32_e32 v37, 0xffffff91, v77
	v_lshrrev_b32_e32 v77, 23, v79
	v_cndmask_b32_e64 v37, v37, 0xffffff92, vcc_lo
	v_xor_b32_e32 v77, 1, v77
	v_add_nc_u32_e32 v37, v78, v37
	v_bfe_u32 v78, v79, 21, 1
	v_add_nc_u32_e32 v78, -1, v78
	v_cndmask_b32_e64 v78, 0, v78, s16
	s_mov_b32 s16, exec_lo
	v_add_nc_u32_e32 v78, v78, v79
	v_and_b32_e32 v78, 0x1fffff, v78
	v_add_nc_u32_e32 v78, v78, v79
                                        ; implicit-def: $vgpr79
	v_cmpx_ne_u32_e64 v37, v77
	s_xor_b32 s16, exec_lo, s16
; %bb.11754:                            ;   in Loop: Header=BB6_11223 Depth=3
	v_cmp_lt_u32_e32 vcc_lo, 0xffffff, v78
	v_sub_nc_u32_e32 v37, v37, v77
	v_cndmask_b32_e64 v77, 0, 1, vcc_lo
	v_add_co_ci_u32_e64 v79, null, 0, v37, vcc_lo
	v_lshrrev_b32_e32 v78, v77, v78
; %bb.11755:                            ;   in Loop: Header=BB6_11223 Depth=3
	s_andn2_saveexec_b32 s16, s16
; %bb.11756:                            ;   in Loop: Header=BB6_11223 Depth=3
	v_bfe_u32 v79, v78, 23, 1
; %bb.11757:                            ;   in Loop: Header=BB6_11223 Depth=3
	s_or_b32 exec_lo, exec_lo, s16
	v_and_b32_sdwa v37, v76, v117 dst_sel:DWORD dst_unused:UNUSED_PAD src0_sel:BYTE_3 src1_sel:DWORD
	v_lshrrev_b32_e32 v76, 21, v78
	v_cmp_gt_i32_e32 vcc_lo, 32, v79
	v_min_i32_e32 v77, 31, v79
	v_cndmask_b32_e32 v76, 3, v76, vcc_lo
	v_lshlrev_b32_e32 v77, 2, v77
	v_or_b32_e32 v78, v79, v76
	v_and_b32_e32 v76, 3, v76
	v_cmp_ne_u32_e32 vcc_lo, 0, v78
	v_or3_b32 v37, v77, v37, v76
	v_cndmask_b32_e32 v37, 0, v37, vcc_lo
.LBB6_11758:                            ;   in Loop: Header=BB6_11223 Depth=3
	s_or_b32 exec_lo, exec_lo, s23
.LBB6_11759:                            ;   in Loop: Header=BB6_11223 Depth=3
	s_or_b32 exec_lo, exec_lo, s19
	v_cmp_gt_i16_sdwa s16, v53, v116 src0_sel:BYTE_0 src1_sel:DWORD
	s_mov_b32 s19, 0
	s_and_saveexec_b32 s23, s16
	s_xor_b32 s16, exec_lo, s23
	s_cbranch_execz .LBB6_12397
; %bb.11760:                            ;   in Loop: Header=BB6_11223 Depth=3
	v_cmp_eq_u16_sdwa s72, v53, v117 src0_sel:BYTE_0 src1_sel:DWORD
	s_mov_b32 s19, -1
	s_and_saveexec_b32 s23, s72
; %bb.11761:                            ;   in Loop: Header=BB6_11223 Depth=3
	s_xor_b32 s19, exec_lo, -1
; %bb.11762:                            ;   in Loop: Header=BB6_11223 Depth=3
	s_or_b32 exec_lo, exec_lo, s23
	s_and_b32 s19, s19, exec_lo
	s_or_saveexec_b32 s16, s16
	v_mov_b32_e32 v76, 0x7f800001
	s_xor_b32 exec_lo, exec_lo, s16
	s_cbranch_execnz .LBB6_12398
.LBB6_11763:                            ;   in Loop: Header=BB6_11223 Depth=3
	s_or_b32 exec_lo, exec_lo, s16
	s_and_saveexec_b32 s16, s19
	s_cbranch_execz .LBB6_11765
.LBB6_11764:                            ;   in Loop: Header=BB6_11223 Depth=3
	v_and_b32_e32 v76, 3, v53
	v_lshrrev_b16 v78, 2, v53
	v_ffbh_u32_e32 v77, v76
	v_and_b32_e32 v78, 31, v78
	v_min_u32_e32 v77, 32, v77
	v_cmp_eq_u32_e32 vcc_lo, 0, v78
	v_subrev_nc_u32_e32 v79, 29, v77
	v_sub_nc_u32_e32 v77, 30, v77
	v_lshlrev_b32_e32 v79, v79, v53
	v_lshlrev_b32_e32 v53, 24, v53
	v_cndmask_b32_e32 v77, v78, v77, vcc_lo
	v_and_b32_e32 v79, 3, v79
	v_and_b32_e32 v53, 0x80000000, v53
	v_lshl_add_u32 v77, v77, 23, 0x37800000
	v_cndmask_b32_e32 v76, v76, v79, vcc_lo
	v_lshlrev_b32_e32 v76, 21, v76
	v_or3_b32 v76, v53, v77, v76
.LBB6_11765:                            ;   in Loop: Header=BB6_11223 Depth=3
	s_or_b32 exec_lo, exec_lo, s16
	s_waitcnt vmcnt(27) lgkmcnt(27)
	v_cmp_gt_i16_sdwa s19, v75, v116 src0_sel:BYTE_0 src1_sel:DWORD
	s_mov_b32 s16, 0
	s_and_saveexec_b32 s23, s19
	s_xor_b32 s19, exec_lo, s23
	s_cbranch_execz .LBB6_12399
; %bb.11766:                            ;   in Loop: Header=BB6_11223 Depth=3
	v_cmp_eq_u16_sdwa s72, v75, v117 src0_sel:BYTE_0 src1_sel:DWORD
	s_mov_b32 s16, -1
	s_and_saveexec_b32 s23, s72
; %bb.11767:                            ;   in Loop: Header=BB6_11223 Depth=3
	s_xor_b32 s16, exec_lo, -1
; %bb.11768:                            ;   in Loop: Header=BB6_11223 Depth=3
	s_or_b32 exec_lo, exec_lo, s23
	s_and_b32 s16, s16, exec_lo
	s_or_saveexec_b32 s19, s19
	v_mov_b32_e32 v53, 0x7f800001
	s_xor_b32 exec_lo, exec_lo, s19
	s_cbranch_execnz .LBB6_12400
.LBB6_11769:                            ;   in Loop: Header=BB6_11223 Depth=3
	s_or_b32 exec_lo, exec_lo, s19
	s_and_saveexec_b32 s19, s16
	s_cbranch_execz .LBB6_11771
.LBB6_11770:                            ;   in Loop: Header=BB6_11223 Depth=3
	v_and_b32_e32 v53, 3, v75
	v_lshrrev_b16 v78, 2, v75
	v_ffbh_u32_e32 v77, v53
	v_and_b32_e32 v78, 31, v78
	v_min_u32_e32 v77, 32, v77
	v_cmp_eq_u32_e32 vcc_lo, 0, v78
	v_subrev_nc_u32_e32 v79, 29, v77
	v_sub_nc_u32_e32 v77, 30, v77
	v_lshlrev_b32_e32 v79, v79, v75
	v_lshlrev_b32_e32 v75, 24, v75
	v_cndmask_b32_e32 v77, v78, v77, vcc_lo
	v_and_b32_e32 v79, 3, v79
	v_and_b32_e32 v75, 0x80000000, v75
	v_lshl_add_u32 v77, v77, 23, 0x37800000
	v_cndmask_b32_e32 v53, v53, v79, vcc_lo
	v_lshlrev_b32_e32 v53, 21, v53
	v_or3_b32 v53, v75, v77, v53
.LBB6_11771:                            ;   in Loop: Header=BB6_11223 Depth=3
	s_or_b32 exec_lo, exec_lo, s19
	v_add_f32_e32 v75, v76, v53
	v_and_b32_e32 v53, 0x7f800000, v75
	v_cmp_ne_u32_e32 vcc_lo, 0x7f800000, v53
	v_mov_b32_e32 v53, 0x80
	s_and_saveexec_b32 s19, vcc_lo
	s_cbranch_execz .LBB6_11779
; %bb.11772:                            ;   in Loop: Header=BB6_11223 Depth=3
	v_mov_b32_e32 v53, 0
	s_mov_b32 s23, exec_lo
	v_cmpx_ne_u32_e32 0, v75
	s_cbranch_execz .LBB6_11778
; %bb.11773:                            ;   in Loop: Header=BB6_11223 Depth=3
	v_bfe_u32 v76, v75, 23, 8
	v_and_b32_e32 v53, 0x7fffff, v75
	v_cmp_gt_u32_e64 s16, 0x71, v76
	v_sub_nc_u32_e32 v77, 0x70, v76
	v_cmp_eq_u32_e32 vcc_lo, 0, v76
	v_or_b32_e32 v78, 0x800000, v53
	v_cndmask_b32_e64 v77, 0, v77, s16
	v_cndmask_b32_e32 v53, v78, v53, vcc_lo
	v_cndmask_b32_e64 v77, v77, 0x6f, vcc_lo
	v_lshl_add_u32 v78, 0x200000, v77, -1
	v_lshlrev_b32_e64 v79, v77, 0x100000
	v_and_b32_e32 v78, v78, v53
	v_cmp_eq_u32_e64 s16, v78, v79
	v_lshrrev_b32_e32 v78, v77, v53
	v_add_nc_u32_e32 v53, 0xffffff91, v76
	v_lshrrev_b32_e32 v76, 23, v78
	v_cndmask_b32_e64 v53, v53, 0xffffff92, vcc_lo
	v_xor_b32_e32 v76, 1, v76
	v_add_nc_u32_e32 v53, v77, v53
	v_bfe_u32 v77, v78, 21, 1
	v_add_nc_u32_e32 v77, -1, v77
	v_cndmask_b32_e64 v77, 0, v77, s16
	s_mov_b32 s16, exec_lo
	v_add_nc_u32_e32 v77, v77, v78
	v_and_b32_e32 v77, 0x1fffff, v77
	v_add_nc_u32_e32 v77, v77, v78
                                        ; implicit-def: $vgpr78
	v_cmpx_ne_u32_e64 v53, v76
	s_xor_b32 s16, exec_lo, s16
; %bb.11774:                            ;   in Loop: Header=BB6_11223 Depth=3
	v_cmp_lt_u32_e32 vcc_lo, 0xffffff, v77
	v_sub_nc_u32_e32 v53, v53, v76
	v_cndmask_b32_e64 v76, 0, 1, vcc_lo
	v_add_co_ci_u32_e64 v78, null, 0, v53, vcc_lo
	v_lshrrev_b32_e32 v77, v76, v77
; %bb.11775:                            ;   in Loop: Header=BB6_11223 Depth=3
	s_andn2_saveexec_b32 s16, s16
; %bb.11776:                            ;   in Loop: Header=BB6_11223 Depth=3
	v_bfe_u32 v78, v77, 23, 1
; %bb.11777:                            ;   in Loop: Header=BB6_11223 Depth=3
	s_or_b32 exec_lo, exec_lo, s16
	v_and_b32_sdwa v53, v75, v117 dst_sel:DWORD dst_unused:UNUSED_PAD src0_sel:BYTE_3 src1_sel:DWORD
	v_lshrrev_b32_e32 v75, 21, v77
	v_cmp_gt_i32_e32 vcc_lo, 32, v78
	v_min_i32_e32 v76, 31, v78
	v_cndmask_b32_e32 v75, 3, v75, vcc_lo
	v_lshlrev_b32_e32 v76, 2, v76
	v_or_b32_e32 v77, v78, v75
	v_and_b32_e32 v75, 3, v75
	v_cmp_ne_u32_e32 vcc_lo, 0, v77
	v_or3_b32 v53, v76, v53, v75
	v_cndmask_b32_e32 v53, 0, v53, vcc_lo
.LBB6_11778:                            ;   in Loop: Header=BB6_11223 Depth=3
	s_or_b32 exec_lo, exec_lo, s23
.LBB6_11779:                            ;   in Loop: Header=BB6_11223 Depth=3
	s_or_b32 exec_lo, exec_lo, s19
	v_cmp_gt_i16_sdwa s16, v67, v116 src0_sel:BYTE_0 src1_sel:DWORD
	s_mov_b32 s19, 0
	s_and_saveexec_b32 s23, s16
	s_xor_b32 s16, exec_lo, s23
	s_cbranch_execz .LBB6_12401
; %bb.11780:                            ;   in Loop: Header=BB6_11223 Depth=3
	v_cmp_eq_u16_sdwa s72, v67, v117 src0_sel:BYTE_0 src1_sel:DWORD
	s_mov_b32 s19, -1
	s_and_saveexec_b32 s23, s72
; %bb.11781:                            ;   in Loop: Header=BB6_11223 Depth=3
	s_xor_b32 s19, exec_lo, -1
; %bb.11782:                            ;   in Loop: Header=BB6_11223 Depth=3
	s_or_b32 exec_lo, exec_lo, s23
	s_and_b32 s19, s19, exec_lo
	s_or_saveexec_b32 s16, s16
	v_mov_b32_e32 v75, 0x7f800001
	s_xor_b32 exec_lo, exec_lo, s16
	s_cbranch_execnz .LBB6_12402
.LBB6_11783:                            ;   in Loop: Header=BB6_11223 Depth=3
	s_or_b32 exec_lo, exec_lo, s16
	s_and_saveexec_b32 s16, s19
	s_cbranch_execz .LBB6_11785
.LBB6_11784:                            ;   in Loop: Header=BB6_11223 Depth=3
	v_and_b32_e32 v75, 3, v67
	v_lshrrev_b16 v77, 2, v67
	v_ffbh_u32_e32 v76, v75
	v_and_b32_e32 v77, 31, v77
	v_min_u32_e32 v76, 32, v76
	v_cmp_eq_u32_e32 vcc_lo, 0, v77
	v_subrev_nc_u32_e32 v78, 29, v76
	v_sub_nc_u32_e32 v76, 30, v76
	v_lshlrev_b32_e32 v78, v78, v67
	v_lshlrev_b32_e32 v67, 24, v67
	v_cndmask_b32_e32 v76, v77, v76, vcc_lo
	v_and_b32_e32 v78, 3, v78
	v_and_b32_e32 v67, 0x80000000, v67
	v_lshl_add_u32 v76, v76, 23, 0x37800000
	v_cndmask_b32_e32 v75, v75, v78, vcc_lo
	v_lshlrev_b32_e32 v75, 21, v75
	v_or3_b32 v75, v67, v76, v75
.LBB6_11785:                            ;   in Loop: Header=BB6_11223 Depth=3
	s_or_b32 exec_lo, exec_lo, s16
	s_waitcnt vmcnt(26) lgkmcnt(26)
	v_cmp_gt_i16_sdwa s19, v74, v116 src0_sel:BYTE_0 src1_sel:DWORD
	s_mov_b32 s16, 0
	s_and_saveexec_b32 s23, s19
	s_xor_b32 s19, exec_lo, s23
	s_cbranch_execz .LBB6_12403
; %bb.11786:                            ;   in Loop: Header=BB6_11223 Depth=3
	v_cmp_eq_u16_sdwa s72, v74, v117 src0_sel:BYTE_0 src1_sel:DWORD
	s_mov_b32 s16, -1
	s_and_saveexec_b32 s23, s72
; %bb.11787:                            ;   in Loop: Header=BB6_11223 Depth=3
	s_xor_b32 s16, exec_lo, -1
; %bb.11788:                            ;   in Loop: Header=BB6_11223 Depth=3
	s_or_b32 exec_lo, exec_lo, s23
	s_and_b32 s16, s16, exec_lo
	s_or_saveexec_b32 s19, s19
	v_mov_b32_e32 v67, 0x7f800001
	s_xor_b32 exec_lo, exec_lo, s19
	s_cbranch_execnz .LBB6_12404
.LBB6_11789:                            ;   in Loop: Header=BB6_11223 Depth=3
	s_or_b32 exec_lo, exec_lo, s19
	s_and_saveexec_b32 s19, s16
	s_cbranch_execz .LBB6_11791
.LBB6_11790:                            ;   in Loop: Header=BB6_11223 Depth=3
	v_and_b32_e32 v67, 3, v74
	v_lshrrev_b16 v77, 2, v74
	v_ffbh_u32_e32 v76, v67
	v_and_b32_e32 v77, 31, v77
	v_min_u32_e32 v76, 32, v76
	v_cmp_eq_u32_e32 vcc_lo, 0, v77
	v_subrev_nc_u32_e32 v78, 29, v76
	v_sub_nc_u32_e32 v76, 30, v76
	v_lshlrev_b32_e32 v78, v78, v74
	v_lshlrev_b32_e32 v74, 24, v74
	v_cndmask_b32_e32 v76, v77, v76, vcc_lo
	v_and_b32_e32 v78, 3, v78
	v_and_b32_e32 v74, 0x80000000, v74
	v_lshl_add_u32 v76, v76, 23, 0x37800000
	v_cndmask_b32_e32 v67, v67, v78, vcc_lo
	v_lshlrev_b32_e32 v67, 21, v67
	v_or3_b32 v67, v74, v76, v67
.LBB6_11791:                            ;   in Loop: Header=BB6_11223 Depth=3
	s_or_b32 exec_lo, exec_lo, s19
	v_add_f32_e32 v74, v75, v67
	v_and_b32_e32 v67, 0x7f800000, v74
	v_cmp_ne_u32_e32 vcc_lo, 0x7f800000, v67
	v_mov_b32_e32 v67, 0x80
	s_and_saveexec_b32 s19, vcc_lo
	s_cbranch_execz .LBB6_11799
; %bb.11792:                            ;   in Loop: Header=BB6_11223 Depth=3
	v_mov_b32_e32 v67, 0
	s_mov_b32 s23, exec_lo
	v_cmpx_ne_u32_e32 0, v74
	s_cbranch_execz .LBB6_11798
; %bb.11793:                            ;   in Loop: Header=BB6_11223 Depth=3
	v_bfe_u32 v75, v74, 23, 8
	v_and_b32_e32 v67, 0x7fffff, v74
	v_cmp_gt_u32_e64 s16, 0x71, v75
	v_sub_nc_u32_e32 v76, 0x70, v75
	v_cmp_eq_u32_e32 vcc_lo, 0, v75
	v_or_b32_e32 v77, 0x800000, v67
	v_cndmask_b32_e64 v76, 0, v76, s16
	v_cndmask_b32_e32 v67, v77, v67, vcc_lo
	v_cndmask_b32_e64 v76, v76, 0x6f, vcc_lo
	v_lshl_add_u32 v77, 0x200000, v76, -1
	v_lshlrev_b32_e64 v78, v76, 0x100000
	v_and_b32_e32 v77, v77, v67
	v_cmp_eq_u32_e64 s16, v77, v78
	v_lshrrev_b32_e32 v77, v76, v67
	v_add_nc_u32_e32 v67, 0xffffff91, v75
	v_lshrrev_b32_e32 v75, 23, v77
	v_cndmask_b32_e64 v67, v67, 0xffffff92, vcc_lo
	v_xor_b32_e32 v75, 1, v75
	v_add_nc_u32_e32 v67, v76, v67
	v_bfe_u32 v76, v77, 21, 1
	v_add_nc_u32_e32 v76, -1, v76
	v_cndmask_b32_e64 v76, 0, v76, s16
	s_mov_b32 s16, exec_lo
	v_add_nc_u32_e32 v76, v76, v77
	v_and_b32_e32 v76, 0x1fffff, v76
	v_add_nc_u32_e32 v76, v76, v77
                                        ; implicit-def: $vgpr77
	v_cmpx_ne_u32_e64 v67, v75
	s_xor_b32 s16, exec_lo, s16
; %bb.11794:                            ;   in Loop: Header=BB6_11223 Depth=3
	v_cmp_lt_u32_e32 vcc_lo, 0xffffff, v76
	v_sub_nc_u32_e32 v67, v67, v75
	v_cndmask_b32_e64 v75, 0, 1, vcc_lo
	v_add_co_ci_u32_e64 v77, null, 0, v67, vcc_lo
	v_lshrrev_b32_e32 v76, v75, v76
; %bb.11795:                            ;   in Loop: Header=BB6_11223 Depth=3
	s_andn2_saveexec_b32 s16, s16
; %bb.11796:                            ;   in Loop: Header=BB6_11223 Depth=3
	v_bfe_u32 v77, v76, 23, 1
; %bb.11797:                            ;   in Loop: Header=BB6_11223 Depth=3
	s_or_b32 exec_lo, exec_lo, s16
	v_and_b32_sdwa v67, v74, v117 dst_sel:DWORD dst_unused:UNUSED_PAD src0_sel:BYTE_3 src1_sel:DWORD
	v_lshrrev_b32_e32 v74, 21, v76
	v_cmp_gt_i32_e32 vcc_lo, 32, v77
	v_min_i32_e32 v75, 31, v77
	v_cndmask_b32_e32 v74, 3, v74, vcc_lo
	v_lshlrev_b32_e32 v75, 2, v75
	v_or_b32_e32 v76, v77, v74
	v_and_b32_e32 v74, 3, v74
	v_cmp_ne_u32_e32 vcc_lo, 0, v76
	v_or3_b32 v67, v75, v67, v74
	v_cndmask_b32_e32 v67, 0, v67, vcc_lo
.LBB6_11798:                            ;   in Loop: Header=BB6_11223 Depth=3
	s_or_b32 exec_lo, exec_lo, s23
.LBB6_11799:                            ;   in Loop: Header=BB6_11223 Depth=3
	s_or_b32 exec_lo, exec_lo, s19
	v_cmp_gt_i16_sdwa s16, v83, v116 src0_sel:BYTE_0 src1_sel:DWORD
	s_mov_b32 s19, 0
	s_and_saveexec_b32 s23, s16
	s_xor_b32 s16, exec_lo, s23
	s_cbranch_execz .LBB6_12405
; %bb.11800:                            ;   in Loop: Header=BB6_11223 Depth=3
	v_cmp_eq_u16_sdwa s72, v83, v117 src0_sel:BYTE_0 src1_sel:DWORD
	s_mov_b32 s19, -1
	s_and_saveexec_b32 s23, s72
; %bb.11801:                            ;   in Loop: Header=BB6_11223 Depth=3
	s_xor_b32 s19, exec_lo, -1
; %bb.11802:                            ;   in Loop: Header=BB6_11223 Depth=3
	s_or_b32 exec_lo, exec_lo, s23
	s_and_b32 s19, s19, exec_lo
	s_or_saveexec_b32 s16, s16
	v_mov_b32_e32 v74, 0x7f800001
	s_xor_b32 exec_lo, exec_lo, s16
	s_cbranch_execnz .LBB6_12406
.LBB6_11803:                            ;   in Loop: Header=BB6_11223 Depth=3
	s_or_b32 exec_lo, exec_lo, s16
	s_and_saveexec_b32 s16, s19
	s_cbranch_execz .LBB6_11805
.LBB6_11804:                            ;   in Loop: Header=BB6_11223 Depth=3
	v_and_b32_e32 v74, 3, v83
	v_lshrrev_b16 v76, 2, v83
	v_ffbh_u32_e32 v75, v74
	v_and_b32_e32 v76, 31, v76
	v_min_u32_e32 v75, 32, v75
	v_cmp_eq_u32_e32 vcc_lo, 0, v76
	v_subrev_nc_u32_e32 v77, 29, v75
	v_sub_nc_u32_e32 v75, 30, v75
	v_lshlrev_b32_e32 v77, v77, v83
	v_lshlrev_b32_e32 v83, 24, v83
	v_cndmask_b32_e32 v75, v76, v75, vcc_lo
	v_and_b32_e32 v77, 3, v77
	v_and_b32_e32 v83, 0x80000000, v83
	v_lshl_add_u32 v75, v75, 23, 0x37800000
	v_cndmask_b32_e32 v74, v74, v77, vcc_lo
	v_lshlrev_b32_e32 v74, 21, v74
	v_or3_b32 v74, v83, v75, v74
.LBB6_11805:                            ;   in Loop: Header=BB6_11223 Depth=3
	s_or_b32 exec_lo, exec_lo, s16
	s_waitcnt vmcnt(25) lgkmcnt(25)
	v_cmp_gt_i16_sdwa s19, v73, v116 src0_sel:BYTE_0 src1_sel:DWORD
	s_mov_b32 s16, 0
	s_and_saveexec_b32 s23, s19
	s_xor_b32 s19, exec_lo, s23
	s_cbranch_execz .LBB6_12407
; %bb.11806:                            ;   in Loop: Header=BB6_11223 Depth=3
	v_cmp_eq_u16_sdwa s72, v73, v117 src0_sel:BYTE_0 src1_sel:DWORD
	s_mov_b32 s16, -1
	s_and_saveexec_b32 s23, s72
; %bb.11807:                            ;   in Loop: Header=BB6_11223 Depth=3
	s_xor_b32 s16, exec_lo, -1
; %bb.11808:                            ;   in Loop: Header=BB6_11223 Depth=3
	s_or_b32 exec_lo, exec_lo, s23
	s_and_b32 s16, s16, exec_lo
	s_or_saveexec_b32 s19, s19
	v_mov_b32_e32 v83, 0x7f800001
	s_xor_b32 exec_lo, exec_lo, s19
	s_cbranch_execnz .LBB6_12408
.LBB6_11809:                            ;   in Loop: Header=BB6_11223 Depth=3
	s_or_b32 exec_lo, exec_lo, s19
	s_and_saveexec_b32 s19, s16
	s_cbranch_execz .LBB6_11811
.LBB6_11810:                            ;   in Loop: Header=BB6_11223 Depth=3
	v_and_b32_e32 v83, 3, v73
	v_lshrrev_b16 v76, 2, v73
	v_ffbh_u32_e32 v75, v83
	v_and_b32_e32 v76, 31, v76
	v_min_u32_e32 v75, 32, v75
	v_cmp_eq_u32_e32 vcc_lo, 0, v76
	v_subrev_nc_u32_e32 v77, 29, v75
	v_sub_nc_u32_e32 v75, 30, v75
	v_lshlrev_b32_e32 v77, v77, v73
	v_lshlrev_b32_e32 v73, 24, v73
	v_cndmask_b32_e32 v75, v76, v75, vcc_lo
	v_and_b32_e32 v77, 3, v77
	v_and_b32_e32 v73, 0x80000000, v73
	v_lshl_add_u32 v75, v75, 23, 0x37800000
	v_cndmask_b32_e32 v83, v83, v77, vcc_lo
	v_lshlrev_b32_e32 v83, 21, v83
	v_or3_b32 v83, v73, v75, v83
.LBB6_11811:                            ;   in Loop: Header=BB6_11223 Depth=3
	s_or_b32 exec_lo, exec_lo, s19
	v_add_f32_e32 v73, v74, v83
	v_and_b32_e32 v83, 0x7f800000, v73
	v_cmp_ne_u32_e32 vcc_lo, 0x7f800000, v83
	v_mov_b32_e32 v83, 0x80
	s_and_saveexec_b32 s19, vcc_lo
	s_cbranch_execz .LBB6_11819
; %bb.11812:                            ;   in Loop: Header=BB6_11223 Depth=3
	v_mov_b32_e32 v83, 0
	s_mov_b32 s23, exec_lo
	v_cmpx_ne_u32_e32 0, v73
	s_cbranch_execz .LBB6_11818
; %bb.11813:                            ;   in Loop: Header=BB6_11223 Depth=3
	v_bfe_u32 v74, v73, 23, 8
	v_and_b32_e32 v83, 0x7fffff, v73
	v_cmp_gt_u32_e64 s16, 0x71, v74
	v_sub_nc_u32_e32 v75, 0x70, v74
	v_cmp_eq_u32_e32 vcc_lo, 0, v74
	v_or_b32_e32 v76, 0x800000, v83
	v_cndmask_b32_e64 v75, 0, v75, s16
	v_cndmask_b32_e32 v83, v76, v83, vcc_lo
	v_cndmask_b32_e64 v75, v75, 0x6f, vcc_lo
	v_lshl_add_u32 v76, 0x200000, v75, -1
	v_lshlrev_b32_e64 v77, v75, 0x100000
	v_and_b32_e32 v76, v76, v83
	v_cmp_eq_u32_e64 s16, v76, v77
	v_lshrrev_b32_e32 v76, v75, v83
	v_add_nc_u32_e32 v83, 0xffffff91, v74
	v_lshrrev_b32_e32 v74, 23, v76
	v_cndmask_b32_e64 v83, v83, 0xffffff92, vcc_lo
	v_xor_b32_e32 v74, 1, v74
	v_add_nc_u32_e32 v83, v75, v83
	v_bfe_u32 v75, v76, 21, 1
	v_add_nc_u32_e32 v75, -1, v75
	v_cndmask_b32_e64 v75, 0, v75, s16
	s_mov_b32 s16, exec_lo
	v_add_nc_u32_e32 v75, v75, v76
	v_and_b32_e32 v75, 0x1fffff, v75
	v_add_nc_u32_e32 v75, v75, v76
                                        ; implicit-def: $vgpr76
	v_cmpx_ne_u32_e64 v83, v74
	s_xor_b32 s16, exec_lo, s16
; %bb.11814:                            ;   in Loop: Header=BB6_11223 Depth=3
	v_cmp_lt_u32_e32 vcc_lo, 0xffffff, v75
	v_sub_nc_u32_e32 v83, v83, v74
	v_cndmask_b32_e64 v74, 0, 1, vcc_lo
	v_add_co_ci_u32_e64 v76, null, 0, v83, vcc_lo
	v_lshrrev_b32_e32 v75, v74, v75
; %bb.11815:                            ;   in Loop: Header=BB6_11223 Depth=3
	s_andn2_saveexec_b32 s16, s16
; %bb.11816:                            ;   in Loop: Header=BB6_11223 Depth=3
	v_bfe_u32 v76, v75, 23, 1
; %bb.11817:                            ;   in Loop: Header=BB6_11223 Depth=3
	s_or_b32 exec_lo, exec_lo, s16
	v_and_b32_sdwa v83, v73, v117 dst_sel:DWORD dst_unused:UNUSED_PAD src0_sel:BYTE_3 src1_sel:DWORD
	v_lshrrev_b32_e32 v73, 21, v75
	v_cmp_gt_i32_e32 vcc_lo, 32, v76
	v_min_i32_e32 v74, 31, v76
	v_cndmask_b32_e32 v73, 3, v73, vcc_lo
	v_lshlrev_b32_e32 v74, 2, v74
	v_or_b32_e32 v75, v76, v73
	v_and_b32_e32 v73, 3, v73
	v_cmp_ne_u32_e32 vcc_lo, 0, v75
	v_or3_b32 v83, v74, v83, v73
	v_cndmask_b32_e32 v83, 0, v83, vcc_lo
.LBB6_11818:                            ;   in Loop: Header=BB6_11223 Depth=3
	s_or_b32 exec_lo, exec_lo, s23
.LBB6_11819:                            ;   in Loop: Header=BB6_11223 Depth=3
	s_or_b32 exec_lo, exec_lo, s19
	v_cmp_gt_i16_sdwa s16, v87, v116 src0_sel:BYTE_0 src1_sel:DWORD
	s_mov_b32 s19, 0
	s_and_saveexec_b32 s23, s16
	s_xor_b32 s16, exec_lo, s23
	s_cbranch_execz .LBB6_12409
; %bb.11820:                            ;   in Loop: Header=BB6_11223 Depth=3
	v_cmp_eq_u16_sdwa s72, v87, v117 src0_sel:BYTE_0 src1_sel:DWORD
	s_mov_b32 s19, -1
	s_and_saveexec_b32 s23, s72
; %bb.11821:                            ;   in Loop: Header=BB6_11223 Depth=3
	s_xor_b32 s19, exec_lo, -1
; %bb.11822:                            ;   in Loop: Header=BB6_11223 Depth=3
	s_or_b32 exec_lo, exec_lo, s23
	s_and_b32 s19, s19, exec_lo
	s_or_saveexec_b32 s16, s16
	v_mov_b32_e32 v73, 0x7f800001
	s_xor_b32 exec_lo, exec_lo, s16
	s_cbranch_execnz .LBB6_12410
.LBB6_11823:                            ;   in Loop: Header=BB6_11223 Depth=3
	s_or_b32 exec_lo, exec_lo, s16
	s_and_saveexec_b32 s16, s19
	s_cbranch_execz .LBB6_11825
.LBB6_11824:                            ;   in Loop: Header=BB6_11223 Depth=3
	v_and_b32_e32 v73, 3, v87
	v_lshrrev_b16 v75, 2, v87
	v_ffbh_u32_e32 v74, v73
	v_and_b32_e32 v75, 31, v75
	v_min_u32_e32 v74, 32, v74
	v_cmp_eq_u32_e32 vcc_lo, 0, v75
	v_subrev_nc_u32_e32 v76, 29, v74
	v_sub_nc_u32_e32 v74, 30, v74
	v_lshlrev_b32_e32 v76, v76, v87
	v_lshlrev_b32_e32 v87, 24, v87
	v_cndmask_b32_e32 v74, v75, v74, vcc_lo
	v_and_b32_e32 v76, 3, v76
	v_and_b32_e32 v87, 0x80000000, v87
	v_lshl_add_u32 v74, v74, 23, 0x37800000
	v_cndmask_b32_e32 v73, v73, v76, vcc_lo
	v_lshlrev_b32_e32 v73, 21, v73
	v_or3_b32 v73, v87, v74, v73
.LBB6_11825:                            ;   in Loop: Header=BB6_11223 Depth=3
	s_or_b32 exec_lo, exec_lo, s16
	s_waitcnt vmcnt(24) lgkmcnt(24)
	v_cmp_gt_i16_sdwa s19, v72, v116 src0_sel:BYTE_0 src1_sel:DWORD
	s_mov_b32 s16, 0
	s_and_saveexec_b32 s23, s19
	s_xor_b32 s19, exec_lo, s23
	s_cbranch_execz .LBB6_12411
; %bb.11826:                            ;   in Loop: Header=BB6_11223 Depth=3
	v_cmp_eq_u16_sdwa s72, v72, v117 src0_sel:BYTE_0 src1_sel:DWORD
	s_mov_b32 s16, -1
	s_and_saveexec_b32 s23, s72
; %bb.11827:                            ;   in Loop: Header=BB6_11223 Depth=3
	s_xor_b32 s16, exec_lo, -1
; %bb.11828:                            ;   in Loop: Header=BB6_11223 Depth=3
	s_or_b32 exec_lo, exec_lo, s23
	s_and_b32 s16, s16, exec_lo
	s_or_saveexec_b32 s19, s19
	v_mov_b32_e32 v87, 0x7f800001
	s_xor_b32 exec_lo, exec_lo, s19
	s_cbranch_execnz .LBB6_12412
.LBB6_11829:                            ;   in Loop: Header=BB6_11223 Depth=3
	s_or_b32 exec_lo, exec_lo, s19
	s_and_saveexec_b32 s19, s16
	s_cbranch_execz .LBB6_11831
.LBB6_11830:                            ;   in Loop: Header=BB6_11223 Depth=3
	v_and_b32_e32 v87, 3, v72
	v_lshrrev_b16 v75, 2, v72
	v_ffbh_u32_e32 v74, v87
	v_and_b32_e32 v75, 31, v75
	v_min_u32_e32 v74, 32, v74
	v_cmp_eq_u32_e32 vcc_lo, 0, v75
	v_subrev_nc_u32_e32 v76, 29, v74
	v_sub_nc_u32_e32 v74, 30, v74
	v_lshlrev_b32_e32 v76, v76, v72
	v_lshlrev_b32_e32 v72, 24, v72
	v_cndmask_b32_e32 v74, v75, v74, vcc_lo
	v_and_b32_e32 v76, 3, v76
	v_and_b32_e32 v72, 0x80000000, v72
	v_lshl_add_u32 v74, v74, 23, 0x37800000
	v_cndmask_b32_e32 v87, v87, v76, vcc_lo
	v_lshlrev_b32_e32 v87, 21, v87
	v_or3_b32 v87, v72, v74, v87
.LBB6_11831:                            ;   in Loop: Header=BB6_11223 Depth=3
	s_or_b32 exec_lo, exec_lo, s19
	v_add_f32_e32 v72, v73, v87
	v_and_b32_e32 v87, 0x7f800000, v72
	v_cmp_ne_u32_e32 vcc_lo, 0x7f800000, v87
	v_mov_b32_e32 v87, 0x80
	s_and_saveexec_b32 s19, vcc_lo
	s_cbranch_execz .LBB6_11839
; %bb.11832:                            ;   in Loop: Header=BB6_11223 Depth=3
	v_mov_b32_e32 v87, 0
	s_mov_b32 s23, exec_lo
	v_cmpx_ne_u32_e32 0, v72
	s_cbranch_execz .LBB6_11838
; %bb.11833:                            ;   in Loop: Header=BB6_11223 Depth=3
	v_bfe_u32 v73, v72, 23, 8
	v_and_b32_e32 v87, 0x7fffff, v72
	v_cmp_gt_u32_e64 s16, 0x71, v73
	v_sub_nc_u32_e32 v74, 0x70, v73
	v_cmp_eq_u32_e32 vcc_lo, 0, v73
	v_or_b32_e32 v75, 0x800000, v87
	v_cndmask_b32_e64 v74, 0, v74, s16
	v_cndmask_b32_e32 v87, v75, v87, vcc_lo
	v_cndmask_b32_e64 v74, v74, 0x6f, vcc_lo
	v_lshl_add_u32 v75, 0x200000, v74, -1
	v_lshlrev_b32_e64 v76, v74, 0x100000
	v_and_b32_e32 v75, v75, v87
	v_cmp_eq_u32_e64 s16, v75, v76
	v_lshrrev_b32_e32 v75, v74, v87
	v_add_nc_u32_e32 v87, 0xffffff91, v73
	v_lshrrev_b32_e32 v73, 23, v75
	v_cndmask_b32_e64 v87, v87, 0xffffff92, vcc_lo
	v_xor_b32_e32 v73, 1, v73
	v_add_nc_u32_e32 v87, v74, v87
	v_bfe_u32 v74, v75, 21, 1
	v_add_nc_u32_e32 v74, -1, v74
	v_cndmask_b32_e64 v74, 0, v74, s16
	s_mov_b32 s16, exec_lo
	v_add_nc_u32_e32 v74, v74, v75
	v_and_b32_e32 v74, 0x1fffff, v74
	v_add_nc_u32_e32 v74, v74, v75
                                        ; implicit-def: $vgpr75
	v_cmpx_ne_u32_e64 v87, v73
	s_xor_b32 s16, exec_lo, s16
; %bb.11834:                            ;   in Loop: Header=BB6_11223 Depth=3
	v_cmp_lt_u32_e32 vcc_lo, 0xffffff, v74
	v_sub_nc_u32_e32 v87, v87, v73
	v_cndmask_b32_e64 v73, 0, 1, vcc_lo
	v_add_co_ci_u32_e64 v75, null, 0, v87, vcc_lo
	v_lshrrev_b32_e32 v74, v73, v74
; %bb.11835:                            ;   in Loop: Header=BB6_11223 Depth=3
	s_andn2_saveexec_b32 s16, s16
; %bb.11836:                            ;   in Loop: Header=BB6_11223 Depth=3
	v_bfe_u32 v75, v74, 23, 1
; %bb.11837:                            ;   in Loop: Header=BB6_11223 Depth=3
	s_or_b32 exec_lo, exec_lo, s16
	v_and_b32_sdwa v87, v72, v117 dst_sel:DWORD dst_unused:UNUSED_PAD src0_sel:BYTE_3 src1_sel:DWORD
	v_lshrrev_b32_e32 v72, 21, v74
	v_cmp_gt_i32_e32 vcc_lo, 32, v75
	v_min_i32_e32 v73, 31, v75
	v_cndmask_b32_e32 v72, 3, v72, vcc_lo
	v_lshlrev_b32_e32 v73, 2, v73
	v_or_b32_e32 v74, v75, v72
	v_and_b32_e32 v72, 3, v72
	v_cmp_ne_u32_e32 vcc_lo, 0, v74
	v_or3_b32 v87, v73, v87, v72
	v_cndmask_b32_e32 v87, 0, v87, vcc_lo
.LBB6_11838:                            ;   in Loop: Header=BB6_11223 Depth=3
	s_or_b32 exec_lo, exec_lo, s23
.LBB6_11839:                            ;   in Loop: Header=BB6_11223 Depth=3
	s_or_b32 exec_lo, exec_lo, s19
	v_cmp_gt_i16_sdwa s16, v99, v116 src0_sel:BYTE_0 src1_sel:DWORD
	s_mov_b32 s19, 0
	s_and_saveexec_b32 s23, s16
	s_xor_b32 s16, exec_lo, s23
	s_cbranch_execz .LBB6_12413
; %bb.11840:                            ;   in Loop: Header=BB6_11223 Depth=3
	v_cmp_eq_u16_sdwa s72, v99, v117 src0_sel:BYTE_0 src1_sel:DWORD
	s_mov_b32 s19, -1
	s_and_saveexec_b32 s23, s72
; %bb.11841:                            ;   in Loop: Header=BB6_11223 Depth=3
	s_xor_b32 s19, exec_lo, -1
; %bb.11842:                            ;   in Loop: Header=BB6_11223 Depth=3
	s_or_b32 exec_lo, exec_lo, s23
	s_and_b32 s19, s19, exec_lo
	s_or_saveexec_b32 s16, s16
	v_mov_b32_e32 v72, 0x7f800001
	s_xor_b32 exec_lo, exec_lo, s16
	s_cbranch_execnz .LBB6_12414
.LBB6_11843:                            ;   in Loop: Header=BB6_11223 Depth=3
	s_or_b32 exec_lo, exec_lo, s16
	s_and_saveexec_b32 s16, s19
	s_cbranch_execz .LBB6_11845
.LBB6_11844:                            ;   in Loop: Header=BB6_11223 Depth=3
	v_and_b32_e32 v72, 3, v99
	v_lshrrev_b16 v74, 2, v99
	v_ffbh_u32_e32 v73, v72
	v_and_b32_e32 v74, 31, v74
	v_min_u32_e32 v73, 32, v73
	v_cmp_eq_u32_e32 vcc_lo, 0, v74
	v_subrev_nc_u32_e32 v75, 29, v73
	v_sub_nc_u32_e32 v73, 30, v73
	v_lshlrev_b32_e32 v75, v75, v99
	v_lshlrev_b32_e32 v99, 24, v99
	v_cndmask_b32_e32 v73, v74, v73, vcc_lo
	v_and_b32_e32 v75, 3, v75
	v_and_b32_e32 v99, 0x80000000, v99
	v_lshl_add_u32 v73, v73, 23, 0x37800000
	v_cndmask_b32_e32 v72, v72, v75, vcc_lo
	v_lshlrev_b32_e32 v72, 21, v72
	v_or3_b32 v72, v99, v73, v72
.LBB6_11845:                            ;   in Loop: Header=BB6_11223 Depth=3
	s_or_b32 exec_lo, exec_lo, s16
	s_waitcnt vmcnt(23) lgkmcnt(23)
	v_cmp_gt_i16_sdwa s19, v63, v116 src0_sel:BYTE_0 src1_sel:DWORD
	s_mov_b32 s16, 0
	s_and_saveexec_b32 s23, s19
	s_xor_b32 s19, exec_lo, s23
	s_cbranch_execz .LBB6_12415
; %bb.11846:                            ;   in Loop: Header=BB6_11223 Depth=3
	v_cmp_eq_u16_sdwa s72, v63, v117 src0_sel:BYTE_0 src1_sel:DWORD
	s_mov_b32 s16, -1
	s_and_saveexec_b32 s23, s72
; %bb.11847:                            ;   in Loop: Header=BB6_11223 Depth=3
	s_xor_b32 s16, exec_lo, -1
; %bb.11848:                            ;   in Loop: Header=BB6_11223 Depth=3
	s_or_b32 exec_lo, exec_lo, s23
	s_and_b32 s16, s16, exec_lo
	s_or_saveexec_b32 s19, s19
	v_mov_b32_e32 v99, 0x7f800001
	s_xor_b32 exec_lo, exec_lo, s19
	s_cbranch_execnz .LBB6_12416
.LBB6_11849:                            ;   in Loop: Header=BB6_11223 Depth=3
	s_or_b32 exec_lo, exec_lo, s19
	s_and_saveexec_b32 s19, s16
	s_cbranch_execz .LBB6_11851
.LBB6_11850:                            ;   in Loop: Header=BB6_11223 Depth=3
	v_and_b32_e32 v99, 3, v63
	v_lshrrev_b16 v74, 2, v63
	v_ffbh_u32_e32 v73, v99
	v_and_b32_e32 v74, 31, v74
	v_min_u32_e32 v73, 32, v73
	v_cmp_eq_u32_e32 vcc_lo, 0, v74
	v_subrev_nc_u32_e32 v75, 29, v73
	v_sub_nc_u32_e32 v73, 30, v73
	v_lshlrev_b32_e32 v75, v75, v63
	v_lshlrev_b32_e32 v63, 24, v63
	v_cndmask_b32_e32 v73, v74, v73, vcc_lo
	v_and_b32_e32 v75, 3, v75
	v_and_b32_e32 v63, 0x80000000, v63
	v_lshl_add_u32 v73, v73, 23, 0x37800000
	v_cndmask_b32_e32 v99, v99, v75, vcc_lo
	v_lshlrev_b32_e32 v99, 21, v99
	v_or3_b32 v99, v63, v73, v99
.LBB6_11851:                            ;   in Loop: Header=BB6_11223 Depth=3
	s_or_b32 exec_lo, exec_lo, s19
	v_add_f32_e32 v63, v72, v99
	v_and_b32_e32 v99, 0x7f800000, v63
	v_cmp_ne_u32_e32 vcc_lo, 0x7f800000, v99
	v_mov_b32_e32 v99, 0x80
	s_and_saveexec_b32 s19, vcc_lo
	s_cbranch_execz .LBB6_11859
; %bb.11852:                            ;   in Loop: Header=BB6_11223 Depth=3
	v_mov_b32_e32 v99, 0
	s_mov_b32 s23, exec_lo
	v_cmpx_ne_u32_e32 0, v63
	s_cbranch_execz .LBB6_11858
; %bb.11853:                            ;   in Loop: Header=BB6_11223 Depth=3
	v_bfe_u32 v72, v63, 23, 8
	v_and_b32_e32 v99, 0x7fffff, v63
	v_cmp_gt_u32_e64 s16, 0x71, v72
	v_sub_nc_u32_e32 v73, 0x70, v72
	v_cmp_eq_u32_e32 vcc_lo, 0, v72
	v_or_b32_e32 v74, 0x800000, v99
	v_cndmask_b32_e64 v73, 0, v73, s16
	v_cndmask_b32_e32 v99, v74, v99, vcc_lo
	v_cndmask_b32_e64 v73, v73, 0x6f, vcc_lo
	v_lshl_add_u32 v74, 0x200000, v73, -1
	v_lshlrev_b32_e64 v75, v73, 0x100000
	v_and_b32_e32 v74, v74, v99
	v_cmp_eq_u32_e64 s16, v74, v75
	v_lshrrev_b32_e32 v74, v73, v99
	v_add_nc_u32_e32 v99, 0xffffff91, v72
	v_lshrrev_b32_e32 v72, 23, v74
	v_cndmask_b32_e64 v99, v99, 0xffffff92, vcc_lo
	v_xor_b32_e32 v72, 1, v72
	v_add_nc_u32_e32 v99, v73, v99
	v_bfe_u32 v73, v74, 21, 1
	v_add_nc_u32_e32 v73, -1, v73
	v_cndmask_b32_e64 v73, 0, v73, s16
	s_mov_b32 s16, exec_lo
	v_add_nc_u32_e32 v73, v73, v74
	v_and_b32_e32 v73, 0x1fffff, v73
	v_add_nc_u32_e32 v73, v73, v74
                                        ; implicit-def: $vgpr74
	v_cmpx_ne_u32_e64 v99, v72
	s_xor_b32 s16, exec_lo, s16
; %bb.11854:                            ;   in Loop: Header=BB6_11223 Depth=3
	v_cmp_lt_u32_e32 vcc_lo, 0xffffff, v73
	v_sub_nc_u32_e32 v99, v99, v72
	v_cndmask_b32_e64 v72, 0, 1, vcc_lo
	v_add_co_ci_u32_e64 v74, null, 0, v99, vcc_lo
	v_lshrrev_b32_e32 v73, v72, v73
; %bb.11855:                            ;   in Loop: Header=BB6_11223 Depth=3
	s_andn2_saveexec_b32 s16, s16
; %bb.11856:                            ;   in Loop: Header=BB6_11223 Depth=3
	v_bfe_u32 v74, v73, 23, 1
; %bb.11857:                            ;   in Loop: Header=BB6_11223 Depth=3
	s_or_b32 exec_lo, exec_lo, s16
	v_and_b32_sdwa v99, v63, v117 dst_sel:DWORD dst_unused:UNUSED_PAD src0_sel:BYTE_3 src1_sel:DWORD
	v_lshrrev_b32_e32 v63, 21, v73
	v_cmp_gt_i32_e32 vcc_lo, 32, v74
	v_min_i32_e32 v72, 31, v74
	v_cndmask_b32_e32 v63, 3, v63, vcc_lo
	v_lshlrev_b32_e32 v72, 2, v72
	v_or_b32_e32 v73, v74, v63
	v_and_b32_e32 v63, 3, v63
	v_cmp_ne_u32_e32 vcc_lo, 0, v73
	v_or3_b32 v99, v72, v99, v63
	v_cndmask_b32_e32 v99, 0, v99, vcc_lo
.LBB6_11858:                            ;   in Loop: Header=BB6_11223 Depth=3
	s_or_b32 exec_lo, exec_lo, s23
.LBB6_11859:                            ;   in Loop: Header=BB6_11223 Depth=3
	s_or_b32 exec_lo, exec_lo, s19
	v_cmp_gt_i16_sdwa s16, v113, v116 src0_sel:BYTE_0 src1_sel:DWORD
	s_mov_b32 s19, 0
	s_and_saveexec_b32 s23, s16
	s_xor_b32 s16, exec_lo, s23
	s_cbranch_execz .LBB6_12417
; %bb.11860:                            ;   in Loop: Header=BB6_11223 Depth=3
	v_cmp_eq_u16_sdwa s72, v113, v117 src0_sel:BYTE_0 src1_sel:DWORD
	s_mov_b32 s19, -1
	s_and_saveexec_b32 s23, s72
; %bb.11861:                            ;   in Loop: Header=BB6_11223 Depth=3
	s_xor_b32 s19, exec_lo, -1
; %bb.11862:                            ;   in Loop: Header=BB6_11223 Depth=3
	s_or_b32 exec_lo, exec_lo, s23
	s_and_b32 s19, s19, exec_lo
	s_or_saveexec_b32 s16, s16
	v_mov_b32_e32 v63, 0x7f800001
	s_xor_b32 exec_lo, exec_lo, s16
	s_cbranch_execnz .LBB6_12418
.LBB6_11863:                            ;   in Loop: Header=BB6_11223 Depth=3
	s_or_b32 exec_lo, exec_lo, s16
	s_and_saveexec_b32 s16, s19
	s_cbranch_execz .LBB6_11865
.LBB6_11864:                            ;   in Loop: Header=BB6_11223 Depth=3
	v_and_b32_e32 v63, 3, v113
	v_lshrrev_b16 v73, 2, v113
	v_ffbh_u32_e32 v72, v63
	v_and_b32_e32 v73, 31, v73
	v_min_u32_e32 v72, 32, v72
	v_cmp_eq_u32_e32 vcc_lo, 0, v73
	v_subrev_nc_u32_e32 v74, 29, v72
	v_sub_nc_u32_e32 v72, 30, v72
	v_lshlrev_b32_e32 v74, v74, v113
	v_lshlrev_b32_e32 v113, 24, v113
	v_cndmask_b32_e32 v72, v73, v72, vcc_lo
	v_and_b32_e32 v74, 3, v74
	v_and_b32_e32 v113, 0x80000000, v113
	v_lshl_add_u32 v72, v72, 23, 0x37800000
	v_cndmask_b32_e32 v63, v63, v74, vcc_lo
	v_lshlrev_b32_e32 v63, 21, v63
	v_or3_b32 v63, v113, v72, v63
.LBB6_11865:                            ;   in Loop: Header=BB6_11223 Depth=3
	s_or_b32 exec_lo, exec_lo, s16
	s_waitcnt vmcnt(22) lgkmcnt(22)
	v_cmp_gt_i16_sdwa s19, v62, v116 src0_sel:BYTE_0 src1_sel:DWORD
	s_mov_b32 s16, 0
	s_and_saveexec_b32 s23, s19
	s_xor_b32 s19, exec_lo, s23
	s_cbranch_execz .LBB6_12419
; %bb.11866:                            ;   in Loop: Header=BB6_11223 Depth=3
	v_cmp_eq_u16_sdwa s72, v62, v117 src0_sel:BYTE_0 src1_sel:DWORD
	s_mov_b32 s16, -1
	s_and_saveexec_b32 s23, s72
; %bb.11867:                            ;   in Loop: Header=BB6_11223 Depth=3
	s_xor_b32 s16, exec_lo, -1
; %bb.11868:                            ;   in Loop: Header=BB6_11223 Depth=3
	s_or_b32 exec_lo, exec_lo, s23
	s_and_b32 s16, s16, exec_lo
	s_or_saveexec_b32 s19, s19
	v_mov_b32_e32 v113, 0x7f800001
	s_xor_b32 exec_lo, exec_lo, s19
	s_cbranch_execnz .LBB6_12420
.LBB6_11869:                            ;   in Loop: Header=BB6_11223 Depth=3
	s_or_b32 exec_lo, exec_lo, s19
	s_and_saveexec_b32 s19, s16
	s_cbranch_execz .LBB6_11871
.LBB6_11870:                            ;   in Loop: Header=BB6_11223 Depth=3
	v_and_b32_e32 v113, 3, v62
	v_lshrrev_b16 v73, 2, v62
	v_ffbh_u32_e32 v72, v113
	v_and_b32_e32 v73, 31, v73
	v_min_u32_e32 v72, 32, v72
	v_cmp_eq_u32_e32 vcc_lo, 0, v73
	v_subrev_nc_u32_e32 v74, 29, v72
	v_sub_nc_u32_e32 v72, 30, v72
	v_lshlrev_b32_e32 v74, v74, v62
	v_lshlrev_b32_e32 v62, 24, v62
	v_cndmask_b32_e32 v72, v73, v72, vcc_lo
	v_and_b32_e32 v74, 3, v74
	v_and_b32_e32 v62, 0x80000000, v62
	v_lshl_add_u32 v72, v72, 23, 0x37800000
	v_cndmask_b32_e32 v113, v113, v74, vcc_lo
	v_lshlrev_b32_e32 v113, 21, v113
	v_or3_b32 v113, v62, v72, v113
.LBB6_11871:                            ;   in Loop: Header=BB6_11223 Depth=3
	s_or_b32 exec_lo, exec_lo, s19
	v_add_f32_e32 v62, v63, v113
	v_and_b32_e32 v113, 0x7f800000, v62
	v_cmp_ne_u32_e32 vcc_lo, 0x7f800000, v113
	v_mov_b32_e32 v113, 0x80
	s_and_saveexec_b32 s19, vcc_lo
	s_cbranch_execz .LBB6_11879
; %bb.11872:                            ;   in Loop: Header=BB6_11223 Depth=3
	v_mov_b32_e32 v113, 0
	s_mov_b32 s23, exec_lo
	v_cmpx_ne_u32_e32 0, v62
	s_cbranch_execz .LBB6_11878
; %bb.11873:                            ;   in Loop: Header=BB6_11223 Depth=3
	v_bfe_u32 v63, v62, 23, 8
	v_and_b32_e32 v113, 0x7fffff, v62
	v_cmp_gt_u32_e64 s16, 0x71, v63
	v_sub_nc_u32_e32 v72, 0x70, v63
	v_cmp_eq_u32_e32 vcc_lo, 0, v63
	v_or_b32_e32 v73, 0x800000, v113
	v_cndmask_b32_e64 v72, 0, v72, s16
	v_cndmask_b32_e32 v113, v73, v113, vcc_lo
	v_cndmask_b32_e64 v72, v72, 0x6f, vcc_lo
	v_lshl_add_u32 v73, 0x200000, v72, -1
	v_lshlrev_b32_e64 v74, v72, 0x100000
	v_and_b32_e32 v73, v73, v113
	v_cmp_eq_u32_e64 s16, v73, v74
	v_lshrrev_b32_e32 v73, v72, v113
	v_add_nc_u32_e32 v113, 0xffffff91, v63
	v_lshrrev_b32_e32 v63, 23, v73
	v_cndmask_b32_e64 v113, v113, 0xffffff92, vcc_lo
	v_xor_b32_e32 v63, 1, v63
	v_add_nc_u32_e32 v113, v72, v113
	v_bfe_u32 v72, v73, 21, 1
	v_add_nc_u32_e32 v72, -1, v72
	v_cndmask_b32_e64 v72, 0, v72, s16
	s_mov_b32 s16, exec_lo
	v_add_nc_u32_e32 v72, v72, v73
	v_and_b32_e32 v72, 0x1fffff, v72
	v_add_nc_u32_e32 v72, v72, v73
                                        ; implicit-def: $vgpr73
	v_cmpx_ne_u32_e64 v113, v63
	s_xor_b32 s16, exec_lo, s16
; %bb.11874:                            ;   in Loop: Header=BB6_11223 Depth=3
	v_cmp_lt_u32_e32 vcc_lo, 0xffffff, v72
	v_sub_nc_u32_e32 v113, v113, v63
	v_cndmask_b32_e64 v63, 0, 1, vcc_lo
	v_add_co_ci_u32_e64 v73, null, 0, v113, vcc_lo
	v_lshrrev_b32_e32 v72, v63, v72
; %bb.11875:                            ;   in Loop: Header=BB6_11223 Depth=3
	s_andn2_saveexec_b32 s16, s16
; %bb.11876:                            ;   in Loop: Header=BB6_11223 Depth=3
	v_bfe_u32 v73, v72, 23, 1
; %bb.11877:                            ;   in Loop: Header=BB6_11223 Depth=3
	s_or_b32 exec_lo, exec_lo, s16
	v_and_b32_sdwa v113, v62, v117 dst_sel:DWORD dst_unused:UNUSED_PAD src0_sel:BYTE_3 src1_sel:DWORD
	v_lshrrev_b32_e32 v62, 21, v72
	v_cmp_gt_i32_e32 vcc_lo, 32, v73
	v_min_i32_e32 v63, 31, v73
	v_cndmask_b32_e32 v62, 3, v62, vcc_lo
	v_lshlrev_b32_e32 v63, 2, v63
	v_or_b32_e32 v72, v73, v62
	v_and_b32_e32 v62, 3, v62
	v_cmp_ne_u32_e32 vcc_lo, 0, v72
	v_or3_b32 v113, v63, v113, v62
	v_cndmask_b32_e32 v113, 0, v113, vcc_lo
.LBB6_11878:                            ;   in Loop: Header=BB6_11223 Depth=3
	s_or_b32 exec_lo, exec_lo, s23
.LBB6_11879:                            ;   in Loop: Header=BB6_11223 Depth=3
	s_or_b32 exec_lo, exec_lo, s19
	v_cmp_gt_i16_sdwa s16, v102, v116 src0_sel:BYTE_0 src1_sel:DWORD
	s_mov_b32 s19, 0
	s_and_saveexec_b32 s23, s16
	s_xor_b32 s16, exec_lo, s23
	s_cbranch_execz .LBB6_12421
; %bb.11880:                            ;   in Loop: Header=BB6_11223 Depth=3
	v_cmp_eq_u16_sdwa s72, v102, v117 src0_sel:BYTE_0 src1_sel:DWORD
	s_mov_b32 s19, -1
	s_and_saveexec_b32 s23, s72
; %bb.11881:                            ;   in Loop: Header=BB6_11223 Depth=3
	s_xor_b32 s19, exec_lo, -1
; %bb.11882:                            ;   in Loop: Header=BB6_11223 Depth=3
	s_or_b32 exec_lo, exec_lo, s23
	s_and_b32 s19, s19, exec_lo
	s_or_saveexec_b32 s16, s16
	v_mov_b32_e32 v62, 0x7f800001
	s_xor_b32 exec_lo, exec_lo, s16
	s_cbranch_execnz .LBB6_12422
.LBB6_11883:                            ;   in Loop: Header=BB6_11223 Depth=3
	s_or_b32 exec_lo, exec_lo, s16
	s_and_saveexec_b32 s16, s19
	s_cbranch_execz .LBB6_11885
.LBB6_11884:                            ;   in Loop: Header=BB6_11223 Depth=3
	v_and_b32_e32 v62, 3, v102
	v_lshrrev_b16 v72, 2, v102
	v_ffbh_u32_e32 v63, v62
	v_and_b32_e32 v72, 31, v72
	v_min_u32_e32 v63, 32, v63
	v_cmp_eq_u32_e32 vcc_lo, 0, v72
	v_subrev_nc_u32_e32 v73, 29, v63
	v_sub_nc_u32_e32 v63, 30, v63
	v_lshlrev_b32_e32 v73, v73, v102
	v_lshlrev_b32_e32 v102, 24, v102
	v_cndmask_b32_e32 v63, v72, v63, vcc_lo
	v_and_b32_e32 v73, 3, v73
	v_and_b32_e32 v102, 0x80000000, v102
	v_lshl_add_u32 v63, v63, 23, 0x37800000
	v_cndmask_b32_e32 v62, v62, v73, vcc_lo
	v_lshlrev_b32_e32 v62, 21, v62
	v_or3_b32 v62, v102, v63, v62
.LBB6_11885:                            ;   in Loop: Header=BB6_11223 Depth=3
	s_or_b32 exec_lo, exec_lo, s16
	s_waitcnt vmcnt(21) lgkmcnt(21)
	v_cmp_gt_i16_sdwa s19, v61, v116 src0_sel:BYTE_0 src1_sel:DWORD
	s_mov_b32 s16, 0
	s_and_saveexec_b32 s23, s19
	s_xor_b32 s19, exec_lo, s23
	s_cbranch_execz .LBB6_12423
; %bb.11886:                            ;   in Loop: Header=BB6_11223 Depth=3
	v_cmp_eq_u16_sdwa s72, v61, v117 src0_sel:BYTE_0 src1_sel:DWORD
	s_mov_b32 s16, -1
	s_and_saveexec_b32 s23, s72
; %bb.11887:                            ;   in Loop: Header=BB6_11223 Depth=3
	s_xor_b32 s16, exec_lo, -1
; %bb.11888:                            ;   in Loop: Header=BB6_11223 Depth=3
	s_or_b32 exec_lo, exec_lo, s23
	s_and_b32 s16, s16, exec_lo
	s_or_saveexec_b32 s19, s19
	v_mov_b32_e32 v102, 0x7f800001
	s_xor_b32 exec_lo, exec_lo, s19
	s_cbranch_execnz .LBB6_12424
.LBB6_11889:                            ;   in Loop: Header=BB6_11223 Depth=3
	s_or_b32 exec_lo, exec_lo, s19
	s_and_saveexec_b32 s19, s16
	s_cbranch_execz .LBB6_11891
.LBB6_11890:                            ;   in Loop: Header=BB6_11223 Depth=3
	v_and_b32_e32 v102, 3, v61
	v_lshrrev_b16 v72, 2, v61
	v_ffbh_u32_e32 v63, v102
	v_and_b32_e32 v72, 31, v72
	v_min_u32_e32 v63, 32, v63
	v_cmp_eq_u32_e32 vcc_lo, 0, v72
	v_subrev_nc_u32_e32 v73, 29, v63
	v_sub_nc_u32_e32 v63, 30, v63
	v_lshlrev_b32_e32 v73, v73, v61
	v_lshlrev_b32_e32 v61, 24, v61
	v_cndmask_b32_e32 v63, v72, v63, vcc_lo
	v_and_b32_e32 v73, 3, v73
	v_and_b32_e32 v61, 0x80000000, v61
	v_lshl_add_u32 v63, v63, 23, 0x37800000
	v_cndmask_b32_e32 v102, v102, v73, vcc_lo
	v_lshlrev_b32_e32 v102, 21, v102
	v_or3_b32 v102, v61, v63, v102
.LBB6_11891:                            ;   in Loop: Header=BB6_11223 Depth=3
	s_or_b32 exec_lo, exec_lo, s19
	v_add_f32_e32 v61, v62, v102
	v_and_b32_e32 v102, 0x7f800000, v61
	v_cmp_ne_u32_e32 vcc_lo, 0x7f800000, v102
	v_mov_b32_e32 v102, 0x80
	s_and_saveexec_b32 s19, vcc_lo
	s_cbranch_execz .LBB6_11899
; %bb.11892:                            ;   in Loop: Header=BB6_11223 Depth=3
	v_mov_b32_e32 v102, 0
	s_mov_b32 s23, exec_lo
	v_cmpx_ne_u32_e32 0, v61
	s_cbranch_execz .LBB6_11898
; %bb.11893:                            ;   in Loop: Header=BB6_11223 Depth=3
	v_bfe_u32 v62, v61, 23, 8
	v_and_b32_e32 v102, 0x7fffff, v61
	v_cmp_gt_u32_e64 s16, 0x71, v62
	v_sub_nc_u32_e32 v63, 0x70, v62
	v_cmp_eq_u32_e32 vcc_lo, 0, v62
	v_or_b32_e32 v72, 0x800000, v102
	v_cndmask_b32_e64 v63, 0, v63, s16
	v_cndmask_b32_e32 v102, v72, v102, vcc_lo
	v_cndmask_b32_e64 v63, v63, 0x6f, vcc_lo
	v_lshl_add_u32 v72, 0x200000, v63, -1
	v_lshlrev_b32_e64 v73, v63, 0x100000
	v_and_b32_e32 v72, v72, v102
	v_cmp_eq_u32_e64 s16, v72, v73
	v_lshrrev_b32_e32 v72, v63, v102
	v_add_nc_u32_e32 v102, 0xffffff91, v62
	v_lshrrev_b32_e32 v62, 23, v72
	v_cndmask_b32_e64 v102, v102, 0xffffff92, vcc_lo
	v_xor_b32_e32 v62, 1, v62
	v_add_nc_u32_e32 v102, v63, v102
	v_bfe_u32 v63, v72, 21, 1
	v_add_nc_u32_e32 v63, -1, v63
	v_cndmask_b32_e64 v63, 0, v63, s16
	s_mov_b32 s16, exec_lo
	v_add_nc_u32_e32 v63, v63, v72
	v_and_b32_e32 v63, 0x1fffff, v63
	v_add_nc_u32_e32 v63, v63, v72
                                        ; implicit-def: $vgpr72
	v_cmpx_ne_u32_e64 v102, v62
	s_xor_b32 s16, exec_lo, s16
; %bb.11894:                            ;   in Loop: Header=BB6_11223 Depth=3
	v_cmp_lt_u32_e32 vcc_lo, 0xffffff, v63
	v_sub_nc_u32_e32 v102, v102, v62
	v_cndmask_b32_e64 v62, 0, 1, vcc_lo
	v_add_co_ci_u32_e64 v72, null, 0, v102, vcc_lo
	v_lshrrev_b32_e32 v63, v62, v63
; %bb.11895:                            ;   in Loop: Header=BB6_11223 Depth=3
	s_andn2_saveexec_b32 s16, s16
; %bb.11896:                            ;   in Loop: Header=BB6_11223 Depth=3
	v_bfe_u32 v72, v63, 23, 1
; %bb.11897:                            ;   in Loop: Header=BB6_11223 Depth=3
	s_or_b32 exec_lo, exec_lo, s16
	v_and_b32_sdwa v102, v61, v117 dst_sel:DWORD dst_unused:UNUSED_PAD src0_sel:BYTE_3 src1_sel:DWORD
	v_lshrrev_b32_e32 v61, 21, v63
	v_cmp_gt_i32_e32 vcc_lo, 32, v72
	v_min_i32_e32 v62, 31, v72
	v_cndmask_b32_e32 v61, 3, v61, vcc_lo
	v_lshlrev_b32_e32 v62, 2, v62
	v_or_b32_e32 v63, v72, v61
	v_and_b32_e32 v61, 3, v61
	v_cmp_ne_u32_e32 vcc_lo, 0, v63
	v_or3_b32 v102, v62, v102, v61
	v_cndmask_b32_e32 v102, 0, v102, vcc_lo
.LBB6_11898:                            ;   in Loop: Header=BB6_11223 Depth=3
	s_or_b32 exec_lo, exec_lo, s23
.LBB6_11899:                            ;   in Loop: Header=BB6_11223 Depth=3
	s_or_b32 exec_lo, exec_lo, s19
	v_cmp_gt_i16_sdwa s16, v101, v116 src0_sel:BYTE_0 src1_sel:DWORD
	s_mov_b32 s19, 0
	s_and_saveexec_b32 s23, s16
	s_xor_b32 s16, exec_lo, s23
	s_cbranch_execz .LBB6_12425
; %bb.11900:                            ;   in Loop: Header=BB6_11223 Depth=3
	v_cmp_eq_u16_sdwa s72, v101, v117 src0_sel:BYTE_0 src1_sel:DWORD
	s_mov_b32 s19, -1
	s_and_saveexec_b32 s23, s72
; %bb.11901:                            ;   in Loop: Header=BB6_11223 Depth=3
	s_xor_b32 s19, exec_lo, -1
; %bb.11902:                            ;   in Loop: Header=BB6_11223 Depth=3
	s_or_b32 exec_lo, exec_lo, s23
	s_and_b32 s19, s19, exec_lo
	s_or_saveexec_b32 s16, s16
	v_mov_b32_e32 v61, 0x7f800001
	s_xor_b32 exec_lo, exec_lo, s16
	s_cbranch_execnz .LBB6_12426
.LBB6_11903:                            ;   in Loop: Header=BB6_11223 Depth=3
	s_or_b32 exec_lo, exec_lo, s16
	s_and_saveexec_b32 s16, s19
	s_cbranch_execz .LBB6_11905
.LBB6_11904:                            ;   in Loop: Header=BB6_11223 Depth=3
	v_and_b32_e32 v61, 3, v101
	v_lshrrev_b16 v63, 2, v101
	v_ffbh_u32_e32 v62, v61
	v_and_b32_e32 v63, 31, v63
	v_min_u32_e32 v62, 32, v62
	v_cmp_eq_u32_e32 vcc_lo, 0, v63
	v_subrev_nc_u32_e32 v72, 29, v62
	v_sub_nc_u32_e32 v62, 30, v62
	v_lshlrev_b32_e32 v72, v72, v101
	v_lshlrev_b32_e32 v101, 24, v101
	v_cndmask_b32_e32 v62, v63, v62, vcc_lo
	v_and_b32_e32 v72, 3, v72
	v_and_b32_e32 v101, 0x80000000, v101
	v_lshl_add_u32 v62, v62, 23, 0x37800000
	v_cndmask_b32_e32 v61, v61, v72, vcc_lo
	v_lshlrev_b32_e32 v61, 21, v61
	v_or3_b32 v61, v101, v62, v61
.LBB6_11905:                            ;   in Loop: Header=BB6_11223 Depth=3
	s_or_b32 exec_lo, exec_lo, s16
	s_waitcnt vmcnt(20) lgkmcnt(20)
	v_cmp_gt_i16_sdwa s19, v60, v116 src0_sel:BYTE_0 src1_sel:DWORD
	s_mov_b32 s16, 0
	s_and_saveexec_b32 s23, s19
	s_xor_b32 s19, exec_lo, s23
	s_cbranch_execz .LBB6_12427
; %bb.11906:                            ;   in Loop: Header=BB6_11223 Depth=3
	v_cmp_eq_u16_sdwa s72, v60, v117 src0_sel:BYTE_0 src1_sel:DWORD
	s_mov_b32 s16, -1
	s_and_saveexec_b32 s23, s72
; %bb.11907:                            ;   in Loop: Header=BB6_11223 Depth=3
	s_xor_b32 s16, exec_lo, -1
; %bb.11908:                            ;   in Loop: Header=BB6_11223 Depth=3
	s_or_b32 exec_lo, exec_lo, s23
	s_and_b32 s16, s16, exec_lo
	s_or_saveexec_b32 s19, s19
	v_mov_b32_e32 v101, 0x7f800001
	s_xor_b32 exec_lo, exec_lo, s19
	s_cbranch_execnz .LBB6_12428
.LBB6_11909:                            ;   in Loop: Header=BB6_11223 Depth=3
	s_or_b32 exec_lo, exec_lo, s19
	s_and_saveexec_b32 s19, s16
	s_cbranch_execz .LBB6_11911
.LBB6_11910:                            ;   in Loop: Header=BB6_11223 Depth=3
	v_and_b32_e32 v101, 3, v60
	v_lshrrev_b16 v63, 2, v60
	v_ffbh_u32_e32 v62, v101
	v_and_b32_e32 v63, 31, v63
	v_min_u32_e32 v62, 32, v62
	v_cmp_eq_u32_e32 vcc_lo, 0, v63
	v_subrev_nc_u32_e32 v72, 29, v62
	v_sub_nc_u32_e32 v62, 30, v62
	v_lshlrev_b32_e32 v72, v72, v60
	v_lshlrev_b32_e32 v60, 24, v60
	v_cndmask_b32_e32 v62, v63, v62, vcc_lo
	v_and_b32_e32 v72, 3, v72
	v_and_b32_e32 v60, 0x80000000, v60
	v_lshl_add_u32 v62, v62, 23, 0x37800000
	v_cndmask_b32_e32 v101, v101, v72, vcc_lo
	v_lshlrev_b32_e32 v101, 21, v101
	v_or3_b32 v101, v60, v62, v101
.LBB6_11911:                            ;   in Loop: Header=BB6_11223 Depth=3
	s_or_b32 exec_lo, exec_lo, s19
	v_add_f32_e32 v60, v61, v101
	v_and_b32_e32 v101, 0x7f800000, v60
	v_cmp_ne_u32_e32 vcc_lo, 0x7f800000, v101
	v_mov_b32_e32 v101, 0x80
	s_and_saveexec_b32 s19, vcc_lo
	s_cbranch_execz .LBB6_11919
; %bb.11912:                            ;   in Loop: Header=BB6_11223 Depth=3
	v_mov_b32_e32 v101, 0
	s_mov_b32 s23, exec_lo
	v_cmpx_ne_u32_e32 0, v60
	s_cbranch_execz .LBB6_11918
; %bb.11913:                            ;   in Loop: Header=BB6_11223 Depth=3
	v_bfe_u32 v61, v60, 23, 8
	v_and_b32_e32 v101, 0x7fffff, v60
	v_cmp_gt_u32_e64 s16, 0x71, v61
	v_sub_nc_u32_e32 v62, 0x70, v61
	v_cmp_eq_u32_e32 vcc_lo, 0, v61
	v_or_b32_e32 v63, 0x800000, v101
	v_cndmask_b32_e64 v62, 0, v62, s16
	v_cndmask_b32_e32 v101, v63, v101, vcc_lo
	v_cndmask_b32_e64 v62, v62, 0x6f, vcc_lo
	v_lshl_add_u32 v63, 0x200000, v62, -1
	v_lshlrev_b32_e64 v72, v62, 0x100000
	v_and_b32_e32 v63, v63, v101
	v_cmp_eq_u32_e64 s16, v63, v72
	v_lshrrev_b32_e32 v63, v62, v101
	v_add_nc_u32_e32 v101, 0xffffff91, v61
	v_lshrrev_b32_e32 v61, 23, v63
	v_cndmask_b32_e64 v101, v101, 0xffffff92, vcc_lo
	v_xor_b32_e32 v61, 1, v61
	v_add_nc_u32_e32 v101, v62, v101
	v_bfe_u32 v62, v63, 21, 1
	v_add_nc_u32_e32 v62, -1, v62
	v_cndmask_b32_e64 v62, 0, v62, s16
	s_mov_b32 s16, exec_lo
	v_add_nc_u32_e32 v62, v62, v63
	v_and_b32_e32 v62, 0x1fffff, v62
	v_add_nc_u32_e32 v62, v62, v63
                                        ; implicit-def: $vgpr63
	v_cmpx_ne_u32_e64 v101, v61
	s_xor_b32 s16, exec_lo, s16
; %bb.11914:                            ;   in Loop: Header=BB6_11223 Depth=3
	v_cmp_lt_u32_e32 vcc_lo, 0xffffff, v62
	v_sub_nc_u32_e32 v101, v101, v61
	v_cndmask_b32_e64 v61, 0, 1, vcc_lo
	v_add_co_ci_u32_e64 v63, null, 0, v101, vcc_lo
	v_lshrrev_b32_e32 v62, v61, v62
; %bb.11915:                            ;   in Loop: Header=BB6_11223 Depth=3
	s_andn2_saveexec_b32 s16, s16
; %bb.11916:                            ;   in Loop: Header=BB6_11223 Depth=3
	v_bfe_u32 v63, v62, 23, 1
; %bb.11917:                            ;   in Loop: Header=BB6_11223 Depth=3
	s_or_b32 exec_lo, exec_lo, s16
	v_and_b32_sdwa v101, v60, v117 dst_sel:DWORD dst_unused:UNUSED_PAD src0_sel:BYTE_3 src1_sel:DWORD
	v_lshrrev_b32_e32 v60, 21, v62
	v_cmp_gt_i32_e32 vcc_lo, 32, v63
	v_min_i32_e32 v61, 31, v63
	v_cndmask_b32_e32 v60, 3, v60, vcc_lo
	v_lshlrev_b32_e32 v61, 2, v61
	v_or_b32_e32 v62, v63, v60
	v_and_b32_e32 v60, 3, v60
	v_cmp_ne_u32_e32 vcc_lo, 0, v62
	v_or3_b32 v101, v61, v101, v60
	v_cndmask_b32_e32 v101, 0, v101, vcc_lo
.LBB6_11918:                            ;   in Loop: Header=BB6_11223 Depth=3
	s_or_b32 exec_lo, exec_lo, s23
.LBB6_11919:                            ;   in Loop: Header=BB6_11223 Depth=3
	s_or_b32 exec_lo, exec_lo, s19
	v_cmp_gt_i16_sdwa s16, v97, v116 src0_sel:BYTE_0 src1_sel:DWORD
	s_mov_b32 s19, 0
	s_and_saveexec_b32 s23, s16
	s_xor_b32 s16, exec_lo, s23
	s_cbranch_execz .LBB6_12429
; %bb.11920:                            ;   in Loop: Header=BB6_11223 Depth=3
	v_cmp_eq_u16_sdwa s72, v97, v117 src0_sel:BYTE_0 src1_sel:DWORD
	s_mov_b32 s19, -1
	s_and_saveexec_b32 s23, s72
; %bb.11921:                            ;   in Loop: Header=BB6_11223 Depth=3
	s_xor_b32 s19, exec_lo, -1
; %bb.11922:                            ;   in Loop: Header=BB6_11223 Depth=3
	s_or_b32 exec_lo, exec_lo, s23
	s_and_b32 s19, s19, exec_lo
	s_or_saveexec_b32 s16, s16
	v_mov_b32_e32 v60, 0x7f800001
	s_xor_b32 exec_lo, exec_lo, s16
	s_cbranch_execnz .LBB6_12430
.LBB6_11923:                            ;   in Loop: Header=BB6_11223 Depth=3
	s_or_b32 exec_lo, exec_lo, s16
	s_and_saveexec_b32 s16, s19
	s_cbranch_execz .LBB6_11925
.LBB6_11924:                            ;   in Loop: Header=BB6_11223 Depth=3
	v_and_b32_e32 v60, 3, v97
	v_lshrrev_b16 v62, 2, v97
	v_ffbh_u32_e32 v61, v60
	v_and_b32_e32 v62, 31, v62
	v_min_u32_e32 v61, 32, v61
	v_cmp_eq_u32_e32 vcc_lo, 0, v62
	v_subrev_nc_u32_e32 v63, 29, v61
	v_sub_nc_u32_e32 v61, 30, v61
	v_lshlrev_b32_e32 v63, v63, v97
	v_lshlrev_b32_e32 v97, 24, v97
	v_cndmask_b32_e32 v61, v62, v61, vcc_lo
	v_and_b32_e32 v63, 3, v63
	v_and_b32_e32 v97, 0x80000000, v97
	v_lshl_add_u32 v61, v61, 23, 0x37800000
	v_cndmask_b32_e32 v60, v60, v63, vcc_lo
	v_lshlrev_b32_e32 v60, 21, v60
	v_or3_b32 v60, v97, v61, v60
.LBB6_11925:                            ;   in Loop: Header=BB6_11223 Depth=3
	s_or_b32 exec_lo, exec_lo, s16
	s_waitcnt vmcnt(19) lgkmcnt(19)
	v_cmp_gt_i16_sdwa s19, v45, v116 src0_sel:BYTE_0 src1_sel:DWORD
	s_mov_b32 s16, 0
	s_and_saveexec_b32 s23, s19
	s_xor_b32 s19, exec_lo, s23
	s_cbranch_execz .LBB6_12431
; %bb.11926:                            ;   in Loop: Header=BB6_11223 Depth=3
	v_cmp_eq_u16_sdwa s72, v45, v117 src0_sel:BYTE_0 src1_sel:DWORD
	s_mov_b32 s16, -1
	s_and_saveexec_b32 s23, s72
; %bb.11927:                            ;   in Loop: Header=BB6_11223 Depth=3
	s_xor_b32 s16, exec_lo, -1
; %bb.11928:                            ;   in Loop: Header=BB6_11223 Depth=3
	s_or_b32 exec_lo, exec_lo, s23
	s_and_b32 s16, s16, exec_lo
	s_or_saveexec_b32 s19, s19
	v_mov_b32_e32 v97, 0x7f800001
	s_xor_b32 exec_lo, exec_lo, s19
	s_cbranch_execnz .LBB6_12432
.LBB6_11929:                            ;   in Loop: Header=BB6_11223 Depth=3
	s_or_b32 exec_lo, exec_lo, s19
	s_and_saveexec_b32 s19, s16
	s_cbranch_execz .LBB6_11931
.LBB6_11930:                            ;   in Loop: Header=BB6_11223 Depth=3
	v_and_b32_e32 v97, 3, v45
	v_lshrrev_b16 v62, 2, v45
	v_ffbh_u32_e32 v61, v97
	v_and_b32_e32 v62, 31, v62
	v_min_u32_e32 v61, 32, v61
	v_cmp_eq_u32_e32 vcc_lo, 0, v62
	v_subrev_nc_u32_e32 v63, 29, v61
	v_sub_nc_u32_e32 v61, 30, v61
	v_lshlrev_b32_e32 v63, v63, v45
	v_lshlrev_b32_e32 v45, 24, v45
	v_cndmask_b32_e32 v61, v62, v61, vcc_lo
	v_and_b32_e32 v63, 3, v63
	v_and_b32_e32 v45, 0x80000000, v45
	v_lshl_add_u32 v61, v61, 23, 0x37800000
	v_cndmask_b32_e32 v97, v97, v63, vcc_lo
	v_lshlrev_b32_e32 v97, 21, v97
	v_or3_b32 v97, v45, v61, v97
.LBB6_11931:                            ;   in Loop: Header=BB6_11223 Depth=3
	s_or_b32 exec_lo, exec_lo, s19
	v_add_f32_e32 v45, v60, v97
	v_and_b32_e32 v97, 0x7f800000, v45
	v_cmp_ne_u32_e32 vcc_lo, 0x7f800000, v97
	v_mov_b32_e32 v97, 0x80
	s_and_saveexec_b32 s19, vcc_lo
	s_cbranch_execz .LBB6_11939
; %bb.11932:                            ;   in Loop: Header=BB6_11223 Depth=3
	v_mov_b32_e32 v97, 0
	s_mov_b32 s23, exec_lo
	v_cmpx_ne_u32_e32 0, v45
	s_cbranch_execz .LBB6_11938
; %bb.11933:                            ;   in Loop: Header=BB6_11223 Depth=3
	v_bfe_u32 v60, v45, 23, 8
	v_and_b32_e32 v97, 0x7fffff, v45
	v_cmp_gt_u32_e64 s16, 0x71, v60
	v_sub_nc_u32_e32 v61, 0x70, v60
	v_cmp_eq_u32_e32 vcc_lo, 0, v60
	v_or_b32_e32 v62, 0x800000, v97
	v_cndmask_b32_e64 v61, 0, v61, s16
	v_cndmask_b32_e32 v97, v62, v97, vcc_lo
	v_cndmask_b32_e64 v61, v61, 0x6f, vcc_lo
	v_lshl_add_u32 v62, 0x200000, v61, -1
	v_lshlrev_b32_e64 v63, v61, 0x100000
	v_and_b32_e32 v62, v62, v97
	v_cmp_eq_u32_e64 s16, v62, v63
	v_lshrrev_b32_e32 v62, v61, v97
	v_add_nc_u32_e32 v97, 0xffffff91, v60
	v_lshrrev_b32_e32 v60, 23, v62
	v_cndmask_b32_e64 v97, v97, 0xffffff92, vcc_lo
	v_xor_b32_e32 v60, 1, v60
	v_add_nc_u32_e32 v97, v61, v97
	v_bfe_u32 v61, v62, 21, 1
	v_add_nc_u32_e32 v61, -1, v61
	v_cndmask_b32_e64 v61, 0, v61, s16
	s_mov_b32 s16, exec_lo
	v_add_nc_u32_e32 v61, v61, v62
	v_and_b32_e32 v61, 0x1fffff, v61
	v_add_nc_u32_e32 v61, v61, v62
                                        ; implicit-def: $vgpr62
	v_cmpx_ne_u32_e64 v97, v60
	s_xor_b32 s16, exec_lo, s16
; %bb.11934:                            ;   in Loop: Header=BB6_11223 Depth=3
	v_cmp_lt_u32_e32 vcc_lo, 0xffffff, v61
	v_sub_nc_u32_e32 v97, v97, v60
	v_cndmask_b32_e64 v60, 0, 1, vcc_lo
	v_add_co_ci_u32_e64 v62, null, 0, v97, vcc_lo
	v_lshrrev_b32_e32 v61, v60, v61
; %bb.11935:                            ;   in Loop: Header=BB6_11223 Depth=3
	s_andn2_saveexec_b32 s16, s16
; %bb.11936:                            ;   in Loop: Header=BB6_11223 Depth=3
	v_bfe_u32 v62, v61, 23, 1
; %bb.11937:                            ;   in Loop: Header=BB6_11223 Depth=3
	s_or_b32 exec_lo, exec_lo, s16
	v_and_b32_sdwa v97, v45, v117 dst_sel:DWORD dst_unused:UNUSED_PAD src0_sel:BYTE_3 src1_sel:DWORD
	v_lshrrev_b32_e32 v45, 21, v61
	v_cmp_gt_i32_e32 vcc_lo, 32, v62
	v_min_i32_e32 v60, 31, v62
	v_cndmask_b32_e32 v45, 3, v45, vcc_lo
	v_lshlrev_b32_e32 v60, 2, v60
	v_or_b32_e32 v61, v62, v45
	v_and_b32_e32 v45, 3, v45
	v_cmp_ne_u32_e32 vcc_lo, 0, v61
	v_or3_b32 v97, v60, v97, v45
	v_cndmask_b32_e32 v97, 0, v97, vcc_lo
.LBB6_11938:                            ;   in Loop: Header=BB6_11223 Depth=3
	s_or_b32 exec_lo, exec_lo, s23
.LBB6_11939:                            ;   in Loop: Header=BB6_11223 Depth=3
	s_or_b32 exec_lo, exec_lo, s19
	v_cmp_gt_i16_sdwa s16, v96, v116 src0_sel:BYTE_0 src1_sel:DWORD
	s_mov_b32 s19, 0
	s_and_saveexec_b32 s23, s16
	s_xor_b32 s16, exec_lo, s23
	s_cbranch_execz .LBB6_12433
; %bb.11940:                            ;   in Loop: Header=BB6_11223 Depth=3
	v_cmp_eq_u16_sdwa s72, v96, v117 src0_sel:BYTE_0 src1_sel:DWORD
	s_mov_b32 s19, -1
	s_and_saveexec_b32 s23, s72
; %bb.11941:                            ;   in Loop: Header=BB6_11223 Depth=3
	s_xor_b32 s19, exec_lo, -1
; %bb.11942:                            ;   in Loop: Header=BB6_11223 Depth=3
	s_or_b32 exec_lo, exec_lo, s23
	s_and_b32 s19, s19, exec_lo
	s_or_saveexec_b32 s16, s16
	v_mov_b32_e32 v45, 0x7f800001
	s_xor_b32 exec_lo, exec_lo, s16
	s_cbranch_execnz .LBB6_12434
.LBB6_11943:                            ;   in Loop: Header=BB6_11223 Depth=3
	s_or_b32 exec_lo, exec_lo, s16
	s_and_saveexec_b32 s16, s19
	s_cbranch_execz .LBB6_11945
.LBB6_11944:                            ;   in Loop: Header=BB6_11223 Depth=3
	v_and_b32_e32 v45, 3, v96
	v_lshrrev_b16 v61, 2, v96
	v_ffbh_u32_e32 v60, v45
	v_and_b32_e32 v61, 31, v61
	v_min_u32_e32 v60, 32, v60
	v_cmp_eq_u32_e32 vcc_lo, 0, v61
	v_subrev_nc_u32_e32 v62, 29, v60
	v_sub_nc_u32_e32 v60, 30, v60
	v_lshlrev_b32_e32 v62, v62, v96
	v_lshlrev_b32_e32 v96, 24, v96
	v_cndmask_b32_e32 v60, v61, v60, vcc_lo
	v_and_b32_e32 v62, 3, v62
	v_and_b32_e32 v96, 0x80000000, v96
	v_lshl_add_u32 v60, v60, 23, 0x37800000
	v_cndmask_b32_e32 v45, v45, v62, vcc_lo
	v_lshlrev_b32_e32 v45, 21, v45
	v_or3_b32 v45, v96, v60, v45
.LBB6_11945:                            ;   in Loop: Header=BB6_11223 Depth=3
	s_or_b32 exec_lo, exec_lo, s16
	s_waitcnt vmcnt(18) lgkmcnt(18)
	v_cmp_gt_i16_sdwa s19, v59, v116 src0_sel:BYTE_0 src1_sel:DWORD
	s_mov_b32 s16, 0
	s_and_saveexec_b32 s23, s19
	s_xor_b32 s19, exec_lo, s23
	s_cbranch_execz .LBB6_12435
; %bb.11946:                            ;   in Loop: Header=BB6_11223 Depth=3
	v_cmp_eq_u16_sdwa s72, v59, v117 src0_sel:BYTE_0 src1_sel:DWORD
	s_mov_b32 s16, -1
	s_and_saveexec_b32 s23, s72
; %bb.11947:                            ;   in Loop: Header=BB6_11223 Depth=3
	s_xor_b32 s16, exec_lo, -1
; %bb.11948:                            ;   in Loop: Header=BB6_11223 Depth=3
	s_or_b32 exec_lo, exec_lo, s23
	s_and_b32 s16, s16, exec_lo
	s_or_saveexec_b32 s19, s19
	v_mov_b32_e32 v96, 0x7f800001
	s_xor_b32 exec_lo, exec_lo, s19
	s_cbranch_execnz .LBB6_12436
.LBB6_11949:                            ;   in Loop: Header=BB6_11223 Depth=3
	s_or_b32 exec_lo, exec_lo, s19
	s_and_saveexec_b32 s19, s16
	s_cbranch_execz .LBB6_11951
.LBB6_11950:                            ;   in Loop: Header=BB6_11223 Depth=3
	v_and_b32_e32 v96, 3, v59
	v_lshrrev_b16 v61, 2, v59
	v_ffbh_u32_e32 v60, v96
	v_and_b32_e32 v61, 31, v61
	v_min_u32_e32 v60, 32, v60
	v_cmp_eq_u32_e32 vcc_lo, 0, v61
	v_subrev_nc_u32_e32 v62, 29, v60
	v_sub_nc_u32_e32 v60, 30, v60
	v_lshlrev_b32_e32 v62, v62, v59
	v_lshlrev_b32_e32 v59, 24, v59
	v_cndmask_b32_e32 v60, v61, v60, vcc_lo
	v_and_b32_e32 v62, 3, v62
	v_and_b32_e32 v59, 0x80000000, v59
	v_lshl_add_u32 v60, v60, 23, 0x37800000
	v_cndmask_b32_e32 v96, v96, v62, vcc_lo
	v_lshlrev_b32_e32 v96, 21, v96
	v_or3_b32 v96, v59, v60, v96
.LBB6_11951:                            ;   in Loop: Header=BB6_11223 Depth=3
	s_or_b32 exec_lo, exec_lo, s19
	v_add_f32_e32 v45, v45, v96
	v_and_b32_e32 v96, 0x7f800000, v45
	v_cmp_ne_u32_e32 vcc_lo, 0x7f800000, v96
	v_mov_b32_e32 v96, 0x80
	s_and_saveexec_b32 s19, vcc_lo
	s_cbranch_execz .LBB6_11959
; %bb.11952:                            ;   in Loop: Header=BB6_11223 Depth=3
	v_mov_b32_e32 v96, 0
	s_mov_b32 s23, exec_lo
	v_cmpx_ne_u32_e32 0, v45
	s_cbranch_execz .LBB6_11958
; %bb.11953:                            ;   in Loop: Header=BB6_11223 Depth=3
	v_bfe_u32 v59, v45, 23, 8
	v_and_b32_e32 v96, 0x7fffff, v45
	v_cmp_gt_u32_e64 s16, 0x71, v59
	v_sub_nc_u32_e32 v60, 0x70, v59
	v_cmp_eq_u32_e32 vcc_lo, 0, v59
	v_or_b32_e32 v61, 0x800000, v96
	v_cndmask_b32_e64 v60, 0, v60, s16
	v_cndmask_b32_e32 v96, v61, v96, vcc_lo
	v_cndmask_b32_e64 v60, v60, 0x6f, vcc_lo
	v_lshl_add_u32 v61, 0x200000, v60, -1
	v_lshlrev_b32_e64 v62, v60, 0x100000
	v_and_b32_e32 v61, v61, v96
	v_cmp_eq_u32_e64 s16, v61, v62
	v_lshrrev_b32_e32 v61, v60, v96
	v_add_nc_u32_e32 v96, 0xffffff91, v59
	v_lshrrev_b32_e32 v59, 23, v61
	v_cndmask_b32_e64 v96, v96, 0xffffff92, vcc_lo
	v_xor_b32_e32 v59, 1, v59
	v_add_nc_u32_e32 v96, v60, v96
	v_bfe_u32 v60, v61, 21, 1
	v_add_nc_u32_e32 v60, -1, v60
	v_cndmask_b32_e64 v60, 0, v60, s16
	s_mov_b32 s16, exec_lo
	v_add_nc_u32_e32 v60, v60, v61
	v_and_b32_e32 v60, 0x1fffff, v60
	v_add_nc_u32_e32 v60, v60, v61
                                        ; implicit-def: $vgpr61
	v_cmpx_ne_u32_e64 v96, v59
	s_xor_b32 s16, exec_lo, s16
; %bb.11954:                            ;   in Loop: Header=BB6_11223 Depth=3
	v_cmp_lt_u32_e32 vcc_lo, 0xffffff, v60
	v_sub_nc_u32_e32 v96, v96, v59
	v_cndmask_b32_e64 v59, 0, 1, vcc_lo
	v_add_co_ci_u32_e64 v61, null, 0, v96, vcc_lo
	v_lshrrev_b32_e32 v60, v59, v60
; %bb.11955:                            ;   in Loop: Header=BB6_11223 Depth=3
	s_andn2_saveexec_b32 s16, s16
; %bb.11956:                            ;   in Loop: Header=BB6_11223 Depth=3
	v_bfe_u32 v61, v60, 23, 1
; %bb.11957:                            ;   in Loop: Header=BB6_11223 Depth=3
	s_or_b32 exec_lo, exec_lo, s16
	v_and_b32_sdwa v96, v45, v117 dst_sel:DWORD dst_unused:UNUSED_PAD src0_sel:BYTE_3 src1_sel:DWORD
	v_lshrrev_b32_e32 v45, 21, v60
	v_cmp_gt_i32_e32 vcc_lo, 32, v61
	v_min_i32_e32 v59, 31, v61
	v_cndmask_b32_e32 v45, 3, v45, vcc_lo
	v_lshlrev_b32_e32 v59, 2, v59
	v_or_b32_e32 v60, v61, v45
	v_and_b32_e32 v45, 3, v45
	v_cmp_ne_u32_e32 vcc_lo, 0, v60
	v_or3_b32 v96, v59, v96, v45
	v_cndmask_b32_e32 v96, 0, v96, vcc_lo
.LBB6_11958:                            ;   in Loop: Header=BB6_11223 Depth=3
	s_or_b32 exec_lo, exec_lo, s23
.LBB6_11959:                            ;   in Loop: Header=BB6_11223 Depth=3
	s_or_b32 exec_lo, exec_lo, s19
	v_cmp_gt_i16_sdwa s16, v85, v116 src0_sel:BYTE_0 src1_sel:DWORD
	s_mov_b32 s19, 0
	s_and_saveexec_b32 s23, s16
	s_xor_b32 s16, exec_lo, s23
	s_cbranch_execz .LBB6_12437
; %bb.11960:                            ;   in Loop: Header=BB6_11223 Depth=3
	v_cmp_eq_u16_sdwa s72, v85, v117 src0_sel:BYTE_0 src1_sel:DWORD
	s_mov_b32 s19, -1
	s_and_saveexec_b32 s23, s72
; %bb.11961:                            ;   in Loop: Header=BB6_11223 Depth=3
	s_xor_b32 s19, exec_lo, -1
; %bb.11962:                            ;   in Loop: Header=BB6_11223 Depth=3
	s_or_b32 exec_lo, exec_lo, s23
	s_and_b32 s19, s19, exec_lo
	s_or_saveexec_b32 s16, s16
	v_mov_b32_e32 v45, 0x7f800001
	s_xor_b32 exec_lo, exec_lo, s16
	s_cbranch_execnz .LBB6_12438
.LBB6_11963:                            ;   in Loop: Header=BB6_11223 Depth=3
	s_or_b32 exec_lo, exec_lo, s16
	s_and_saveexec_b32 s16, s19
	s_cbranch_execz .LBB6_11965
.LBB6_11964:                            ;   in Loop: Header=BB6_11223 Depth=3
	v_and_b32_e32 v45, 3, v85
	v_lshrrev_b16 v60, 2, v85
	v_ffbh_u32_e32 v59, v45
	v_and_b32_e32 v60, 31, v60
	v_min_u32_e32 v59, 32, v59
	v_cmp_eq_u32_e32 vcc_lo, 0, v60
	v_subrev_nc_u32_e32 v61, 29, v59
	v_sub_nc_u32_e32 v59, 30, v59
	v_lshlrev_b32_e32 v61, v61, v85
	v_lshlrev_b32_e32 v85, 24, v85
	v_cndmask_b32_e32 v59, v60, v59, vcc_lo
	v_and_b32_e32 v61, 3, v61
	v_and_b32_e32 v85, 0x80000000, v85
	v_lshl_add_u32 v59, v59, 23, 0x37800000
	v_cndmask_b32_e32 v45, v45, v61, vcc_lo
	v_lshlrev_b32_e32 v45, 21, v45
	v_or3_b32 v45, v85, v59, v45
.LBB6_11965:                            ;   in Loop: Header=BB6_11223 Depth=3
	s_or_b32 exec_lo, exec_lo, s16
	s_waitcnt vmcnt(17) lgkmcnt(17)
	v_cmp_gt_i16_sdwa s19, v58, v116 src0_sel:BYTE_0 src1_sel:DWORD
	s_mov_b32 s16, 0
	s_and_saveexec_b32 s23, s19
	s_xor_b32 s19, exec_lo, s23
	s_cbranch_execz .LBB6_12439
; %bb.11966:                            ;   in Loop: Header=BB6_11223 Depth=3
	v_cmp_eq_u16_sdwa s72, v58, v117 src0_sel:BYTE_0 src1_sel:DWORD
	s_mov_b32 s16, -1
	s_and_saveexec_b32 s23, s72
; %bb.11967:                            ;   in Loop: Header=BB6_11223 Depth=3
	s_xor_b32 s16, exec_lo, -1
; %bb.11968:                            ;   in Loop: Header=BB6_11223 Depth=3
	s_or_b32 exec_lo, exec_lo, s23
	s_and_b32 s16, s16, exec_lo
	s_or_saveexec_b32 s19, s19
	v_mov_b32_e32 v85, 0x7f800001
	s_xor_b32 exec_lo, exec_lo, s19
	s_cbranch_execnz .LBB6_12440
.LBB6_11969:                            ;   in Loop: Header=BB6_11223 Depth=3
	s_or_b32 exec_lo, exec_lo, s19
	s_and_saveexec_b32 s19, s16
	s_cbranch_execz .LBB6_11971
.LBB6_11970:                            ;   in Loop: Header=BB6_11223 Depth=3
	v_and_b32_e32 v85, 3, v58
	v_lshrrev_b16 v60, 2, v58
	v_ffbh_u32_e32 v59, v85
	v_and_b32_e32 v60, 31, v60
	v_min_u32_e32 v59, 32, v59
	v_cmp_eq_u32_e32 vcc_lo, 0, v60
	v_subrev_nc_u32_e32 v61, 29, v59
	v_sub_nc_u32_e32 v59, 30, v59
	v_lshlrev_b32_e32 v61, v61, v58
	v_lshlrev_b32_e32 v58, 24, v58
	v_cndmask_b32_e32 v59, v60, v59, vcc_lo
	v_and_b32_e32 v61, 3, v61
	v_and_b32_e32 v58, 0x80000000, v58
	v_lshl_add_u32 v59, v59, 23, 0x37800000
	v_cndmask_b32_e32 v85, v85, v61, vcc_lo
	v_lshlrev_b32_e32 v85, 21, v85
	v_or3_b32 v85, v58, v59, v85
.LBB6_11971:                            ;   in Loop: Header=BB6_11223 Depth=3
	s_or_b32 exec_lo, exec_lo, s19
	v_add_f32_e32 v45, v45, v85
	v_and_b32_e32 v85, 0x7f800000, v45
	v_cmp_ne_u32_e32 vcc_lo, 0x7f800000, v85
	v_mov_b32_e32 v85, 0x80
	s_and_saveexec_b32 s19, vcc_lo
	s_cbranch_execz .LBB6_11979
; %bb.11972:                            ;   in Loop: Header=BB6_11223 Depth=3
	v_mov_b32_e32 v85, 0
	s_mov_b32 s23, exec_lo
	v_cmpx_ne_u32_e32 0, v45
	s_cbranch_execz .LBB6_11978
; %bb.11973:                            ;   in Loop: Header=BB6_11223 Depth=3
	v_bfe_u32 v58, v45, 23, 8
	v_and_b32_e32 v85, 0x7fffff, v45
	v_cmp_gt_u32_e64 s16, 0x71, v58
	v_sub_nc_u32_e32 v59, 0x70, v58
	v_cmp_eq_u32_e32 vcc_lo, 0, v58
	v_or_b32_e32 v60, 0x800000, v85
	v_cndmask_b32_e64 v59, 0, v59, s16
	v_cndmask_b32_e32 v85, v60, v85, vcc_lo
	v_cndmask_b32_e64 v59, v59, 0x6f, vcc_lo
	v_lshl_add_u32 v60, 0x200000, v59, -1
	v_lshlrev_b32_e64 v61, v59, 0x100000
	v_and_b32_e32 v60, v60, v85
	v_cmp_eq_u32_e64 s16, v60, v61
	v_lshrrev_b32_e32 v60, v59, v85
	v_add_nc_u32_e32 v85, 0xffffff91, v58
	v_lshrrev_b32_e32 v58, 23, v60
	v_cndmask_b32_e64 v85, v85, 0xffffff92, vcc_lo
	v_xor_b32_e32 v58, 1, v58
	v_add_nc_u32_e32 v85, v59, v85
	v_bfe_u32 v59, v60, 21, 1
	v_add_nc_u32_e32 v59, -1, v59
	v_cndmask_b32_e64 v59, 0, v59, s16
	s_mov_b32 s16, exec_lo
	v_add_nc_u32_e32 v59, v59, v60
	v_and_b32_e32 v59, 0x1fffff, v59
	v_add_nc_u32_e32 v59, v59, v60
                                        ; implicit-def: $vgpr60
	v_cmpx_ne_u32_e64 v85, v58
	s_xor_b32 s16, exec_lo, s16
; %bb.11974:                            ;   in Loop: Header=BB6_11223 Depth=3
	v_cmp_lt_u32_e32 vcc_lo, 0xffffff, v59
	v_sub_nc_u32_e32 v85, v85, v58
	v_cndmask_b32_e64 v58, 0, 1, vcc_lo
	v_add_co_ci_u32_e64 v60, null, 0, v85, vcc_lo
	v_lshrrev_b32_e32 v59, v58, v59
; %bb.11975:                            ;   in Loop: Header=BB6_11223 Depth=3
	s_andn2_saveexec_b32 s16, s16
; %bb.11976:                            ;   in Loop: Header=BB6_11223 Depth=3
	v_bfe_u32 v60, v59, 23, 1
; %bb.11977:                            ;   in Loop: Header=BB6_11223 Depth=3
	s_or_b32 exec_lo, exec_lo, s16
	v_and_b32_sdwa v85, v45, v117 dst_sel:DWORD dst_unused:UNUSED_PAD src0_sel:BYTE_3 src1_sel:DWORD
	v_lshrrev_b32_e32 v45, 21, v59
	v_cmp_gt_i32_e32 vcc_lo, 32, v60
	v_min_i32_e32 v58, 31, v60
	v_cndmask_b32_e32 v45, 3, v45, vcc_lo
	v_lshlrev_b32_e32 v58, 2, v58
	v_or_b32_e32 v59, v60, v45
	v_and_b32_e32 v45, 3, v45
	v_cmp_ne_u32_e32 vcc_lo, 0, v59
	v_or3_b32 v85, v58, v85, v45
	v_cndmask_b32_e32 v85, 0, v85, vcc_lo
.LBB6_11978:                            ;   in Loop: Header=BB6_11223 Depth=3
	s_or_b32 exec_lo, exec_lo, s23
.LBB6_11979:                            ;   in Loop: Header=BB6_11223 Depth=3
	s_or_b32 exec_lo, exec_lo, s19
	v_cmp_gt_i16_sdwa s16, v84, v116 src0_sel:BYTE_0 src1_sel:DWORD
	s_mov_b32 s19, 0
	s_and_saveexec_b32 s23, s16
	s_xor_b32 s16, exec_lo, s23
	s_cbranch_execz .LBB6_12441
; %bb.11980:                            ;   in Loop: Header=BB6_11223 Depth=3
	v_cmp_eq_u16_sdwa s72, v84, v117 src0_sel:BYTE_0 src1_sel:DWORD
	s_mov_b32 s19, -1
	s_and_saveexec_b32 s23, s72
; %bb.11981:                            ;   in Loop: Header=BB6_11223 Depth=3
	s_xor_b32 s19, exec_lo, -1
; %bb.11982:                            ;   in Loop: Header=BB6_11223 Depth=3
	s_or_b32 exec_lo, exec_lo, s23
	s_and_b32 s19, s19, exec_lo
	s_or_saveexec_b32 s16, s16
	v_mov_b32_e32 v45, 0x7f800001
	s_xor_b32 exec_lo, exec_lo, s16
	s_cbranch_execnz .LBB6_12442
.LBB6_11983:                            ;   in Loop: Header=BB6_11223 Depth=3
	s_or_b32 exec_lo, exec_lo, s16
	s_and_saveexec_b32 s16, s19
	s_cbranch_execz .LBB6_11985
.LBB6_11984:                            ;   in Loop: Header=BB6_11223 Depth=3
	v_and_b32_e32 v45, 3, v84
	v_lshrrev_b16 v59, 2, v84
	v_ffbh_u32_e32 v58, v45
	v_and_b32_e32 v59, 31, v59
	v_min_u32_e32 v58, 32, v58
	v_cmp_eq_u32_e32 vcc_lo, 0, v59
	v_subrev_nc_u32_e32 v60, 29, v58
	v_sub_nc_u32_e32 v58, 30, v58
	v_lshlrev_b32_e32 v60, v60, v84
	v_lshlrev_b32_e32 v84, 24, v84
	v_cndmask_b32_e32 v58, v59, v58, vcc_lo
	v_and_b32_e32 v60, 3, v60
	v_and_b32_e32 v84, 0x80000000, v84
	v_lshl_add_u32 v58, v58, 23, 0x37800000
	v_cndmask_b32_e32 v45, v45, v60, vcc_lo
	v_lshlrev_b32_e32 v45, 21, v45
	v_or3_b32 v45, v84, v58, v45
.LBB6_11985:                            ;   in Loop: Header=BB6_11223 Depth=3
	s_or_b32 exec_lo, exec_lo, s16
	s_waitcnt vmcnt(16) lgkmcnt(16)
	v_cmp_gt_i16_sdwa s19, v57, v116 src0_sel:BYTE_0 src1_sel:DWORD
	s_mov_b32 s16, 0
	s_and_saveexec_b32 s23, s19
	s_xor_b32 s19, exec_lo, s23
	s_cbranch_execz .LBB6_12443
; %bb.11986:                            ;   in Loop: Header=BB6_11223 Depth=3
	v_cmp_eq_u16_sdwa s72, v57, v117 src0_sel:BYTE_0 src1_sel:DWORD
	s_mov_b32 s16, -1
	s_and_saveexec_b32 s23, s72
; %bb.11987:                            ;   in Loop: Header=BB6_11223 Depth=3
	s_xor_b32 s16, exec_lo, -1
; %bb.11988:                            ;   in Loop: Header=BB6_11223 Depth=3
	s_or_b32 exec_lo, exec_lo, s23
	s_and_b32 s16, s16, exec_lo
	s_or_saveexec_b32 s19, s19
	v_mov_b32_e32 v84, 0x7f800001
	s_xor_b32 exec_lo, exec_lo, s19
	s_cbranch_execnz .LBB6_12444
.LBB6_11989:                            ;   in Loop: Header=BB6_11223 Depth=3
	s_or_b32 exec_lo, exec_lo, s19
	s_and_saveexec_b32 s19, s16
	s_cbranch_execz .LBB6_11991
.LBB6_11990:                            ;   in Loop: Header=BB6_11223 Depth=3
	v_and_b32_e32 v84, 3, v57
	v_lshrrev_b16 v59, 2, v57
	v_ffbh_u32_e32 v58, v84
	v_and_b32_e32 v59, 31, v59
	v_min_u32_e32 v58, 32, v58
	v_cmp_eq_u32_e32 vcc_lo, 0, v59
	v_subrev_nc_u32_e32 v60, 29, v58
	v_sub_nc_u32_e32 v58, 30, v58
	v_lshlrev_b32_e32 v60, v60, v57
	v_lshlrev_b32_e32 v57, 24, v57
	v_cndmask_b32_e32 v58, v59, v58, vcc_lo
	v_and_b32_e32 v60, 3, v60
	v_and_b32_e32 v57, 0x80000000, v57
	v_lshl_add_u32 v58, v58, 23, 0x37800000
	v_cndmask_b32_e32 v84, v84, v60, vcc_lo
	v_lshlrev_b32_e32 v84, 21, v84
	v_or3_b32 v84, v57, v58, v84
.LBB6_11991:                            ;   in Loop: Header=BB6_11223 Depth=3
	s_or_b32 exec_lo, exec_lo, s19
	v_add_f32_e32 v45, v45, v84
	v_and_b32_e32 v84, 0x7f800000, v45
	v_cmp_ne_u32_e32 vcc_lo, 0x7f800000, v84
	v_mov_b32_e32 v84, 0x80
	s_and_saveexec_b32 s19, vcc_lo
	s_cbranch_execz .LBB6_11999
; %bb.11992:                            ;   in Loop: Header=BB6_11223 Depth=3
	v_mov_b32_e32 v84, 0
	s_mov_b32 s23, exec_lo
	v_cmpx_ne_u32_e32 0, v45
	s_cbranch_execz .LBB6_11998
; %bb.11993:                            ;   in Loop: Header=BB6_11223 Depth=3
	v_bfe_u32 v57, v45, 23, 8
	v_and_b32_e32 v84, 0x7fffff, v45
	v_cmp_gt_u32_e64 s16, 0x71, v57
	v_sub_nc_u32_e32 v58, 0x70, v57
	v_cmp_eq_u32_e32 vcc_lo, 0, v57
	v_or_b32_e32 v59, 0x800000, v84
	v_cndmask_b32_e64 v58, 0, v58, s16
	v_cndmask_b32_e32 v84, v59, v84, vcc_lo
	v_cndmask_b32_e64 v58, v58, 0x6f, vcc_lo
	v_lshl_add_u32 v59, 0x200000, v58, -1
	v_lshlrev_b32_e64 v60, v58, 0x100000
	v_and_b32_e32 v59, v59, v84
	v_cmp_eq_u32_e64 s16, v59, v60
	v_lshrrev_b32_e32 v59, v58, v84
	v_add_nc_u32_e32 v84, 0xffffff91, v57
	v_lshrrev_b32_e32 v57, 23, v59
	v_cndmask_b32_e64 v84, v84, 0xffffff92, vcc_lo
	v_xor_b32_e32 v57, 1, v57
	v_add_nc_u32_e32 v84, v58, v84
	v_bfe_u32 v58, v59, 21, 1
	v_add_nc_u32_e32 v58, -1, v58
	v_cndmask_b32_e64 v58, 0, v58, s16
	s_mov_b32 s16, exec_lo
	v_add_nc_u32_e32 v58, v58, v59
	v_and_b32_e32 v58, 0x1fffff, v58
	v_add_nc_u32_e32 v58, v58, v59
                                        ; implicit-def: $vgpr59
	v_cmpx_ne_u32_e64 v84, v57
	s_xor_b32 s16, exec_lo, s16
; %bb.11994:                            ;   in Loop: Header=BB6_11223 Depth=3
	v_cmp_lt_u32_e32 vcc_lo, 0xffffff, v58
	v_sub_nc_u32_e32 v84, v84, v57
	v_cndmask_b32_e64 v57, 0, 1, vcc_lo
	v_add_co_ci_u32_e64 v59, null, 0, v84, vcc_lo
	v_lshrrev_b32_e32 v58, v57, v58
; %bb.11995:                            ;   in Loop: Header=BB6_11223 Depth=3
	s_andn2_saveexec_b32 s16, s16
; %bb.11996:                            ;   in Loop: Header=BB6_11223 Depth=3
	v_bfe_u32 v59, v58, 23, 1
; %bb.11997:                            ;   in Loop: Header=BB6_11223 Depth=3
	s_or_b32 exec_lo, exec_lo, s16
	v_and_b32_sdwa v84, v45, v117 dst_sel:DWORD dst_unused:UNUSED_PAD src0_sel:BYTE_3 src1_sel:DWORD
	v_lshrrev_b32_e32 v45, 21, v58
	v_cmp_gt_i32_e32 vcc_lo, 32, v59
	v_min_i32_e32 v57, 31, v59
	v_cndmask_b32_e32 v45, 3, v45, vcc_lo
	v_lshlrev_b32_e32 v57, 2, v57
	v_or_b32_e32 v58, v59, v45
	v_and_b32_e32 v45, 3, v45
	v_cmp_ne_u32_e32 vcc_lo, 0, v58
	v_or3_b32 v84, v57, v84, v45
	v_cndmask_b32_e32 v84, 0, v84, vcc_lo
.LBB6_11998:                            ;   in Loop: Header=BB6_11223 Depth=3
	s_or_b32 exec_lo, exec_lo, s23
.LBB6_11999:                            ;   in Loop: Header=BB6_11223 Depth=3
	s_or_b32 exec_lo, exec_lo, s19
	v_cmp_gt_i16_sdwa s16, v82, v116 src0_sel:BYTE_0 src1_sel:DWORD
	s_mov_b32 s19, 0
	s_and_saveexec_b32 s23, s16
	s_xor_b32 s16, exec_lo, s23
	s_cbranch_execz .LBB6_12445
; %bb.12000:                            ;   in Loop: Header=BB6_11223 Depth=3
	v_cmp_eq_u16_sdwa s72, v82, v117 src0_sel:BYTE_0 src1_sel:DWORD
	s_mov_b32 s19, -1
	s_and_saveexec_b32 s23, s72
; %bb.12001:                            ;   in Loop: Header=BB6_11223 Depth=3
	s_xor_b32 s19, exec_lo, -1
; %bb.12002:                            ;   in Loop: Header=BB6_11223 Depth=3
	s_or_b32 exec_lo, exec_lo, s23
	s_and_b32 s19, s19, exec_lo
	s_or_saveexec_b32 s16, s16
	v_mov_b32_e32 v45, 0x7f800001
	s_xor_b32 exec_lo, exec_lo, s16
	s_cbranch_execnz .LBB6_12446
.LBB6_12003:                            ;   in Loop: Header=BB6_11223 Depth=3
	s_or_b32 exec_lo, exec_lo, s16
	s_and_saveexec_b32 s16, s19
	s_cbranch_execz .LBB6_12005
.LBB6_12004:                            ;   in Loop: Header=BB6_11223 Depth=3
	v_and_b32_e32 v45, 3, v82
	v_lshrrev_b16 v58, 2, v82
	v_ffbh_u32_e32 v57, v45
	v_and_b32_e32 v58, 31, v58
	v_min_u32_e32 v57, 32, v57
	v_cmp_eq_u32_e32 vcc_lo, 0, v58
	v_subrev_nc_u32_e32 v59, 29, v57
	v_sub_nc_u32_e32 v57, 30, v57
	v_lshlrev_b32_e32 v59, v59, v82
	v_lshlrev_b32_e32 v82, 24, v82
	v_cndmask_b32_e32 v57, v58, v57, vcc_lo
	v_and_b32_e32 v59, 3, v59
	v_and_b32_e32 v82, 0x80000000, v82
	v_lshl_add_u32 v57, v57, 23, 0x37800000
	v_cndmask_b32_e32 v45, v45, v59, vcc_lo
	v_lshlrev_b32_e32 v45, 21, v45
	v_or3_b32 v45, v82, v57, v45
.LBB6_12005:                            ;   in Loop: Header=BB6_11223 Depth=3
	s_or_b32 exec_lo, exec_lo, s16
	s_waitcnt vmcnt(15) lgkmcnt(15)
	v_cmp_gt_i16_sdwa s19, v56, v116 src0_sel:BYTE_0 src1_sel:DWORD
	s_mov_b32 s16, 0
	s_and_saveexec_b32 s23, s19
	s_xor_b32 s19, exec_lo, s23
	s_cbranch_execz .LBB6_12447
; %bb.12006:                            ;   in Loop: Header=BB6_11223 Depth=3
	v_cmp_eq_u16_sdwa s72, v56, v117 src0_sel:BYTE_0 src1_sel:DWORD
	s_mov_b32 s16, -1
	s_and_saveexec_b32 s23, s72
; %bb.12007:                            ;   in Loop: Header=BB6_11223 Depth=3
	s_xor_b32 s16, exec_lo, -1
; %bb.12008:                            ;   in Loop: Header=BB6_11223 Depth=3
	s_or_b32 exec_lo, exec_lo, s23
	s_and_b32 s16, s16, exec_lo
	s_or_saveexec_b32 s19, s19
	v_mov_b32_e32 v82, 0x7f800001
	s_xor_b32 exec_lo, exec_lo, s19
	s_cbranch_execnz .LBB6_12448
.LBB6_12009:                            ;   in Loop: Header=BB6_11223 Depth=3
	s_or_b32 exec_lo, exec_lo, s19
	s_and_saveexec_b32 s19, s16
	s_cbranch_execz .LBB6_12011
.LBB6_12010:                            ;   in Loop: Header=BB6_11223 Depth=3
	v_and_b32_e32 v82, 3, v56
	v_lshrrev_b16 v58, 2, v56
	v_ffbh_u32_e32 v57, v82
	v_and_b32_e32 v58, 31, v58
	v_min_u32_e32 v57, 32, v57
	v_cmp_eq_u32_e32 vcc_lo, 0, v58
	v_subrev_nc_u32_e32 v59, 29, v57
	v_sub_nc_u32_e32 v57, 30, v57
	v_lshlrev_b32_e32 v59, v59, v56
	v_lshlrev_b32_e32 v56, 24, v56
	v_cndmask_b32_e32 v57, v58, v57, vcc_lo
	v_and_b32_e32 v59, 3, v59
	v_and_b32_e32 v56, 0x80000000, v56
	v_lshl_add_u32 v57, v57, 23, 0x37800000
	v_cndmask_b32_e32 v82, v82, v59, vcc_lo
	v_lshlrev_b32_e32 v82, 21, v82
	v_or3_b32 v82, v56, v57, v82
.LBB6_12011:                            ;   in Loop: Header=BB6_11223 Depth=3
	s_or_b32 exec_lo, exec_lo, s19
	v_add_f32_e32 v45, v45, v82
	v_and_b32_e32 v82, 0x7f800000, v45
	v_cmp_ne_u32_e32 vcc_lo, 0x7f800000, v82
	v_mov_b32_e32 v82, 0x80
	s_and_saveexec_b32 s19, vcc_lo
	s_cbranch_execz .LBB6_12019
; %bb.12012:                            ;   in Loop: Header=BB6_11223 Depth=3
	v_mov_b32_e32 v82, 0
	s_mov_b32 s23, exec_lo
	v_cmpx_ne_u32_e32 0, v45
	s_cbranch_execz .LBB6_12018
; %bb.12013:                            ;   in Loop: Header=BB6_11223 Depth=3
	v_bfe_u32 v56, v45, 23, 8
	v_and_b32_e32 v82, 0x7fffff, v45
	v_cmp_gt_u32_e64 s16, 0x71, v56
	v_sub_nc_u32_e32 v57, 0x70, v56
	v_cmp_eq_u32_e32 vcc_lo, 0, v56
	v_or_b32_e32 v58, 0x800000, v82
	v_cndmask_b32_e64 v57, 0, v57, s16
	v_cndmask_b32_e32 v82, v58, v82, vcc_lo
	v_cndmask_b32_e64 v57, v57, 0x6f, vcc_lo
	v_lshl_add_u32 v58, 0x200000, v57, -1
	v_lshlrev_b32_e64 v59, v57, 0x100000
	v_and_b32_e32 v58, v58, v82
	v_cmp_eq_u32_e64 s16, v58, v59
	v_lshrrev_b32_e32 v58, v57, v82
	v_add_nc_u32_e32 v82, 0xffffff91, v56
	v_lshrrev_b32_e32 v56, 23, v58
	v_cndmask_b32_e64 v82, v82, 0xffffff92, vcc_lo
	v_xor_b32_e32 v56, 1, v56
	v_add_nc_u32_e32 v82, v57, v82
	v_bfe_u32 v57, v58, 21, 1
	v_add_nc_u32_e32 v57, -1, v57
	v_cndmask_b32_e64 v57, 0, v57, s16
	s_mov_b32 s16, exec_lo
	v_add_nc_u32_e32 v57, v57, v58
	v_and_b32_e32 v57, 0x1fffff, v57
	v_add_nc_u32_e32 v57, v57, v58
                                        ; implicit-def: $vgpr58
	v_cmpx_ne_u32_e64 v82, v56
	s_xor_b32 s16, exec_lo, s16
; %bb.12014:                            ;   in Loop: Header=BB6_11223 Depth=3
	v_cmp_lt_u32_e32 vcc_lo, 0xffffff, v57
	v_sub_nc_u32_e32 v82, v82, v56
	v_cndmask_b32_e64 v56, 0, 1, vcc_lo
	v_add_co_ci_u32_e64 v58, null, 0, v82, vcc_lo
	v_lshrrev_b32_e32 v57, v56, v57
; %bb.12015:                            ;   in Loop: Header=BB6_11223 Depth=3
	s_andn2_saveexec_b32 s16, s16
; %bb.12016:                            ;   in Loop: Header=BB6_11223 Depth=3
	v_bfe_u32 v58, v57, 23, 1
; %bb.12017:                            ;   in Loop: Header=BB6_11223 Depth=3
	s_or_b32 exec_lo, exec_lo, s16
	v_and_b32_sdwa v82, v45, v117 dst_sel:DWORD dst_unused:UNUSED_PAD src0_sel:BYTE_3 src1_sel:DWORD
	v_lshrrev_b32_e32 v45, 21, v57
	v_cmp_gt_i32_e32 vcc_lo, 32, v58
	v_min_i32_e32 v56, 31, v58
	v_cndmask_b32_e32 v45, 3, v45, vcc_lo
	v_lshlrev_b32_e32 v56, 2, v56
	v_or_b32_e32 v57, v58, v45
	v_and_b32_e32 v45, 3, v45
	v_cmp_ne_u32_e32 vcc_lo, 0, v57
	v_or3_b32 v82, v56, v82, v45
	v_cndmask_b32_e32 v82, 0, v82, vcc_lo
.LBB6_12018:                            ;   in Loop: Header=BB6_11223 Depth=3
	s_or_b32 exec_lo, exec_lo, s23
.LBB6_12019:                            ;   in Loop: Header=BB6_11223 Depth=3
	s_or_b32 exec_lo, exec_lo, s19
	v_cmp_gt_i16_sdwa s16, v80, v116 src0_sel:BYTE_0 src1_sel:DWORD
	s_mov_b32 s19, 0
	s_and_saveexec_b32 s23, s16
	s_xor_b32 s16, exec_lo, s23
	s_cbranch_execz .LBB6_12449
; %bb.12020:                            ;   in Loop: Header=BB6_11223 Depth=3
	v_cmp_eq_u16_sdwa s72, v80, v117 src0_sel:BYTE_0 src1_sel:DWORD
	s_mov_b32 s19, -1
	s_and_saveexec_b32 s23, s72
; %bb.12021:                            ;   in Loop: Header=BB6_11223 Depth=3
	s_xor_b32 s19, exec_lo, -1
; %bb.12022:                            ;   in Loop: Header=BB6_11223 Depth=3
	s_or_b32 exec_lo, exec_lo, s23
	s_and_b32 s19, s19, exec_lo
	s_or_saveexec_b32 s16, s16
	v_mov_b32_e32 v45, 0x7f800001
	s_xor_b32 exec_lo, exec_lo, s16
	s_cbranch_execnz .LBB6_12450
.LBB6_12023:                            ;   in Loop: Header=BB6_11223 Depth=3
	s_or_b32 exec_lo, exec_lo, s16
	s_and_saveexec_b32 s16, s19
	s_cbranch_execz .LBB6_12025
.LBB6_12024:                            ;   in Loop: Header=BB6_11223 Depth=3
	v_and_b32_e32 v45, 3, v80
	v_lshrrev_b16 v57, 2, v80
	v_ffbh_u32_e32 v56, v45
	v_and_b32_e32 v57, 31, v57
	v_min_u32_e32 v56, 32, v56
	v_cmp_eq_u32_e32 vcc_lo, 0, v57
	v_subrev_nc_u32_e32 v58, 29, v56
	v_sub_nc_u32_e32 v56, 30, v56
	v_lshlrev_b32_e32 v58, v58, v80
	v_lshlrev_b32_e32 v80, 24, v80
	v_cndmask_b32_e32 v56, v57, v56, vcc_lo
	v_and_b32_e32 v58, 3, v58
	v_and_b32_e32 v80, 0x80000000, v80
	v_lshl_add_u32 v56, v56, 23, 0x37800000
	v_cndmask_b32_e32 v45, v45, v58, vcc_lo
	v_lshlrev_b32_e32 v45, 21, v45
	v_or3_b32 v45, v80, v56, v45
.LBB6_12025:                            ;   in Loop: Header=BB6_11223 Depth=3
	s_or_b32 exec_lo, exec_lo, s16
	s_waitcnt vmcnt(14) lgkmcnt(14)
	v_cmp_gt_i16_sdwa s19, v44, v116 src0_sel:BYTE_0 src1_sel:DWORD
	s_mov_b32 s16, 0
	s_and_saveexec_b32 s23, s19
	s_xor_b32 s19, exec_lo, s23
	s_cbranch_execz .LBB6_12451
; %bb.12026:                            ;   in Loop: Header=BB6_11223 Depth=3
	v_cmp_eq_u16_sdwa s72, v44, v117 src0_sel:BYTE_0 src1_sel:DWORD
	s_mov_b32 s16, -1
	s_and_saveexec_b32 s23, s72
; %bb.12027:                            ;   in Loop: Header=BB6_11223 Depth=3
	s_xor_b32 s16, exec_lo, -1
; %bb.12028:                            ;   in Loop: Header=BB6_11223 Depth=3
	s_or_b32 exec_lo, exec_lo, s23
	s_and_b32 s16, s16, exec_lo
	s_or_saveexec_b32 s19, s19
	v_mov_b32_e32 v80, 0x7f800001
	s_xor_b32 exec_lo, exec_lo, s19
	s_cbranch_execnz .LBB6_12452
.LBB6_12029:                            ;   in Loop: Header=BB6_11223 Depth=3
	s_or_b32 exec_lo, exec_lo, s19
	s_and_saveexec_b32 s19, s16
	s_cbranch_execz .LBB6_12031
.LBB6_12030:                            ;   in Loop: Header=BB6_11223 Depth=3
	v_and_b32_e32 v80, 3, v44
	v_lshrrev_b16 v57, 2, v44
	v_ffbh_u32_e32 v56, v80
	v_and_b32_e32 v57, 31, v57
	v_min_u32_e32 v56, 32, v56
	v_cmp_eq_u32_e32 vcc_lo, 0, v57
	v_subrev_nc_u32_e32 v58, 29, v56
	v_sub_nc_u32_e32 v56, 30, v56
	v_lshlrev_b32_e32 v58, v58, v44
	v_lshlrev_b32_e32 v44, 24, v44
	v_cndmask_b32_e32 v56, v57, v56, vcc_lo
	v_and_b32_e32 v58, 3, v58
	v_and_b32_e32 v44, 0x80000000, v44
	v_lshl_add_u32 v56, v56, 23, 0x37800000
	v_cndmask_b32_e32 v80, v80, v58, vcc_lo
	v_lshlrev_b32_e32 v80, 21, v80
	v_or3_b32 v80, v44, v56, v80
.LBB6_12031:                            ;   in Loop: Header=BB6_11223 Depth=3
	s_or_b32 exec_lo, exec_lo, s19
	v_add_f32_e32 v44, v45, v80
	v_and_b32_e32 v80, 0x7f800000, v44
	v_cmp_ne_u32_e32 vcc_lo, 0x7f800000, v80
	v_mov_b32_e32 v80, 0x80
	s_and_saveexec_b32 s19, vcc_lo
	s_cbranch_execz .LBB6_12039
; %bb.12032:                            ;   in Loop: Header=BB6_11223 Depth=3
	v_mov_b32_e32 v80, 0
	s_mov_b32 s23, exec_lo
	v_cmpx_ne_u32_e32 0, v44
	s_cbranch_execz .LBB6_12038
; %bb.12033:                            ;   in Loop: Header=BB6_11223 Depth=3
	v_bfe_u32 v45, v44, 23, 8
	v_and_b32_e32 v80, 0x7fffff, v44
	v_cmp_gt_u32_e64 s16, 0x71, v45
	v_sub_nc_u32_e32 v56, 0x70, v45
	v_cmp_eq_u32_e32 vcc_lo, 0, v45
	v_or_b32_e32 v57, 0x800000, v80
	v_cndmask_b32_e64 v56, 0, v56, s16
	v_cndmask_b32_e32 v80, v57, v80, vcc_lo
	v_cndmask_b32_e64 v56, v56, 0x6f, vcc_lo
	v_lshl_add_u32 v57, 0x200000, v56, -1
	v_lshlrev_b32_e64 v58, v56, 0x100000
	v_and_b32_e32 v57, v57, v80
	v_cmp_eq_u32_e64 s16, v57, v58
	v_lshrrev_b32_e32 v57, v56, v80
	v_add_nc_u32_e32 v80, 0xffffff91, v45
	v_lshrrev_b32_e32 v45, 23, v57
	v_cndmask_b32_e64 v80, v80, 0xffffff92, vcc_lo
	v_xor_b32_e32 v45, 1, v45
	v_add_nc_u32_e32 v80, v56, v80
	v_bfe_u32 v56, v57, 21, 1
	v_add_nc_u32_e32 v56, -1, v56
	v_cndmask_b32_e64 v56, 0, v56, s16
	s_mov_b32 s16, exec_lo
	v_add_nc_u32_e32 v56, v56, v57
	v_and_b32_e32 v56, 0x1fffff, v56
	v_add_nc_u32_e32 v56, v56, v57
                                        ; implicit-def: $vgpr57
	v_cmpx_ne_u32_e64 v80, v45
	s_xor_b32 s16, exec_lo, s16
; %bb.12034:                            ;   in Loop: Header=BB6_11223 Depth=3
	v_cmp_lt_u32_e32 vcc_lo, 0xffffff, v56
	v_sub_nc_u32_e32 v80, v80, v45
	v_cndmask_b32_e64 v45, 0, 1, vcc_lo
	v_add_co_ci_u32_e64 v57, null, 0, v80, vcc_lo
	v_lshrrev_b32_e32 v56, v45, v56
; %bb.12035:                            ;   in Loop: Header=BB6_11223 Depth=3
	s_andn2_saveexec_b32 s16, s16
; %bb.12036:                            ;   in Loop: Header=BB6_11223 Depth=3
	v_bfe_u32 v57, v56, 23, 1
; %bb.12037:                            ;   in Loop: Header=BB6_11223 Depth=3
	s_or_b32 exec_lo, exec_lo, s16
	v_and_b32_sdwa v80, v44, v117 dst_sel:DWORD dst_unused:UNUSED_PAD src0_sel:BYTE_3 src1_sel:DWORD
	v_lshrrev_b32_e32 v44, 21, v56
	v_cmp_gt_i32_e32 vcc_lo, 32, v57
	v_min_i32_e32 v45, 31, v57
	v_cndmask_b32_e32 v44, 3, v44, vcc_lo
	v_lshlrev_b32_e32 v45, 2, v45
	v_or_b32_e32 v56, v57, v44
	v_and_b32_e32 v44, 3, v44
	v_cmp_ne_u32_e32 vcc_lo, 0, v56
	v_or3_b32 v80, v45, v80, v44
	v_cndmask_b32_e32 v80, 0, v80, vcc_lo
.LBB6_12038:                            ;   in Loop: Header=BB6_11223 Depth=3
	s_or_b32 exec_lo, exec_lo, s23
.LBB6_12039:                            ;   in Loop: Header=BB6_11223 Depth=3
	s_or_b32 exec_lo, exec_lo, s19
	v_cmp_gt_i16_sdwa s16, v66, v116 src0_sel:BYTE_0 src1_sel:DWORD
	s_mov_b32 s19, 0
	s_and_saveexec_b32 s23, s16
	s_xor_b32 s16, exec_lo, s23
	s_cbranch_execz .LBB6_12453
; %bb.12040:                            ;   in Loop: Header=BB6_11223 Depth=3
	v_cmp_eq_u16_sdwa s72, v66, v117 src0_sel:BYTE_0 src1_sel:DWORD
	s_mov_b32 s19, -1
	s_and_saveexec_b32 s23, s72
; %bb.12041:                            ;   in Loop: Header=BB6_11223 Depth=3
	s_xor_b32 s19, exec_lo, -1
; %bb.12042:                            ;   in Loop: Header=BB6_11223 Depth=3
	s_or_b32 exec_lo, exec_lo, s23
	s_and_b32 s19, s19, exec_lo
	s_or_saveexec_b32 s16, s16
	v_mov_b32_e32 v44, 0x7f800001
	s_xor_b32 exec_lo, exec_lo, s16
	s_cbranch_execnz .LBB6_12454
.LBB6_12043:                            ;   in Loop: Header=BB6_11223 Depth=3
	s_or_b32 exec_lo, exec_lo, s16
	s_and_saveexec_b32 s16, s19
	s_cbranch_execz .LBB6_12045
.LBB6_12044:                            ;   in Loop: Header=BB6_11223 Depth=3
	v_and_b32_e32 v44, 3, v66
	v_lshrrev_b16 v56, 2, v66
	v_ffbh_u32_e32 v45, v44
	v_and_b32_e32 v56, 31, v56
	v_min_u32_e32 v45, 32, v45
	v_cmp_eq_u32_e32 vcc_lo, 0, v56
	v_subrev_nc_u32_e32 v57, 29, v45
	v_sub_nc_u32_e32 v45, 30, v45
	v_lshlrev_b32_e32 v57, v57, v66
	v_lshlrev_b32_e32 v66, 24, v66
	v_cndmask_b32_e32 v45, v56, v45, vcc_lo
	v_and_b32_e32 v57, 3, v57
	v_and_b32_e32 v66, 0x80000000, v66
	v_lshl_add_u32 v45, v45, 23, 0x37800000
	v_cndmask_b32_e32 v44, v44, v57, vcc_lo
	v_lshlrev_b32_e32 v44, 21, v44
	v_or3_b32 v44, v66, v45, v44
.LBB6_12045:                            ;   in Loop: Header=BB6_11223 Depth=3
	s_or_b32 exec_lo, exec_lo, s16
	s_waitcnt vmcnt(13) lgkmcnt(13)
	v_cmp_gt_i16_sdwa s19, v43, v116 src0_sel:BYTE_0 src1_sel:DWORD
	s_mov_b32 s16, 0
	s_and_saveexec_b32 s23, s19
	s_xor_b32 s19, exec_lo, s23
	s_cbranch_execz .LBB6_12455
; %bb.12046:                            ;   in Loop: Header=BB6_11223 Depth=3
	v_cmp_eq_u16_sdwa s72, v43, v117 src0_sel:BYTE_0 src1_sel:DWORD
	s_mov_b32 s16, -1
	s_and_saveexec_b32 s23, s72
; %bb.12047:                            ;   in Loop: Header=BB6_11223 Depth=3
	s_xor_b32 s16, exec_lo, -1
; %bb.12048:                            ;   in Loop: Header=BB6_11223 Depth=3
	s_or_b32 exec_lo, exec_lo, s23
	s_and_b32 s16, s16, exec_lo
	s_or_saveexec_b32 s19, s19
	v_mov_b32_e32 v66, 0x7f800001
	s_xor_b32 exec_lo, exec_lo, s19
	s_cbranch_execnz .LBB6_12456
.LBB6_12049:                            ;   in Loop: Header=BB6_11223 Depth=3
	s_or_b32 exec_lo, exec_lo, s19
	s_and_saveexec_b32 s19, s16
	s_cbranch_execz .LBB6_12051
.LBB6_12050:                            ;   in Loop: Header=BB6_11223 Depth=3
	v_and_b32_e32 v66, 3, v43
	v_lshrrev_b16 v56, 2, v43
	v_ffbh_u32_e32 v45, v66
	v_and_b32_e32 v56, 31, v56
	v_min_u32_e32 v45, 32, v45
	v_cmp_eq_u32_e32 vcc_lo, 0, v56
	v_subrev_nc_u32_e32 v57, 29, v45
	v_sub_nc_u32_e32 v45, 30, v45
	v_lshlrev_b32_e32 v57, v57, v43
	v_lshlrev_b32_e32 v43, 24, v43
	v_cndmask_b32_e32 v45, v56, v45, vcc_lo
	v_and_b32_e32 v57, 3, v57
	v_and_b32_e32 v43, 0x80000000, v43
	v_lshl_add_u32 v45, v45, 23, 0x37800000
	v_cndmask_b32_e32 v66, v66, v57, vcc_lo
	v_lshlrev_b32_e32 v66, 21, v66
	v_or3_b32 v66, v43, v45, v66
.LBB6_12051:                            ;   in Loop: Header=BB6_11223 Depth=3
	s_or_b32 exec_lo, exec_lo, s19
	v_add_f32_e32 v43, v44, v66
	v_and_b32_e32 v66, 0x7f800000, v43
	v_cmp_ne_u32_e32 vcc_lo, 0x7f800000, v66
	v_mov_b32_e32 v66, 0x80
	s_and_saveexec_b32 s19, vcc_lo
	s_cbranch_execz .LBB6_12059
; %bb.12052:                            ;   in Loop: Header=BB6_11223 Depth=3
	v_mov_b32_e32 v66, 0
	s_mov_b32 s23, exec_lo
	v_cmpx_ne_u32_e32 0, v43
	s_cbranch_execz .LBB6_12058
; %bb.12053:                            ;   in Loop: Header=BB6_11223 Depth=3
	v_bfe_u32 v44, v43, 23, 8
	v_and_b32_e32 v66, 0x7fffff, v43
	v_cmp_gt_u32_e64 s16, 0x71, v44
	v_sub_nc_u32_e32 v45, 0x70, v44
	v_cmp_eq_u32_e32 vcc_lo, 0, v44
	v_or_b32_e32 v56, 0x800000, v66
	v_cndmask_b32_e64 v45, 0, v45, s16
	v_cndmask_b32_e32 v66, v56, v66, vcc_lo
	v_cndmask_b32_e64 v45, v45, 0x6f, vcc_lo
	v_lshl_add_u32 v56, 0x200000, v45, -1
	v_lshlrev_b32_e64 v57, v45, 0x100000
	v_and_b32_e32 v56, v56, v66
	v_cmp_eq_u32_e64 s16, v56, v57
	v_lshrrev_b32_e32 v56, v45, v66
	v_add_nc_u32_e32 v66, 0xffffff91, v44
	v_lshrrev_b32_e32 v44, 23, v56
	v_cndmask_b32_e64 v66, v66, 0xffffff92, vcc_lo
	v_xor_b32_e32 v44, 1, v44
	v_add_nc_u32_e32 v66, v45, v66
	v_bfe_u32 v45, v56, 21, 1
	v_add_nc_u32_e32 v45, -1, v45
	v_cndmask_b32_e64 v45, 0, v45, s16
	s_mov_b32 s16, exec_lo
	v_add_nc_u32_e32 v45, v45, v56
	v_and_b32_e32 v45, 0x1fffff, v45
	v_add_nc_u32_e32 v45, v45, v56
                                        ; implicit-def: $vgpr56
	v_cmpx_ne_u32_e64 v66, v44
	s_xor_b32 s16, exec_lo, s16
; %bb.12054:                            ;   in Loop: Header=BB6_11223 Depth=3
	v_cmp_lt_u32_e32 vcc_lo, 0xffffff, v45
	v_sub_nc_u32_e32 v66, v66, v44
	v_cndmask_b32_e64 v44, 0, 1, vcc_lo
	v_add_co_ci_u32_e64 v56, null, 0, v66, vcc_lo
	v_lshrrev_b32_e32 v45, v44, v45
; %bb.12055:                            ;   in Loop: Header=BB6_11223 Depth=3
	s_andn2_saveexec_b32 s16, s16
; %bb.12056:                            ;   in Loop: Header=BB6_11223 Depth=3
	v_bfe_u32 v56, v45, 23, 1
; %bb.12057:                            ;   in Loop: Header=BB6_11223 Depth=3
	s_or_b32 exec_lo, exec_lo, s16
	v_and_b32_sdwa v66, v43, v117 dst_sel:DWORD dst_unused:UNUSED_PAD src0_sel:BYTE_3 src1_sel:DWORD
	v_lshrrev_b32_e32 v43, 21, v45
	v_cmp_gt_i32_e32 vcc_lo, 32, v56
	v_min_i32_e32 v44, 31, v56
	v_cndmask_b32_e32 v43, 3, v43, vcc_lo
	v_lshlrev_b32_e32 v44, 2, v44
	v_or_b32_e32 v45, v56, v43
	v_and_b32_e32 v43, 3, v43
	v_cmp_ne_u32_e32 vcc_lo, 0, v45
	v_or3_b32 v66, v44, v66, v43
	v_cndmask_b32_e32 v66, 0, v66, vcc_lo
.LBB6_12058:                            ;   in Loop: Header=BB6_11223 Depth=3
	s_or_b32 exec_lo, exec_lo, s23
.LBB6_12059:                            ;   in Loop: Header=BB6_11223 Depth=3
	s_or_b32 exec_lo, exec_lo, s19
	v_cmp_gt_i16_sdwa s16, v54, v116 src0_sel:BYTE_0 src1_sel:DWORD
	s_mov_b32 s19, 0
	s_and_saveexec_b32 s23, s16
	s_xor_b32 s16, exec_lo, s23
	s_cbranch_execz .LBB6_12457
; %bb.12060:                            ;   in Loop: Header=BB6_11223 Depth=3
	v_cmp_eq_u16_sdwa s72, v54, v117 src0_sel:BYTE_0 src1_sel:DWORD
	s_mov_b32 s19, -1
	s_and_saveexec_b32 s23, s72
; %bb.12061:                            ;   in Loop: Header=BB6_11223 Depth=3
	s_xor_b32 s19, exec_lo, -1
; %bb.12062:                            ;   in Loop: Header=BB6_11223 Depth=3
	s_or_b32 exec_lo, exec_lo, s23
	s_and_b32 s19, s19, exec_lo
	s_or_saveexec_b32 s16, s16
	v_mov_b32_e32 v43, 0x7f800001
	s_xor_b32 exec_lo, exec_lo, s16
	s_cbranch_execnz .LBB6_12458
.LBB6_12063:                            ;   in Loop: Header=BB6_11223 Depth=3
	s_or_b32 exec_lo, exec_lo, s16
	s_and_saveexec_b32 s16, s19
	s_cbranch_execz .LBB6_12065
.LBB6_12064:                            ;   in Loop: Header=BB6_11223 Depth=3
	v_and_b32_e32 v43, 3, v54
	v_lshrrev_b16 v45, 2, v54
	v_ffbh_u32_e32 v44, v43
	v_and_b32_e32 v45, 31, v45
	v_min_u32_e32 v44, 32, v44
	v_cmp_eq_u32_e32 vcc_lo, 0, v45
	v_subrev_nc_u32_e32 v56, 29, v44
	v_sub_nc_u32_e32 v44, 30, v44
	v_lshlrev_b32_e32 v56, v56, v54
	v_lshlrev_b32_e32 v54, 24, v54
	v_cndmask_b32_e32 v44, v45, v44, vcc_lo
	v_and_b32_e32 v56, 3, v56
	v_and_b32_e32 v54, 0x80000000, v54
	v_lshl_add_u32 v44, v44, 23, 0x37800000
	v_cndmask_b32_e32 v43, v43, v56, vcc_lo
	v_lshlrev_b32_e32 v43, 21, v43
	v_or3_b32 v43, v54, v44, v43
.LBB6_12065:                            ;   in Loop: Header=BB6_11223 Depth=3
	s_or_b32 exec_lo, exec_lo, s16
	s_waitcnt vmcnt(12) lgkmcnt(12)
	v_cmp_gt_i16_sdwa s19, v42, v116 src0_sel:BYTE_0 src1_sel:DWORD
	s_mov_b32 s16, 0
	s_and_saveexec_b32 s23, s19
	s_xor_b32 s19, exec_lo, s23
	s_cbranch_execz .LBB6_12459
; %bb.12066:                            ;   in Loop: Header=BB6_11223 Depth=3
	v_cmp_eq_u16_sdwa s72, v42, v117 src0_sel:BYTE_0 src1_sel:DWORD
	s_mov_b32 s16, -1
	s_and_saveexec_b32 s23, s72
; %bb.12067:                            ;   in Loop: Header=BB6_11223 Depth=3
	s_xor_b32 s16, exec_lo, -1
; %bb.12068:                            ;   in Loop: Header=BB6_11223 Depth=3
	s_or_b32 exec_lo, exec_lo, s23
	s_and_b32 s16, s16, exec_lo
	s_or_saveexec_b32 s19, s19
	v_mov_b32_e32 v54, 0x7f800001
	s_xor_b32 exec_lo, exec_lo, s19
	s_cbranch_execnz .LBB6_12460
.LBB6_12069:                            ;   in Loop: Header=BB6_11223 Depth=3
	s_or_b32 exec_lo, exec_lo, s19
	s_and_saveexec_b32 s19, s16
	s_cbranch_execz .LBB6_12071
.LBB6_12070:                            ;   in Loop: Header=BB6_11223 Depth=3
	v_and_b32_e32 v54, 3, v42
	v_lshrrev_b16 v45, 2, v42
	v_ffbh_u32_e32 v44, v54
	v_and_b32_e32 v45, 31, v45
	v_min_u32_e32 v44, 32, v44
	v_cmp_eq_u32_e32 vcc_lo, 0, v45
	v_subrev_nc_u32_e32 v56, 29, v44
	v_sub_nc_u32_e32 v44, 30, v44
	v_lshlrev_b32_e32 v56, v56, v42
	v_lshlrev_b32_e32 v42, 24, v42
	v_cndmask_b32_e32 v44, v45, v44, vcc_lo
	v_and_b32_e32 v56, 3, v56
	v_and_b32_e32 v42, 0x80000000, v42
	v_lshl_add_u32 v44, v44, 23, 0x37800000
	v_cndmask_b32_e32 v54, v54, v56, vcc_lo
	v_lshlrev_b32_e32 v54, 21, v54
	v_or3_b32 v54, v42, v44, v54
.LBB6_12071:                            ;   in Loop: Header=BB6_11223 Depth=3
	s_or_b32 exec_lo, exec_lo, s19
	v_add_f32_e32 v42, v43, v54
	v_and_b32_e32 v54, 0x7f800000, v42
	v_cmp_ne_u32_e32 vcc_lo, 0x7f800000, v54
	v_mov_b32_e32 v54, 0x80
	s_and_saveexec_b32 s19, vcc_lo
	s_cbranch_execz .LBB6_12079
; %bb.12072:                            ;   in Loop: Header=BB6_11223 Depth=3
	v_mov_b32_e32 v54, 0
	s_mov_b32 s23, exec_lo
	v_cmpx_ne_u32_e32 0, v42
	s_cbranch_execz .LBB6_12078
; %bb.12073:                            ;   in Loop: Header=BB6_11223 Depth=3
	v_bfe_u32 v43, v42, 23, 8
	v_and_b32_e32 v54, 0x7fffff, v42
	v_cmp_gt_u32_e64 s16, 0x71, v43
	v_sub_nc_u32_e32 v44, 0x70, v43
	v_cmp_eq_u32_e32 vcc_lo, 0, v43
	v_or_b32_e32 v45, 0x800000, v54
	v_cndmask_b32_e64 v44, 0, v44, s16
	v_cndmask_b32_e32 v54, v45, v54, vcc_lo
	v_cndmask_b32_e64 v44, v44, 0x6f, vcc_lo
	v_lshl_add_u32 v45, 0x200000, v44, -1
	v_lshlrev_b32_e64 v56, v44, 0x100000
	v_and_b32_e32 v45, v45, v54
	v_cmp_eq_u32_e64 s16, v45, v56
	v_lshrrev_b32_e32 v45, v44, v54
	v_add_nc_u32_e32 v54, 0xffffff91, v43
	v_lshrrev_b32_e32 v43, 23, v45
	v_cndmask_b32_e64 v54, v54, 0xffffff92, vcc_lo
	v_xor_b32_e32 v43, 1, v43
	v_add_nc_u32_e32 v54, v44, v54
	v_bfe_u32 v44, v45, 21, 1
	v_add_nc_u32_e32 v44, -1, v44
	v_cndmask_b32_e64 v44, 0, v44, s16
	s_mov_b32 s16, exec_lo
	v_add_nc_u32_e32 v44, v44, v45
	v_and_b32_e32 v44, 0x1fffff, v44
	v_add_nc_u32_e32 v44, v44, v45
                                        ; implicit-def: $vgpr45
	v_cmpx_ne_u32_e64 v54, v43
	s_xor_b32 s16, exec_lo, s16
; %bb.12074:                            ;   in Loop: Header=BB6_11223 Depth=3
	v_cmp_lt_u32_e32 vcc_lo, 0xffffff, v44
	v_sub_nc_u32_e32 v54, v54, v43
	v_cndmask_b32_e64 v43, 0, 1, vcc_lo
	v_add_co_ci_u32_e64 v45, null, 0, v54, vcc_lo
	v_lshrrev_b32_e32 v44, v43, v44
; %bb.12075:                            ;   in Loop: Header=BB6_11223 Depth=3
	s_andn2_saveexec_b32 s16, s16
; %bb.12076:                            ;   in Loop: Header=BB6_11223 Depth=3
	v_bfe_u32 v45, v44, 23, 1
; %bb.12077:                            ;   in Loop: Header=BB6_11223 Depth=3
	s_or_b32 exec_lo, exec_lo, s16
	v_and_b32_sdwa v54, v42, v117 dst_sel:DWORD dst_unused:UNUSED_PAD src0_sel:BYTE_3 src1_sel:DWORD
	v_lshrrev_b32_e32 v42, 21, v44
	v_cmp_gt_i32_e32 vcc_lo, 32, v45
	v_min_i32_e32 v43, 31, v45
	v_cndmask_b32_e32 v42, 3, v42, vcc_lo
	v_lshlrev_b32_e32 v43, 2, v43
	v_or_b32_e32 v44, v45, v42
	v_and_b32_e32 v42, 3, v42
	v_cmp_ne_u32_e32 vcc_lo, 0, v44
	v_or3_b32 v54, v43, v54, v42
	v_cndmask_b32_e32 v54, 0, v54, vcc_lo
.LBB6_12078:                            ;   in Loop: Header=BB6_11223 Depth=3
	s_or_b32 exec_lo, exec_lo, s23
.LBB6_12079:                            ;   in Loop: Header=BB6_11223 Depth=3
	s_or_b32 exec_lo, exec_lo, s19
	v_cmp_gt_i16_sdwa s16, v52, v116 src0_sel:BYTE_0 src1_sel:DWORD
	s_mov_b32 s19, 0
	s_and_saveexec_b32 s23, s16
	s_xor_b32 s16, exec_lo, s23
	s_cbranch_execz .LBB6_12461
; %bb.12080:                            ;   in Loop: Header=BB6_11223 Depth=3
	v_cmp_eq_u16_sdwa s72, v52, v117 src0_sel:BYTE_0 src1_sel:DWORD
	s_mov_b32 s19, -1
	s_and_saveexec_b32 s23, s72
; %bb.12081:                            ;   in Loop: Header=BB6_11223 Depth=3
	s_xor_b32 s19, exec_lo, -1
; %bb.12082:                            ;   in Loop: Header=BB6_11223 Depth=3
	s_or_b32 exec_lo, exec_lo, s23
	s_and_b32 s19, s19, exec_lo
	s_or_saveexec_b32 s16, s16
	v_mov_b32_e32 v42, 0x7f800001
	s_xor_b32 exec_lo, exec_lo, s16
	s_cbranch_execnz .LBB6_12462
.LBB6_12083:                            ;   in Loop: Header=BB6_11223 Depth=3
	s_or_b32 exec_lo, exec_lo, s16
	s_and_saveexec_b32 s16, s19
	s_cbranch_execz .LBB6_12085
.LBB6_12084:                            ;   in Loop: Header=BB6_11223 Depth=3
	v_and_b32_e32 v42, 3, v52
	v_lshrrev_b16 v44, 2, v52
	v_ffbh_u32_e32 v43, v42
	v_and_b32_e32 v44, 31, v44
	v_min_u32_e32 v43, 32, v43
	v_cmp_eq_u32_e32 vcc_lo, 0, v44
	v_subrev_nc_u32_e32 v45, 29, v43
	v_sub_nc_u32_e32 v43, 30, v43
	v_lshlrev_b32_e32 v45, v45, v52
	v_lshlrev_b32_e32 v52, 24, v52
	v_cndmask_b32_e32 v43, v44, v43, vcc_lo
	v_and_b32_e32 v45, 3, v45
	v_and_b32_e32 v52, 0x80000000, v52
	v_lshl_add_u32 v43, v43, 23, 0x37800000
	v_cndmask_b32_e32 v42, v42, v45, vcc_lo
	v_lshlrev_b32_e32 v42, 21, v42
	v_or3_b32 v42, v52, v43, v42
.LBB6_12085:                            ;   in Loop: Header=BB6_11223 Depth=3
	s_or_b32 exec_lo, exec_lo, s16
	s_waitcnt vmcnt(11) lgkmcnt(11)
	v_cmp_gt_i16_sdwa s19, v41, v116 src0_sel:BYTE_0 src1_sel:DWORD
	s_mov_b32 s16, 0
	s_and_saveexec_b32 s23, s19
	s_xor_b32 s19, exec_lo, s23
	s_cbranch_execz .LBB6_12463
; %bb.12086:                            ;   in Loop: Header=BB6_11223 Depth=3
	v_cmp_eq_u16_sdwa s72, v41, v117 src0_sel:BYTE_0 src1_sel:DWORD
	s_mov_b32 s16, -1
	s_and_saveexec_b32 s23, s72
; %bb.12087:                            ;   in Loop: Header=BB6_11223 Depth=3
	s_xor_b32 s16, exec_lo, -1
; %bb.12088:                            ;   in Loop: Header=BB6_11223 Depth=3
	s_or_b32 exec_lo, exec_lo, s23
	s_and_b32 s16, s16, exec_lo
	s_or_saveexec_b32 s19, s19
	v_mov_b32_e32 v52, 0x7f800001
	s_xor_b32 exec_lo, exec_lo, s19
	s_cbranch_execnz .LBB6_12464
.LBB6_12089:                            ;   in Loop: Header=BB6_11223 Depth=3
	s_or_b32 exec_lo, exec_lo, s19
	s_and_saveexec_b32 s19, s16
	s_cbranch_execz .LBB6_12091
.LBB6_12090:                            ;   in Loop: Header=BB6_11223 Depth=3
	v_and_b32_e32 v52, 3, v41
	v_lshrrev_b16 v44, 2, v41
	v_ffbh_u32_e32 v43, v52
	v_and_b32_e32 v44, 31, v44
	v_min_u32_e32 v43, 32, v43
	v_cmp_eq_u32_e32 vcc_lo, 0, v44
	v_subrev_nc_u32_e32 v45, 29, v43
	v_sub_nc_u32_e32 v43, 30, v43
	v_lshlrev_b32_e32 v45, v45, v41
	v_lshlrev_b32_e32 v41, 24, v41
	v_cndmask_b32_e32 v43, v44, v43, vcc_lo
	v_and_b32_e32 v45, 3, v45
	v_and_b32_e32 v41, 0x80000000, v41
	v_lshl_add_u32 v43, v43, 23, 0x37800000
	v_cndmask_b32_e32 v52, v52, v45, vcc_lo
	v_lshlrev_b32_e32 v52, 21, v52
	v_or3_b32 v52, v41, v43, v52
.LBB6_12091:                            ;   in Loop: Header=BB6_11223 Depth=3
	s_or_b32 exec_lo, exec_lo, s19
	v_add_f32_e32 v41, v42, v52
	v_and_b32_e32 v52, 0x7f800000, v41
	v_cmp_ne_u32_e32 vcc_lo, 0x7f800000, v52
	v_mov_b32_e32 v52, 0x80
	s_and_saveexec_b32 s19, vcc_lo
	s_cbranch_execz .LBB6_12099
; %bb.12092:                            ;   in Loop: Header=BB6_11223 Depth=3
	v_mov_b32_e32 v52, 0
	s_mov_b32 s23, exec_lo
	v_cmpx_ne_u32_e32 0, v41
	s_cbranch_execz .LBB6_12098
; %bb.12093:                            ;   in Loop: Header=BB6_11223 Depth=3
	v_bfe_u32 v42, v41, 23, 8
	v_and_b32_e32 v52, 0x7fffff, v41
	v_cmp_gt_u32_e64 s16, 0x71, v42
	v_sub_nc_u32_e32 v43, 0x70, v42
	v_cmp_eq_u32_e32 vcc_lo, 0, v42
	v_or_b32_e32 v44, 0x800000, v52
	v_cndmask_b32_e64 v43, 0, v43, s16
	v_cndmask_b32_e32 v52, v44, v52, vcc_lo
	v_cndmask_b32_e64 v43, v43, 0x6f, vcc_lo
	v_lshl_add_u32 v44, 0x200000, v43, -1
	v_lshlrev_b32_e64 v45, v43, 0x100000
	v_and_b32_e32 v44, v44, v52
	v_cmp_eq_u32_e64 s16, v44, v45
	v_lshrrev_b32_e32 v44, v43, v52
	v_add_nc_u32_e32 v52, 0xffffff91, v42
	v_lshrrev_b32_e32 v42, 23, v44
	v_cndmask_b32_e64 v52, v52, 0xffffff92, vcc_lo
	v_xor_b32_e32 v42, 1, v42
	v_add_nc_u32_e32 v52, v43, v52
	v_bfe_u32 v43, v44, 21, 1
	v_add_nc_u32_e32 v43, -1, v43
	v_cndmask_b32_e64 v43, 0, v43, s16
	s_mov_b32 s16, exec_lo
	v_add_nc_u32_e32 v43, v43, v44
	v_and_b32_e32 v43, 0x1fffff, v43
	v_add_nc_u32_e32 v43, v43, v44
                                        ; implicit-def: $vgpr44
	v_cmpx_ne_u32_e64 v52, v42
	s_xor_b32 s16, exec_lo, s16
; %bb.12094:                            ;   in Loop: Header=BB6_11223 Depth=3
	v_cmp_lt_u32_e32 vcc_lo, 0xffffff, v43
	v_sub_nc_u32_e32 v52, v52, v42
	v_cndmask_b32_e64 v42, 0, 1, vcc_lo
	v_add_co_ci_u32_e64 v44, null, 0, v52, vcc_lo
	v_lshrrev_b32_e32 v43, v42, v43
; %bb.12095:                            ;   in Loop: Header=BB6_11223 Depth=3
	s_andn2_saveexec_b32 s16, s16
; %bb.12096:                            ;   in Loop: Header=BB6_11223 Depth=3
	v_bfe_u32 v44, v43, 23, 1
; %bb.12097:                            ;   in Loop: Header=BB6_11223 Depth=3
	s_or_b32 exec_lo, exec_lo, s16
	v_and_b32_sdwa v52, v41, v117 dst_sel:DWORD dst_unused:UNUSED_PAD src0_sel:BYTE_3 src1_sel:DWORD
	v_lshrrev_b32_e32 v41, 21, v43
	v_cmp_gt_i32_e32 vcc_lo, 32, v44
	v_min_i32_e32 v42, 31, v44
	v_cndmask_b32_e32 v41, 3, v41, vcc_lo
	v_lshlrev_b32_e32 v42, 2, v42
	v_or_b32_e32 v43, v44, v41
	v_and_b32_e32 v41, 3, v41
	v_cmp_ne_u32_e32 vcc_lo, 0, v43
	v_or3_b32 v52, v42, v52, v41
	v_cndmask_b32_e32 v52, 0, v52, vcc_lo
.LBB6_12098:                            ;   in Loop: Header=BB6_11223 Depth=3
	s_or_b32 exec_lo, exec_lo, s23
.LBB6_12099:                            ;   in Loop: Header=BB6_11223 Depth=3
	s_or_b32 exec_lo, exec_lo, s19
	v_cmp_gt_i16_sdwa s16, v50, v116 src0_sel:BYTE_0 src1_sel:DWORD
	s_mov_b32 s19, 0
	s_and_saveexec_b32 s23, s16
	s_xor_b32 s16, exec_lo, s23
	s_cbranch_execz .LBB6_12465
; %bb.12100:                            ;   in Loop: Header=BB6_11223 Depth=3
	v_cmp_eq_u16_sdwa s72, v50, v117 src0_sel:BYTE_0 src1_sel:DWORD
	s_mov_b32 s19, -1
	s_and_saveexec_b32 s23, s72
; %bb.12101:                            ;   in Loop: Header=BB6_11223 Depth=3
	s_xor_b32 s19, exec_lo, -1
; %bb.12102:                            ;   in Loop: Header=BB6_11223 Depth=3
	s_or_b32 exec_lo, exec_lo, s23
	s_and_b32 s19, s19, exec_lo
	s_or_saveexec_b32 s16, s16
	v_mov_b32_e32 v41, 0x7f800001
	s_xor_b32 exec_lo, exec_lo, s16
	s_cbranch_execnz .LBB6_12466
.LBB6_12103:                            ;   in Loop: Header=BB6_11223 Depth=3
	s_or_b32 exec_lo, exec_lo, s16
	s_and_saveexec_b32 s16, s19
	s_cbranch_execz .LBB6_12105
.LBB6_12104:                            ;   in Loop: Header=BB6_11223 Depth=3
	v_and_b32_e32 v41, 3, v50
	v_lshrrev_b16 v43, 2, v50
	v_ffbh_u32_e32 v42, v41
	v_and_b32_e32 v43, 31, v43
	v_min_u32_e32 v42, 32, v42
	v_cmp_eq_u32_e32 vcc_lo, 0, v43
	v_subrev_nc_u32_e32 v44, 29, v42
	v_sub_nc_u32_e32 v42, 30, v42
	v_lshlrev_b32_e32 v44, v44, v50
	v_lshlrev_b32_e32 v50, 24, v50
	v_cndmask_b32_e32 v42, v43, v42, vcc_lo
	v_and_b32_e32 v44, 3, v44
	v_and_b32_e32 v50, 0x80000000, v50
	v_lshl_add_u32 v42, v42, 23, 0x37800000
	v_cndmask_b32_e32 v41, v41, v44, vcc_lo
	v_lshlrev_b32_e32 v41, 21, v41
	v_or3_b32 v41, v50, v42, v41
.LBB6_12105:                            ;   in Loop: Header=BB6_11223 Depth=3
	s_or_b32 exec_lo, exec_lo, s16
	s_waitcnt vmcnt(10) lgkmcnt(10)
	v_cmp_gt_i16_sdwa s19, v115, v116 src0_sel:BYTE_0 src1_sel:DWORD
	s_mov_b32 s16, 0
	s_and_saveexec_b32 s23, s19
	s_xor_b32 s19, exec_lo, s23
	s_cbranch_execz .LBB6_12467
; %bb.12106:                            ;   in Loop: Header=BB6_11223 Depth=3
	v_cmp_eq_u16_sdwa s72, v115, v117 src0_sel:BYTE_0 src1_sel:DWORD
	s_mov_b32 s16, -1
	s_and_saveexec_b32 s23, s72
; %bb.12107:                            ;   in Loop: Header=BB6_11223 Depth=3
	s_xor_b32 s16, exec_lo, -1
; %bb.12108:                            ;   in Loop: Header=BB6_11223 Depth=3
	s_or_b32 exec_lo, exec_lo, s23
	s_and_b32 s16, s16, exec_lo
	s_or_saveexec_b32 s19, s19
	v_mov_b32_e32 v50, 0x7f800001
	s_xor_b32 exec_lo, exec_lo, s19
	s_cbranch_execnz .LBB6_12468
.LBB6_12109:                            ;   in Loop: Header=BB6_11223 Depth=3
	s_or_b32 exec_lo, exec_lo, s19
	s_and_saveexec_b32 s19, s16
	s_cbranch_execz .LBB6_12111
.LBB6_12110:                            ;   in Loop: Header=BB6_11223 Depth=3
	v_and_b32_e32 v50, 3, v115
	v_lshrrev_b16 v43, 2, v115
	v_ffbh_u32_e32 v42, v50
	v_and_b32_e32 v43, 31, v43
	v_min_u32_e32 v42, 32, v42
	v_cmp_eq_u32_e32 vcc_lo, 0, v43
	v_subrev_nc_u32_e32 v44, 29, v42
	v_sub_nc_u32_e32 v42, 30, v42
	v_lshlrev_b32_e32 v44, v44, v115
	v_lshlrev_b32_e32 v115, 24, v115
	v_cndmask_b32_e32 v42, v43, v42, vcc_lo
	v_and_b32_e32 v44, 3, v44
	v_and_b32_e32 v115, 0x80000000, v115
	v_lshl_add_u32 v42, v42, 23, 0x37800000
	v_cndmask_b32_e32 v50, v50, v44, vcc_lo
	v_lshlrev_b32_e32 v50, 21, v50
	v_or3_b32 v50, v115, v42, v50
.LBB6_12111:                            ;   in Loop: Header=BB6_11223 Depth=3
	s_or_b32 exec_lo, exec_lo, s19
	v_add_f32_e32 v115, v41, v50
	v_and_b32_e32 v50, 0x7f800000, v115
	v_cmp_ne_u32_e32 vcc_lo, 0x7f800000, v50
	v_mov_b32_e32 v50, 0x80
	s_and_saveexec_b32 s19, vcc_lo
	s_cbranch_execz .LBB6_12119
; %bb.12112:                            ;   in Loop: Header=BB6_11223 Depth=3
	v_mov_b32_e32 v50, 0
	s_mov_b32 s23, exec_lo
	v_cmpx_ne_u32_e32 0, v115
	s_cbranch_execz .LBB6_12118
; %bb.12113:                            ;   in Loop: Header=BB6_11223 Depth=3
	v_bfe_u32 v41, v115, 23, 8
	v_and_b32_e32 v50, 0x7fffff, v115
	v_cmp_gt_u32_e64 s16, 0x71, v41
	v_sub_nc_u32_e32 v42, 0x70, v41
	v_cmp_eq_u32_e32 vcc_lo, 0, v41
	v_or_b32_e32 v43, 0x800000, v50
	v_cndmask_b32_e64 v42, 0, v42, s16
	v_cndmask_b32_e32 v50, v43, v50, vcc_lo
	v_cndmask_b32_e64 v42, v42, 0x6f, vcc_lo
	v_lshl_add_u32 v43, 0x200000, v42, -1
	v_lshlrev_b32_e64 v44, v42, 0x100000
	v_and_b32_e32 v43, v43, v50
	v_cmp_eq_u32_e64 s16, v43, v44
	v_lshrrev_b32_e32 v43, v42, v50
	v_add_nc_u32_e32 v50, 0xffffff91, v41
	v_lshrrev_b32_e32 v41, 23, v43
	v_cndmask_b32_e64 v50, v50, 0xffffff92, vcc_lo
	v_xor_b32_e32 v41, 1, v41
	v_add_nc_u32_e32 v50, v42, v50
	v_bfe_u32 v42, v43, 21, 1
	v_add_nc_u32_e32 v42, -1, v42
	v_cndmask_b32_e64 v42, 0, v42, s16
	s_mov_b32 s16, exec_lo
	v_add_nc_u32_e32 v42, v42, v43
	v_and_b32_e32 v42, 0x1fffff, v42
	v_add_nc_u32_e32 v42, v42, v43
                                        ; implicit-def: $vgpr43
	v_cmpx_ne_u32_e64 v50, v41
	s_xor_b32 s16, exec_lo, s16
; %bb.12114:                            ;   in Loop: Header=BB6_11223 Depth=3
	v_cmp_lt_u32_e32 vcc_lo, 0xffffff, v42
	v_sub_nc_u32_e32 v50, v50, v41
	v_cndmask_b32_e64 v41, 0, 1, vcc_lo
	v_add_co_ci_u32_e64 v43, null, 0, v50, vcc_lo
	v_lshrrev_b32_e32 v42, v41, v42
; %bb.12115:                            ;   in Loop: Header=BB6_11223 Depth=3
	s_andn2_saveexec_b32 s16, s16
; %bb.12116:                            ;   in Loop: Header=BB6_11223 Depth=3
	v_bfe_u32 v43, v42, 23, 1
; %bb.12117:                            ;   in Loop: Header=BB6_11223 Depth=3
	s_or_b32 exec_lo, exec_lo, s16
	v_and_b32_sdwa v50, v115, v117 dst_sel:DWORD dst_unused:UNUSED_PAD src0_sel:BYTE_3 src1_sel:DWORD
	v_lshrrev_b32_e32 v115, 21, v42
	v_cmp_gt_i32_e32 vcc_lo, 32, v43
	v_min_i32_e32 v41, 31, v43
	v_cndmask_b32_e32 v115, 3, v115, vcc_lo
	v_lshlrev_b32_e32 v41, 2, v41
	v_or_b32_e32 v42, v43, v115
	v_and_b32_e32 v115, 3, v115
	v_cmp_ne_u32_e32 vcc_lo, 0, v42
	v_or3_b32 v50, v41, v50, v115
	v_cndmask_b32_e32 v50, 0, v50, vcc_lo
.LBB6_12118:                            ;   in Loop: Header=BB6_11223 Depth=3
	s_or_b32 exec_lo, exec_lo, s23
.LBB6_12119:                            ;   in Loop: Header=BB6_11223 Depth=3
	s_or_b32 exec_lo, exec_lo, s19
	v_cmp_gt_i16_sdwa s16, v36, v116 src0_sel:BYTE_0 src1_sel:DWORD
	s_mov_b32 s19, 0
	s_and_saveexec_b32 s23, s16
	s_xor_b32 s16, exec_lo, s23
	s_cbranch_execz .LBB6_12469
; %bb.12120:                            ;   in Loop: Header=BB6_11223 Depth=3
	v_cmp_eq_u16_sdwa s72, v36, v117 src0_sel:BYTE_0 src1_sel:DWORD
	s_mov_b32 s19, -1
	s_and_saveexec_b32 s23, s72
; %bb.12121:                            ;   in Loop: Header=BB6_11223 Depth=3
	s_xor_b32 s19, exec_lo, -1
; %bb.12122:                            ;   in Loop: Header=BB6_11223 Depth=3
	s_or_b32 exec_lo, exec_lo, s23
	s_and_b32 s19, s19, exec_lo
	s_or_saveexec_b32 s16, s16
	v_mov_b32_e32 v115, 0x7f800001
	s_xor_b32 exec_lo, exec_lo, s16
	s_cbranch_execnz .LBB6_12470
.LBB6_12123:                            ;   in Loop: Header=BB6_11223 Depth=3
	s_or_b32 exec_lo, exec_lo, s16
	s_and_saveexec_b32 s16, s19
	s_cbranch_execz .LBB6_12125
.LBB6_12124:                            ;   in Loop: Header=BB6_11223 Depth=3
	v_and_b32_e32 v115, 3, v36
	v_lshrrev_b16 v42, 2, v36
	v_ffbh_u32_e32 v41, v115
	v_and_b32_e32 v42, 31, v42
	v_min_u32_e32 v41, 32, v41
	v_cmp_eq_u32_e32 vcc_lo, 0, v42
	v_subrev_nc_u32_e32 v43, 29, v41
	v_sub_nc_u32_e32 v41, 30, v41
	v_lshlrev_b32_e32 v43, v43, v36
	v_lshlrev_b32_e32 v36, 24, v36
	v_cndmask_b32_e32 v41, v42, v41, vcc_lo
	v_and_b32_e32 v43, 3, v43
	v_and_b32_e32 v36, 0x80000000, v36
	v_lshl_add_u32 v41, v41, 23, 0x37800000
	v_cndmask_b32_e32 v115, v115, v43, vcc_lo
	v_lshlrev_b32_e32 v115, 21, v115
	v_or3_b32 v115, v36, v41, v115
.LBB6_12125:                            ;   in Loop: Header=BB6_11223 Depth=3
	s_or_b32 exec_lo, exec_lo, s16
	s_waitcnt vmcnt(9) lgkmcnt(9)
	v_cmp_gt_i16_sdwa s19, v112, v116 src0_sel:BYTE_0 src1_sel:DWORD
	s_mov_b32 s16, 0
	s_and_saveexec_b32 s23, s19
	s_xor_b32 s19, exec_lo, s23
	s_cbranch_execz .LBB6_12471
; %bb.12126:                            ;   in Loop: Header=BB6_11223 Depth=3
	v_cmp_eq_u16_sdwa s72, v112, v117 src0_sel:BYTE_0 src1_sel:DWORD
	s_mov_b32 s16, -1
	s_and_saveexec_b32 s23, s72
; %bb.12127:                            ;   in Loop: Header=BB6_11223 Depth=3
	s_xor_b32 s16, exec_lo, -1
; %bb.12128:                            ;   in Loop: Header=BB6_11223 Depth=3
	s_or_b32 exec_lo, exec_lo, s23
	s_and_b32 s16, s16, exec_lo
	s_or_saveexec_b32 s19, s19
	v_mov_b32_e32 v36, 0x7f800001
	s_xor_b32 exec_lo, exec_lo, s19
	s_cbranch_execnz .LBB6_12472
.LBB6_12129:                            ;   in Loop: Header=BB6_11223 Depth=3
	s_or_b32 exec_lo, exec_lo, s19
	s_and_saveexec_b32 s19, s16
	s_cbranch_execz .LBB6_12131
.LBB6_12130:                            ;   in Loop: Header=BB6_11223 Depth=3
	v_and_b32_e32 v36, 3, v112
	v_lshrrev_b16 v42, 2, v112
	v_ffbh_u32_e32 v41, v36
	v_and_b32_e32 v42, 31, v42
	v_min_u32_e32 v41, 32, v41
	v_cmp_eq_u32_e32 vcc_lo, 0, v42
	v_subrev_nc_u32_e32 v43, 29, v41
	v_sub_nc_u32_e32 v41, 30, v41
	v_lshlrev_b32_e32 v43, v43, v112
	v_lshlrev_b32_e32 v112, 24, v112
	v_cndmask_b32_e32 v41, v42, v41, vcc_lo
	v_and_b32_e32 v43, 3, v43
	v_and_b32_e32 v112, 0x80000000, v112
	v_lshl_add_u32 v41, v41, 23, 0x37800000
	v_cndmask_b32_e32 v36, v36, v43, vcc_lo
	v_lshlrev_b32_e32 v36, 21, v36
	v_or3_b32 v36, v112, v41, v36
.LBB6_12131:                            ;   in Loop: Header=BB6_11223 Depth=3
	s_or_b32 exec_lo, exec_lo, s19
	v_add_f32_e32 v112, v115, v36
	v_and_b32_e32 v36, 0x7f800000, v112
	v_cmp_ne_u32_e32 vcc_lo, 0x7f800000, v36
	v_mov_b32_e32 v36, 0x80
	s_and_saveexec_b32 s19, vcc_lo
	s_cbranch_execz .LBB6_12139
; %bb.12132:                            ;   in Loop: Header=BB6_11223 Depth=3
	v_mov_b32_e32 v36, 0
	s_mov_b32 s23, exec_lo
	v_cmpx_ne_u32_e32 0, v112
	s_cbranch_execz .LBB6_12138
; %bb.12133:                            ;   in Loop: Header=BB6_11223 Depth=3
	v_bfe_u32 v115, v112, 23, 8
	v_and_b32_e32 v36, 0x7fffff, v112
	v_cmp_gt_u32_e64 s16, 0x71, v115
	v_sub_nc_u32_e32 v41, 0x70, v115
	v_cmp_eq_u32_e32 vcc_lo, 0, v115
	v_or_b32_e32 v42, 0x800000, v36
	v_cndmask_b32_e64 v41, 0, v41, s16
	v_cndmask_b32_e32 v36, v42, v36, vcc_lo
	v_cndmask_b32_e64 v41, v41, 0x6f, vcc_lo
	v_lshl_add_u32 v42, 0x200000, v41, -1
	v_lshlrev_b32_e64 v43, v41, 0x100000
	v_and_b32_e32 v42, v42, v36
	v_cmp_eq_u32_e64 s16, v42, v43
	v_lshrrev_b32_e32 v42, v41, v36
	v_add_nc_u32_e32 v36, 0xffffff91, v115
	v_lshrrev_b32_e32 v115, 23, v42
	v_cndmask_b32_e64 v36, v36, 0xffffff92, vcc_lo
	v_xor_b32_e32 v115, 1, v115
	v_add_nc_u32_e32 v36, v41, v36
	v_bfe_u32 v41, v42, 21, 1
	v_add_nc_u32_e32 v41, -1, v41
	v_cndmask_b32_e64 v41, 0, v41, s16
	s_mov_b32 s16, exec_lo
	v_add_nc_u32_e32 v41, v41, v42
	v_and_b32_e32 v41, 0x1fffff, v41
	v_add_nc_u32_e32 v41, v41, v42
                                        ; implicit-def: $vgpr42
	v_cmpx_ne_u32_e64 v36, v115
	s_xor_b32 s16, exec_lo, s16
; %bb.12134:                            ;   in Loop: Header=BB6_11223 Depth=3
	v_cmp_lt_u32_e32 vcc_lo, 0xffffff, v41
	v_sub_nc_u32_e32 v36, v36, v115
	v_cndmask_b32_e64 v115, 0, 1, vcc_lo
	v_add_co_ci_u32_e64 v42, null, 0, v36, vcc_lo
	v_lshrrev_b32_e32 v41, v115, v41
; %bb.12135:                            ;   in Loop: Header=BB6_11223 Depth=3
	s_andn2_saveexec_b32 s16, s16
; %bb.12136:                            ;   in Loop: Header=BB6_11223 Depth=3
	v_bfe_u32 v42, v41, 23, 1
; %bb.12137:                            ;   in Loop: Header=BB6_11223 Depth=3
	s_or_b32 exec_lo, exec_lo, s16
	v_and_b32_sdwa v36, v112, v117 dst_sel:DWORD dst_unused:UNUSED_PAD src0_sel:BYTE_3 src1_sel:DWORD
	v_lshrrev_b32_e32 v112, 21, v41
	v_cmp_gt_i32_e32 vcc_lo, 32, v42
	v_min_i32_e32 v115, 31, v42
	v_cndmask_b32_e32 v112, 3, v112, vcc_lo
	v_lshlrev_b32_e32 v115, 2, v115
	v_or_b32_e32 v41, v42, v112
	v_and_b32_e32 v112, 3, v112
	v_cmp_ne_u32_e32 vcc_lo, 0, v41
	v_or3_b32 v36, v115, v36, v112
	v_cndmask_b32_e32 v36, 0, v36, vcc_lo
.LBB6_12138:                            ;   in Loop: Header=BB6_11223 Depth=3
	s_or_b32 exec_lo, exec_lo, s23
.LBB6_12139:                            ;   in Loop: Header=BB6_11223 Depth=3
	s_or_b32 exec_lo, exec_lo, s19
	v_cmp_gt_i16_sdwa s16, v30, v116 src0_sel:BYTE_0 src1_sel:DWORD
	s_mov_b32 s19, 0
	s_and_saveexec_b32 s23, s16
	s_xor_b32 s16, exec_lo, s23
	s_cbranch_execz .LBB6_12473
; %bb.12140:                            ;   in Loop: Header=BB6_11223 Depth=3
	v_cmp_eq_u16_sdwa s72, v30, v117 src0_sel:BYTE_0 src1_sel:DWORD
	s_mov_b32 s19, -1
	s_and_saveexec_b32 s23, s72
; %bb.12141:                            ;   in Loop: Header=BB6_11223 Depth=3
	s_xor_b32 s19, exec_lo, -1
; %bb.12142:                            ;   in Loop: Header=BB6_11223 Depth=3
	s_or_b32 exec_lo, exec_lo, s23
	s_and_b32 s19, s19, exec_lo
	s_or_saveexec_b32 s16, s16
	v_mov_b32_e32 v112, 0x7f800001
	s_xor_b32 exec_lo, exec_lo, s16
	s_cbranch_execnz .LBB6_12474
.LBB6_12143:                            ;   in Loop: Header=BB6_11223 Depth=3
	s_or_b32 exec_lo, exec_lo, s16
	s_and_saveexec_b32 s16, s19
	s_cbranch_execz .LBB6_12145
.LBB6_12144:                            ;   in Loop: Header=BB6_11223 Depth=3
	v_and_b32_e32 v112, 3, v30
	v_lshrrev_b16 v41, 2, v30
	v_ffbh_u32_e32 v115, v112
	v_and_b32_e32 v41, 31, v41
	v_min_u32_e32 v115, 32, v115
	v_cmp_eq_u32_e32 vcc_lo, 0, v41
	v_subrev_nc_u32_e32 v42, 29, v115
	v_sub_nc_u32_e32 v115, 30, v115
	v_lshlrev_b32_e32 v42, v42, v30
	v_lshlrev_b32_e32 v30, 24, v30
	v_cndmask_b32_e32 v115, v41, v115, vcc_lo
	v_and_b32_e32 v42, 3, v42
	v_and_b32_e32 v30, 0x80000000, v30
	v_lshl_add_u32 v115, v115, 23, 0x37800000
	v_cndmask_b32_e32 v112, v112, v42, vcc_lo
	v_lshlrev_b32_e32 v112, 21, v112
	v_or3_b32 v112, v30, v115, v112
.LBB6_12145:                            ;   in Loop: Header=BB6_11223 Depth=3
	s_or_b32 exec_lo, exec_lo, s16
	s_waitcnt vmcnt(8) lgkmcnt(8)
	v_cmp_gt_i16_sdwa s19, v98, v116 src0_sel:BYTE_0 src1_sel:DWORD
	s_mov_b32 s16, 0
	s_and_saveexec_b32 s23, s19
	s_xor_b32 s19, exec_lo, s23
	s_cbranch_execz .LBB6_12475
; %bb.12146:                            ;   in Loop: Header=BB6_11223 Depth=3
	v_cmp_eq_u16_sdwa s72, v98, v117 src0_sel:BYTE_0 src1_sel:DWORD
	s_mov_b32 s16, -1
	s_and_saveexec_b32 s23, s72
; %bb.12147:                            ;   in Loop: Header=BB6_11223 Depth=3
	s_xor_b32 s16, exec_lo, -1
; %bb.12148:                            ;   in Loop: Header=BB6_11223 Depth=3
	s_or_b32 exec_lo, exec_lo, s23
	s_and_b32 s16, s16, exec_lo
	s_or_saveexec_b32 s19, s19
	v_mov_b32_e32 v30, 0x7f800001
	s_xor_b32 exec_lo, exec_lo, s19
	s_cbranch_execnz .LBB6_12476
.LBB6_12149:                            ;   in Loop: Header=BB6_11223 Depth=3
	s_or_b32 exec_lo, exec_lo, s19
	s_and_saveexec_b32 s19, s16
	s_cbranch_execz .LBB6_12151
.LBB6_12150:                            ;   in Loop: Header=BB6_11223 Depth=3
	v_and_b32_e32 v30, 3, v98
	v_lshrrev_b16 v41, 2, v98
	v_ffbh_u32_e32 v115, v30
	v_and_b32_e32 v41, 31, v41
	v_min_u32_e32 v115, 32, v115
	v_cmp_eq_u32_e32 vcc_lo, 0, v41
	v_subrev_nc_u32_e32 v42, 29, v115
	v_sub_nc_u32_e32 v115, 30, v115
	v_lshlrev_b32_e32 v42, v42, v98
	v_lshlrev_b32_e32 v98, 24, v98
	v_cndmask_b32_e32 v115, v41, v115, vcc_lo
	v_and_b32_e32 v42, 3, v42
	v_and_b32_e32 v98, 0x80000000, v98
	v_lshl_add_u32 v115, v115, 23, 0x37800000
	v_cndmask_b32_e32 v30, v30, v42, vcc_lo
	v_lshlrev_b32_e32 v30, 21, v30
	v_or3_b32 v30, v98, v115, v30
.LBB6_12151:                            ;   in Loop: Header=BB6_11223 Depth=3
	s_or_b32 exec_lo, exec_lo, s19
	v_add_f32_e32 v98, v112, v30
	v_and_b32_e32 v30, 0x7f800000, v98
	v_cmp_ne_u32_e32 vcc_lo, 0x7f800000, v30
	v_mov_b32_e32 v30, 0x80
	s_and_saveexec_b32 s19, vcc_lo
	s_cbranch_execz .LBB6_12159
; %bb.12152:                            ;   in Loop: Header=BB6_11223 Depth=3
	v_mov_b32_e32 v30, 0
	s_mov_b32 s23, exec_lo
	v_cmpx_ne_u32_e32 0, v98
	s_cbranch_execz .LBB6_12158
; %bb.12153:                            ;   in Loop: Header=BB6_11223 Depth=3
	v_bfe_u32 v112, v98, 23, 8
	v_and_b32_e32 v30, 0x7fffff, v98
	v_cmp_gt_u32_e64 s16, 0x71, v112
	v_sub_nc_u32_e32 v115, 0x70, v112
	v_cmp_eq_u32_e32 vcc_lo, 0, v112
	v_or_b32_e32 v41, 0x800000, v30
	v_cndmask_b32_e64 v115, 0, v115, s16
	v_cndmask_b32_e32 v30, v41, v30, vcc_lo
	v_cndmask_b32_e64 v115, v115, 0x6f, vcc_lo
	v_lshl_add_u32 v41, 0x200000, v115, -1
	v_lshlrev_b32_e64 v42, v115, 0x100000
	v_and_b32_e32 v41, v41, v30
	v_cmp_eq_u32_e64 s16, v41, v42
	v_lshrrev_b32_e32 v41, v115, v30
	v_add_nc_u32_e32 v30, 0xffffff91, v112
	v_lshrrev_b32_e32 v112, 23, v41
	v_cndmask_b32_e64 v30, v30, 0xffffff92, vcc_lo
	v_xor_b32_e32 v112, 1, v112
	v_add_nc_u32_e32 v30, v115, v30
	v_bfe_u32 v115, v41, 21, 1
	v_add_nc_u32_e32 v115, -1, v115
	v_cndmask_b32_e64 v115, 0, v115, s16
	s_mov_b32 s16, exec_lo
	v_add_nc_u32_e32 v115, v115, v41
	v_and_b32_e32 v115, 0x1fffff, v115
	v_add_nc_u32_e32 v115, v115, v41
                                        ; implicit-def: $vgpr41
	v_cmpx_ne_u32_e64 v30, v112
	s_xor_b32 s16, exec_lo, s16
; %bb.12154:                            ;   in Loop: Header=BB6_11223 Depth=3
	v_cmp_lt_u32_e32 vcc_lo, 0xffffff, v115
	v_sub_nc_u32_e32 v30, v30, v112
	v_cndmask_b32_e64 v112, 0, 1, vcc_lo
	v_add_co_ci_u32_e64 v41, null, 0, v30, vcc_lo
	v_lshrrev_b32_e32 v115, v112, v115
; %bb.12155:                            ;   in Loop: Header=BB6_11223 Depth=3
	s_andn2_saveexec_b32 s16, s16
; %bb.12156:                            ;   in Loop: Header=BB6_11223 Depth=3
	v_bfe_u32 v41, v115, 23, 1
; %bb.12157:                            ;   in Loop: Header=BB6_11223 Depth=3
	s_or_b32 exec_lo, exec_lo, s16
	v_and_b32_sdwa v30, v98, v117 dst_sel:DWORD dst_unused:UNUSED_PAD src0_sel:BYTE_3 src1_sel:DWORD
	v_lshrrev_b32_e32 v98, 21, v115
	v_cmp_gt_i32_e32 vcc_lo, 32, v41
	v_min_i32_e32 v112, 31, v41
	v_cndmask_b32_e32 v98, 3, v98, vcc_lo
	v_lshlrev_b32_e32 v112, 2, v112
	v_or_b32_e32 v115, v41, v98
	v_and_b32_e32 v98, 3, v98
	v_cmp_ne_u32_e32 vcc_lo, 0, v115
	v_or3_b32 v30, v112, v30, v98
	v_cndmask_b32_e32 v30, 0, v30, vcc_lo
.LBB6_12158:                            ;   in Loop: Header=BB6_11223 Depth=3
	s_or_b32 exec_lo, exec_lo, s23
.LBB6_12159:                            ;   in Loop: Header=BB6_11223 Depth=3
	s_or_b32 exec_lo, exec_lo, s19
	v_cmp_gt_i16_sdwa s16, v29, v116 src0_sel:BYTE_0 src1_sel:DWORD
	s_mov_b32 s19, 0
	s_and_saveexec_b32 s23, s16
	s_xor_b32 s16, exec_lo, s23
	s_cbranch_execz .LBB6_12477
; %bb.12160:                            ;   in Loop: Header=BB6_11223 Depth=3
	v_cmp_eq_u16_sdwa s72, v29, v117 src0_sel:BYTE_0 src1_sel:DWORD
	s_mov_b32 s19, -1
	s_and_saveexec_b32 s23, s72
; %bb.12161:                            ;   in Loop: Header=BB6_11223 Depth=3
	s_xor_b32 s19, exec_lo, -1
; %bb.12162:                            ;   in Loop: Header=BB6_11223 Depth=3
	s_or_b32 exec_lo, exec_lo, s23
	s_and_b32 s19, s19, exec_lo
	s_or_saveexec_b32 s16, s16
	v_mov_b32_e32 v98, 0x7f800001
	s_xor_b32 exec_lo, exec_lo, s16
	s_cbranch_execnz .LBB6_12478
.LBB6_12163:                            ;   in Loop: Header=BB6_11223 Depth=3
	s_or_b32 exec_lo, exec_lo, s16
	s_and_saveexec_b32 s16, s19
	s_cbranch_execz .LBB6_12165
.LBB6_12164:                            ;   in Loop: Header=BB6_11223 Depth=3
	v_and_b32_e32 v98, 3, v29
	v_lshrrev_b16 v115, 2, v29
	v_ffbh_u32_e32 v112, v98
	v_and_b32_e32 v115, 31, v115
	v_min_u32_e32 v112, 32, v112
	v_cmp_eq_u32_e32 vcc_lo, 0, v115
	v_subrev_nc_u32_e32 v41, 29, v112
	v_sub_nc_u32_e32 v112, 30, v112
	v_lshlrev_b32_e32 v41, v41, v29
	v_lshlrev_b32_e32 v29, 24, v29
	v_cndmask_b32_e32 v112, v115, v112, vcc_lo
	v_and_b32_e32 v41, 3, v41
	v_and_b32_e32 v29, 0x80000000, v29
	v_lshl_add_u32 v112, v112, 23, 0x37800000
	v_cndmask_b32_e32 v98, v98, v41, vcc_lo
	v_lshlrev_b32_e32 v98, 21, v98
	v_or3_b32 v98, v29, v112, v98
.LBB6_12165:                            ;   in Loop: Header=BB6_11223 Depth=3
	s_or_b32 exec_lo, exec_lo, s16
	s_waitcnt vmcnt(7) lgkmcnt(7)
	v_cmp_gt_i16_sdwa s19, v86, v116 src0_sel:BYTE_0 src1_sel:DWORD
	s_mov_b32 s16, 0
	s_and_saveexec_b32 s23, s19
	s_xor_b32 s19, exec_lo, s23
	s_cbranch_execz .LBB6_12479
; %bb.12166:                            ;   in Loop: Header=BB6_11223 Depth=3
	v_cmp_eq_u16_sdwa s72, v86, v117 src0_sel:BYTE_0 src1_sel:DWORD
	s_mov_b32 s16, -1
	s_and_saveexec_b32 s23, s72
; %bb.12167:                            ;   in Loop: Header=BB6_11223 Depth=3
	s_xor_b32 s16, exec_lo, -1
; %bb.12168:                            ;   in Loop: Header=BB6_11223 Depth=3
	s_or_b32 exec_lo, exec_lo, s23
	s_and_b32 s16, s16, exec_lo
	s_or_saveexec_b32 s19, s19
	v_mov_b32_e32 v29, 0x7f800001
	s_xor_b32 exec_lo, exec_lo, s19
	s_cbranch_execnz .LBB6_12480
.LBB6_12169:                            ;   in Loop: Header=BB6_11223 Depth=3
	s_or_b32 exec_lo, exec_lo, s19
	s_and_saveexec_b32 s19, s16
	s_cbranch_execz .LBB6_12171
.LBB6_12170:                            ;   in Loop: Header=BB6_11223 Depth=3
	v_and_b32_e32 v29, 3, v86
	v_lshrrev_b16 v115, 2, v86
	v_ffbh_u32_e32 v112, v29
	v_and_b32_e32 v115, 31, v115
	v_min_u32_e32 v112, 32, v112
	v_cmp_eq_u32_e32 vcc_lo, 0, v115
	v_subrev_nc_u32_e32 v41, 29, v112
	v_sub_nc_u32_e32 v112, 30, v112
	v_lshlrev_b32_e32 v41, v41, v86
	v_lshlrev_b32_e32 v86, 24, v86
	v_cndmask_b32_e32 v112, v115, v112, vcc_lo
	v_and_b32_e32 v41, 3, v41
	v_and_b32_e32 v86, 0x80000000, v86
	v_lshl_add_u32 v112, v112, 23, 0x37800000
	v_cndmask_b32_e32 v29, v29, v41, vcc_lo
	v_lshlrev_b32_e32 v29, 21, v29
	v_or3_b32 v29, v86, v112, v29
.LBB6_12171:                            ;   in Loop: Header=BB6_11223 Depth=3
	s_or_b32 exec_lo, exec_lo, s19
	v_add_f32_e32 v86, v98, v29
	v_and_b32_e32 v29, 0x7f800000, v86
	v_cmp_ne_u32_e32 vcc_lo, 0x7f800000, v29
	v_mov_b32_e32 v29, 0x80
	s_and_saveexec_b32 s19, vcc_lo
	s_cbranch_execz .LBB6_12179
; %bb.12172:                            ;   in Loop: Header=BB6_11223 Depth=3
	v_mov_b32_e32 v29, 0
	s_mov_b32 s23, exec_lo
	v_cmpx_ne_u32_e32 0, v86
	s_cbranch_execz .LBB6_12178
; %bb.12173:                            ;   in Loop: Header=BB6_11223 Depth=3
	v_bfe_u32 v98, v86, 23, 8
	v_and_b32_e32 v29, 0x7fffff, v86
	v_cmp_gt_u32_e64 s16, 0x71, v98
	v_sub_nc_u32_e32 v112, 0x70, v98
	v_cmp_eq_u32_e32 vcc_lo, 0, v98
	v_or_b32_e32 v115, 0x800000, v29
	v_cndmask_b32_e64 v112, 0, v112, s16
	v_cndmask_b32_e32 v29, v115, v29, vcc_lo
	v_cndmask_b32_e64 v112, v112, 0x6f, vcc_lo
	v_lshl_add_u32 v115, 0x200000, v112, -1
	v_lshlrev_b32_e64 v41, v112, 0x100000
	v_and_b32_e32 v115, v115, v29
	v_cmp_eq_u32_e64 s16, v115, v41
	v_lshrrev_b32_e32 v115, v112, v29
	v_add_nc_u32_e32 v29, 0xffffff91, v98
	v_lshrrev_b32_e32 v98, 23, v115
	v_cndmask_b32_e64 v29, v29, 0xffffff92, vcc_lo
	v_xor_b32_e32 v98, 1, v98
	v_add_nc_u32_e32 v29, v112, v29
	v_bfe_u32 v112, v115, 21, 1
	v_add_nc_u32_e32 v112, -1, v112
	v_cndmask_b32_e64 v112, 0, v112, s16
	s_mov_b32 s16, exec_lo
	v_add_nc_u32_e32 v112, v112, v115
	v_and_b32_e32 v112, 0x1fffff, v112
	v_add_nc_u32_e32 v112, v112, v115
                                        ; implicit-def: $vgpr115
	v_cmpx_ne_u32_e64 v29, v98
	s_xor_b32 s16, exec_lo, s16
; %bb.12174:                            ;   in Loop: Header=BB6_11223 Depth=3
	v_cmp_lt_u32_e32 vcc_lo, 0xffffff, v112
	v_sub_nc_u32_e32 v29, v29, v98
	v_cndmask_b32_e64 v98, 0, 1, vcc_lo
	v_add_co_ci_u32_e64 v115, null, 0, v29, vcc_lo
	v_lshrrev_b32_e32 v112, v98, v112
; %bb.12175:                            ;   in Loop: Header=BB6_11223 Depth=3
	s_andn2_saveexec_b32 s16, s16
; %bb.12176:                            ;   in Loop: Header=BB6_11223 Depth=3
	v_bfe_u32 v115, v112, 23, 1
; %bb.12177:                            ;   in Loop: Header=BB6_11223 Depth=3
	s_or_b32 exec_lo, exec_lo, s16
	v_and_b32_sdwa v29, v86, v117 dst_sel:DWORD dst_unused:UNUSED_PAD src0_sel:BYTE_3 src1_sel:DWORD
	v_lshrrev_b32_e32 v86, 21, v112
	v_cmp_gt_i32_e32 vcc_lo, 32, v115
	v_min_i32_e32 v98, 31, v115
	v_cndmask_b32_e32 v86, 3, v86, vcc_lo
	v_lshlrev_b32_e32 v98, 2, v98
	v_or_b32_e32 v112, v115, v86
	v_and_b32_e32 v86, 3, v86
	v_cmp_ne_u32_e32 vcc_lo, 0, v112
	v_or3_b32 v29, v98, v29, v86
	v_cndmask_b32_e32 v29, 0, v29, vcc_lo
.LBB6_12178:                            ;   in Loop: Header=BB6_11223 Depth=3
	s_or_b32 exec_lo, exec_lo, s23
.LBB6_12179:                            ;   in Loop: Header=BB6_11223 Depth=3
	s_or_b32 exec_lo, exec_lo, s19
	v_cmp_gt_i16_sdwa s16, v26, v116 src0_sel:BYTE_0 src1_sel:DWORD
	s_mov_b32 s19, 0
	s_and_saveexec_b32 s23, s16
	s_xor_b32 s16, exec_lo, s23
	s_cbranch_execz .LBB6_12481
; %bb.12180:                            ;   in Loop: Header=BB6_11223 Depth=3
	v_cmp_eq_u16_sdwa s72, v26, v117 src0_sel:BYTE_0 src1_sel:DWORD
	s_mov_b32 s19, -1
	s_and_saveexec_b32 s23, s72
; %bb.12181:                            ;   in Loop: Header=BB6_11223 Depth=3
	s_xor_b32 s19, exec_lo, -1
; %bb.12182:                            ;   in Loop: Header=BB6_11223 Depth=3
	s_or_b32 exec_lo, exec_lo, s23
	s_and_b32 s19, s19, exec_lo
	s_or_saveexec_b32 s16, s16
	v_mov_b32_e32 v86, 0x7f800001
	s_xor_b32 exec_lo, exec_lo, s16
	s_cbranch_execnz .LBB6_12482
.LBB6_12183:                            ;   in Loop: Header=BB6_11223 Depth=3
	s_or_b32 exec_lo, exec_lo, s16
	s_and_saveexec_b32 s16, s19
	s_cbranch_execz .LBB6_12185
.LBB6_12184:                            ;   in Loop: Header=BB6_11223 Depth=3
	v_and_b32_e32 v86, 3, v26
	v_lshrrev_b16 v112, 2, v26
	v_ffbh_u32_e32 v98, v86
	v_and_b32_e32 v112, 31, v112
	v_min_u32_e32 v98, 32, v98
	v_cmp_eq_u32_e32 vcc_lo, 0, v112
	v_subrev_nc_u32_e32 v115, 29, v98
	v_sub_nc_u32_e32 v98, 30, v98
	v_lshlrev_b32_e32 v115, v115, v26
	v_lshlrev_b32_e32 v26, 24, v26
	v_cndmask_b32_e32 v98, v112, v98, vcc_lo
	v_and_b32_e32 v115, 3, v115
	v_and_b32_e32 v26, 0x80000000, v26
	v_lshl_add_u32 v98, v98, 23, 0x37800000
	v_cndmask_b32_e32 v86, v86, v115, vcc_lo
	v_lshlrev_b32_e32 v86, 21, v86
	v_or3_b32 v86, v26, v98, v86
.LBB6_12185:                            ;   in Loop: Header=BB6_11223 Depth=3
	s_or_b32 exec_lo, exec_lo, s16
	s_waitcnt vmcnt(6) lgkmcnt(6)
	v_cmp_gt_i16_sdwa s19, v81, v116 src0_sel:BYTE_0 src1_sel:DWORD
	s_mov_b32 s16, 0
	s_and_saveexec_b32 s23, s19
	s_xor_b32 s19, exec_lo, s23
	s_cbranch_execz .LBB6_12483
; %bb.12186:                            ;   in Loop: Header=BB6_11223 Depth=3
	v_cmp_eq_u16_sdwa s72, v81, v117 src0_sel:BYTE_0 src1_sel:DWORD
	s_mov_b32 s16, -1
	s_and_saveexec_b32 s23, s72
; %bb.12187:                            ;   in Loop: Header=BB6_11223 Depth=3
	s_xor_b32 s16, exec_lo, -1
; %bb.12188:                            ;   in Loop: Header=BB6_11223 Depth=3
	s_or_b32 exec_lo, exec_lo, s23
	s_and_b32 s16, s16, exec_lo
	s_or_saveexec_b32 s19, s19
	v_mov_b32_e32 v26, 0x7f800001
	s_xor_b32 exec_lo, exec_lo, s19
	s_cbranch_execnz .LBB6_12484
.LBB6_12189:                            ;   in Loop: Header=BB6_11223 Depth=3
	s_or_b32 exec_lo, exec_lo, s19
	s_and_saveexec_b32 s19, s16
	s_cbranch_execz .LBB6_12191
.LBB6_12190:                            ;   in Loop: Header=BB6_11223 Depth=3
	v_and_b32_e32 v26, 3, v81
	v_lshrrev_b16 v112, 2, v81
	v_ffbh_u32_e32 v98, v26
	v_and_b32_e32 v112, 31, v112
	v_min_u32_e32 v98, 32, v98
	v_cmp_eq_u32_e32 vcc_lo, 0, v112
	v_subrev_nc_u32_e32 v115, 29, v98
	v_sub_nc_u32_e32 v98, 30, v98
	v_lshlrev_b32_e32 v115, v115, v81
	v_lshlrev_b32_e32 v81, 24, v81
	v_cndmask_b32_e32 v98, v112, v98, vcc_lo
	v_and_b32_e32 v115, 3, v115
	v_and_b32_e32 v81, 0x80000000, v81
	v_lshl_add_u32 v98, v98, 23, 0x37800000
	v_cndmask_b32_e32 v26, v26, v115, vcc_lo
	v_lshlrev_b32_e32 v26, 21, v26
	v_or3_b32 v26, v81, v98, v26
.LBB6_12191:                            ;   in Loop: Header=BB6_11223 Depth=3
	s_or_b32 exec_lo, exec_lo, s19
	v_add_f32_e32 v81, v86, v26
	v_and_b32_e32 v26, 0x7f800000, v81
	v_cmp_ne_u32_e32 vcc_lo, 0x7f800000, v26
	v_mov_b32_e32 v26, 0x80
	s_and_saveexec_b32 s19, vcc_lo
	s_cbranch_execz .LBB6_12199
; %bb.12192:                            ;   in Loop: Header=BB6_11223 Depth=3
	v_mov_b32_e32 v26, 0
	s_mov_b32 s23, exec_lo
	v_cmpx_ne_u32_e32 0, v81
	s_cbranch_execz .LBB6_12198
; %bb.12193:                            ;   in Loop: Header=BB6_11223 Depth=3
	v_bfe_u32 v86, v81, 23, 8
	v_and_b32_e32 v26, 0x7fffff, v81
	v_cmp_gt_u32_e64 s16, 0x71, v86
	v_sub_nc_u32_e32 v98, 0x70, v86
	v_cmp_eq_u32_e32 vcc_lo, 0, v86
	v_or_b32_e32 v112, 0x800000, v26
	v_cndmask_b32_e64 v98, 0, v98, s16
	v_cndmask_b32_e32 v26, v112, v26, vcc_lo
	v_cndmask_b32_e64 v98, v98, 0x6f, vcc_lo
	v_lshl_add_u32 v112, 0x200000, v98, -1
	v_lshlrev_b32_e64 v115, v98, 0x100000
	v_and_b32_e32 v112, v112, v26
	v_cmp_eq_u32_e64 s16, v112, v115
	v_lshrrev_b32_e32 v112, v98, v26
	v_add_nc_u32_e32 v26, 0xffffff91, v86
	v_lshrrev_b32_e32 v86, 23, v112
	v_cndmask_b32_e64 v26, v26, 0xffffff92, vcc_lo
	v_xor_b32_e32 v86, 1, v86
	v_add_nc_u32_e32 v26, v98, v26
	v_bfe_u32 v98, v112, 21, 1
	v_add_nc_u32_e32 v98, -1, v98
	v_cndmask_b32_e64 v98, 0, v98, s16
	s_mov_b32 s16, exec_lo
	v_add_nc_u32_e32 v98, v98, v112
	v_and_b32_e32 v98, 0x1fffff, v98
	v_add_nc_u32_e32 v98, v98, v112
                                        ; implicit-def: $vgpr112
	v_cmpx_ne_u32_e64 v26, v86
	s_xor_b32 s16, exec_lo, s16
; %bb.12194:                            ;   in Loop: Header=BB6_11223 Depth=3
	v_cmp_lt_u32_e32 vcc_lo, 0xffffff, v98
	v_sub_nc_u32_e32 v26, v26, v86
	v_cndmask_b32_e64 v86, 0, 1, vcc_lo
	v_add_co_ci_u32_e64 v112, null, 0, v26, vcc_lo
	v_lshrrev_b32_e32 v98, v86, v98
; %bb.12195:                            ;   in Loop: Header=BB6_11223 Depth=3
	s_andn2_saveexec_b32 s16, s16
; %bb.12196:                            ;   in Loop: Header=BB6_11223 Depth=3
	v_bfe_u32 v112, v98, 23, 1
; %bb.12197:                            ;   in Loop: Header=BB6_11223 Depth=3
	s_or_b32 exec_lo, exec_lo, s16
	v_and_b32_sdwa v26, v81, v117 dst_sel:DWORD dst_unused:UNUSED_PAD src0_sel:BYTE_3 src1_sel:DWORD
	v_lshrrev_b32_e32 v81, 21, v98
	v_cmp_gt_i32_e32 vcc_lo, 32, v112
	v_min_i32_e32 v86, 31, v112
	v_cndmask_b32_e32 v81, 3, v81, vcc_lo
	v_lshlrev_b32_e32 v86, 2, v86
	v_or_b32_e32 v98, v112, v81
	v_and_b32_e32 v81, 3, v81
	v_cmp_ne_u32_e32 vcc_lo, 0, v98
	v_or3_b32 v26, v86, v26, v81
	v_cndmask_b32_e32 v26, 0, v26, vcc_lo
.LBB6_12198:                            ;   in Loop: Header=BB6_11223 Depth=3
	s_or_b32 exec_lo, exec_lo, s23
.LBB6_12199:                            ;   in Loop: Header=BB6_11223 Depth=3
	s_or_b32 exec_lo, exec_lo, s19
	v_cmp_gt_i16_sdwa s16, v25, v116 src0_sel:BYTE_0 src1_sel:DWORD
	s_mov_b32 s19, 0
	s_and_saveexec_b32 s23, s16
	s_xor_b32 s16, exec_lo, s23
	s_cbranch_execz .LBB6_12485
; %bb.12200:                            ;   in Loop: Header=BB6_11223 Depth=3
	v_cmp_eq_u16_sdwa s72, v25, v117 src0_sel:BYTE_0 src1_sel:DWORD
	s_mov_b32 s19, -1
	s_and_saveexec_b32 s23, s72
; %bb.12201:                            ;   in Loop: Header=BB6_11223 Depth=3
	s_xor_b32 s19, exec_lo, -1
; %bb.12202:                            ;   in Loop: Header=BB6_11223 Depth=3
	s_or_b32 exec_lo, exec_lo, s23
	s_and_b32 s19, s19, exec_lo
	s_or_saveexec_b32 s16, s16
	v_mov_b32_e32 v81, 0x7f800001
	s_xor_b32 exec_lo, exec_lo, s16
	s_cbranch_execnz .LBB6_12486
.LBB6_12203:                            ;   in Loop: Header=BB6_11223 Depth=3
	s_or_b32 exec_lo, exec_lo, s16
	s_and_saveexec_b32 s16, s19
	s_cbranch_execz .LBB6_12205
.LBB6_12204:                            ;   in Loop: Header=BB6_11223 Depth=3
	v_and_b32_e32 v81, 3, v25
	v_lshrrev_b16 v98, 2, v25
	v_ffbh_u32_e32 v86, v81
	v_and_b32_e32 v98, 31, v98
	v_min_u32_e32 v86, 32, v86
	v_cmp_eq_u32_e32 vcc_lo, 0, v98
	v_subrev_nc_u32_e32 v112, 29, v86
	v_sub_nc_u32_e32 v86, 30, v86
	v_lshlrev_b32_e32 v112, v112, v25
	v_lshlrev_b32_e32 v25, 24, v25
	v_cndmask_b32_e32 v86, v98, v86, vcc_lo
	v_and_b32_e32 v112, 3, v112
	v_and_b32_e32 v25, 0x80000000, v25
	v_lshl_add_u32 v86, v86, 23, 0x37800000
	v_cndmask_b32_e32 v81, v81, v112, vcc_lo
	v_lshlrev_b32_e32 v81, 21, v81
	v_or3_b32 v81, v25, v86, v81
.LBB6_12205:                            ;   in Loop: Header=BB6_11223 Depth=3
	s_or_b32 exec_lo, exec_lo, s16
	s_waitcnt vmcnt(5) lgkmcnt(5)
	v_cmp_gt_i16_sdwa s19, v55, v116 src0_sel:BYTE_0 src1_sel:DWORD
	s_mov_b32 s16, 0
	s_and_saveexec_b32 s23, s19
	s_xor_b32 s19, exec_lo, s23
	s_cbranch_execz .LBB6_12487
; %bb.12206:                            ;   in Loop: Header=BB6_11223 Depth=3
	v_cmp_eq_u16_sdwa s72, v55, v117 src0_sel:BYTE_0 src1_sel:DWORD
	s_mov_b32 s16, -1
	s_and_saveexec_b32 s23, s72
; %bb.12207:                            ;   in Loop: Header=BB6_11223 Depth=3
	s_xor_b32 s16, exec_lo, -1
; %bb.12208:                            ;   in Loop: Header=BB6_11223 Depth=3
	s_or_b32 exec_lo, exec_lo, s23
	s_and_b32 s16, s16, exec_lo
	s_or_saveexec_b32 s19, s19
	v_mov_b32_e32 v25, 0x7f800001
	s_xor_b32 exec_lo, exec_lo, s19
	s_cbranch_execnz .LBB6_12488
.LBB6_12209:                            ;   in Loop: Header=BB6_11223 Depth=3
	s_or_b32 exec_lo, exec_lo, s19
	s_and_saveexec_b32 s19, s16
	s_cbranch_execz .LBB6_12211
.LBB6_12210:                            ;   in Loop: Header=BB6_11223 Depth=3
	v_and_b32_e32 v25, 3, v55
	v_lshrrev_b16 v98, 2, v55
	v_ffbh_u32_e32 v86, v25
	v_and_b32_e32 v98, 31, v98
	v_min_u32_e32 v86, 32, v86
	v_cmp_eq_u32_e32 vcc_lo, 0, v98
	v_subrev_nc_u32_e32 v112, 29, v86
	v_sub_nc_u32_e32 v86, 30, v86
	v_lshlrev_b32_e32 v112, v112, v55
	v_lshlrev_b32_e32 v55, 24, v55
	v_cndmask_b32_e32 v86, v98, v86, vcc_lo
	v_and_b32_e32 v112, 3, v112
	v_and_b32_e32 v55, 0x80000000, v55
	v_lshl_add_u32 v86, v86, 23, 0x37800000
	v_cndmask_b32_e32 v25, v25, v112, vcc_lo
	v_lshlrev_b32_e32 v25, 21, v25
	v_or3_b32 v25, v55, v86, v25
.LBB6_12211:                            ;   in Loop: Header=BB6_11223 Depth=3
	s_or_b32 exec_lo, exec_lo, s19
	v_add_f32_e32 v55, v81, v25
	v_and_b32_e32 v25, 0x7f800000, v55
	v_cmp_ne_u32_e32 vcc_lo, 0x7f800000, v25
	v_mov_b32_e32 v25, 0x80
	s_and_saveexec_b32 s19, vcc_lo
	s_cbranch_execz .LBB6_12219
; %bb.12212:                            ;   in Loop: Header=BB6_11223 Depth=3
	v_mov_b32_e32 v25, 0
	s_mov_b32 s23, exec_lo
	v_cmpx_ne_u32_e32 0, v55
	s_cbranch_execz .LBB6_12218
; %bb.12213:                            ;   in Loop: Header=BB6_11223 Depth=3
	v_bfe_u32 v81, v55, 23, 8
	v_and_b32_e32 v25, 0x7fffff, v55
	v_cmp_gt_u32_e64 s16, 0x71, v81
	v_sub_nc_u32_e32 v86, 0x70, v81
	v_cmp_eq_u32_e32 vcc_lo, 0, v81
	v_or_b32_e32 v98, 0x800000, v25
	v_cndmask_b32_e64 v86, 0, v86, s16
	v_cndmask_b32_e32 v25, v98, v25, vcc_lo
	v_cndmask_b32_e64 v86, v86, 0x6f, vcc_lo
	v_lshl_add_u32 v98, 0x200000, v86, -1
	v_lshlrev_b32_e64 v112, v86, 0x100000
	v_and_b32_e32 v98, v98, v25
	v_cmp_eq_u32_e64 s16, v98, v112
	v_lshrrev_b32_e32 v98, v86, v25
	v_add_nc_u32_e32 v25, 0xffffff91, v81
	v_lshrrev_b32_e32 v81, 23, v98
	v_cndmask_b32_e64 v25, v25, 0xffffff92, vcc_lo
	v_xor_b32_e32 v81, 1, v81
	v_add_nc_u32_e32 v25, v86, v25
	v_bfe_u32 v86, v98, 21, 1
	v_add_nc_u32_e32 v86, -1, v86
	v_cndmask_b32_e64 v86, 0, v86, s16
	s_mov_b32 s16, exec_lo
	v_add_nc_u32_e32 v86, v86, v98
	v_and_b32_e32 v86, 0x1fffff, v86
	v_add_nc_u32_e32 v86, v86, v98
                                        ; implicit-def: $vgpr98
	v_cmpx_ne_u32_e64 v25, v81
	s_xor_b32 s16, exec_lo, s16
; %bb.12214:                            ;   in Loop: Header=BB6_11223 Depth=3
	v_cmp_lt_u32_e32 vcc_lo, 0xffffff, v86
	v_sub_nc_u32_e32 v25, v25, v81
	v_cndmask_b32_e64 v81, 0, 1, vcc_lo
	v_add_co_ci_u32_e64 v98, null, 0, v25, vcc_lo
	v_lshrrev_b32_e32 v86, v81, v86
; %bb.12215:                            ;   in Loop: Header=BB6_11223 Depth=3
	s_andn2_saveexec_b32 s16, s16
; %bb.12216:                            ;   in Loop: Header=BB6_11223 Depth=3
	v_bfe_u32 v98, v86, 23, 1
; %bb.12217:                            ;   in Loop: Header=BB6_11223 Depth=3
	s_or_b32 exec_lo, exec_lo, s16
	v_and_b32_sdwa v25, v55, v117 dst_sel:DWORD dst_unused:UNUSED_PAD src0_sel:BYTE_3 src1_sel:DWORD
	v_lshrrev_b32_e32 v55, 21, v86
	v_cmp_gt_i32_e32 vcc_lo, 32, v98
	v_min_i32_e32 v81, 31, v98
	v_cndmask_b32_e32 v55, 3, v55, vcc_lo
	v_lshlrev_b32_e32 v81, 2, v81
	v_or_b32_e32 v86, v98, v55
	v_and_b32_e32 v55, 3, v55
	v_cmp_ne_u32_e32 vcc_lo, 0, v86
	v_or3_b32 v25, v81, v25, v55
	v_cndmask_b32_e32 v25, 0, v25, vcc_lo
.LBB6_12218:                            ;   in Loop: Header=BB6_11223 Depth=3
	s_or_b32 exec_lo, exec_lo, s23
.LBB6_12219:                            ;   in Loop: Header=BB6_11223 Depth=3
	s_or_b32 exec_lo, exec_lo, s19
	v_cmp_gt_i16_sdwa s16, v23, v116 src0_sel:BYTE_0 src1_sel:DWORD
	s_mov_b32 s19, 0
	s_and_saveexec_b32 s23, s16
	s_xor_b32 s16, exec_lo, s23
	s_cbranch_execz .LBB6_12489
; %bb.12220:                            ;   in Loop: Header=BB6_11223 Depth=3
	v_cmp_eq_u16_sdwa s72, v23, v117 src0_sel:BYTE_0 src1_sel:DWORD
	s_mov_b32 s19, -1
	s_and_saveexec_b32 s23, s72
; %bb.12221:                            ;   in Loop: Header=BB6_11223 Depth=3
	s_xor_b32 s19, exec_lo, -1
; %bb.12222:                            ;   in Loop: Header=BB6_11223 Depth=3
	s_or_b32 exec_lo, exec_lo, s23
	s_and_b32 s19, s19, exec_lo
	s_or_saveexec_b32 s16, s16
	v_mov_b32_e32 v55, 0x7f800001
	s_xor_b32 exec_lo, exec_lo, s16
	s_cbranch_execnz .LBB6_12490
.LBB6_12223:                            ;   in Loop: Header=BB6_11223 Depth=3
	s_or_b32 exec_lo, exec_lo, s16
	s_and_saveexec_b32 s16, s19
	s_cbranch_execz .LBB6_12225
.LBB6_12224:                            ;   in Loop: Header=BB6_11223 Depth=3
	v_and_b32_e32 v55, 3, v23
	v_lshrrev_b16 v86, 2, v23
	v_ffbh_u32_e32 v81, v55
	v_and_b32_e32 v86, 31, v86
	v_min_u32_e32 v81, 32, v81
	v_cmp_eq_u32_e32 vcc_lo, 0, v86
	v_subrev_nc_u32_e32 v98, 29, v81
	v_sub_nc_u32_e32 v81, 30, v81
	v_lshlrev_b32_e32 v98, v98, v23
	v_lshlrev_b32_e32 v23, 24, v23
	v_cndmask_b32_e32 v81, v86, v81, vcc_lo
	v_and_b32_e32 v98, 3, v98
	v_and_b32_e32 v23, 0x80000000, v23
	v_lshl_add_u32 v81, v81, 23, 0x37800000
	v_cndmask_b32_e32 v55, v55, v98, vcc_lo
	v_lshlrev_b32_e32 v55, 21, v55
	v_or3_b32 v55, v23, v81, v55
.LBB6_12225:                            ;   in Loop: Header=BB6_11223 Depth=3
	s_or_b32 exec_lo, exec_lo, s16
	s_waitcnt vmcnt(4) lgkmcnt(4)
	v_cmp_gt_i16_sdwa s19, v51, v116 src0_sel:BYTE_0 src1_sel:DWORD
	s_mov_b32 s16, 0
	s_and_saveexec_b32 s23, s19
	s_xor_b32 s19, exec_lo, s23
	s_cbranch_execz .LBB6_12491
; %bb.12226:                            ;   in Loop: Header=BB6_11223 Depth=3
	v_cmp_eq_u16_sdwa s72, v51, v117 src0_sel:BYTE_0 src1_sel:DWORD
	s_mov_b32 s16, -1
	s_and_saveexec_b32 s23, s72
; %bb.12227:                            ;   in Loop: Header=BB6_11223 Depth=3
	s_xor_b32 s16, exec_lo, -1
; %bb.12228:                            ;   in Loop: Header=BB6_11223 Depth=3
	s_or_b32 exec_lo, exec_lo, s23
	s_and_b32 s16, s16, exec_lo
	s_or_saveexec_b32 s19, s19
	v_mov_b32_e32 v23, 0x7f800001
	s_xor_b32 exec_lo, exec_lo, s19
	s_cbranch_execnz .LBB6_12492
.LBB6_12229:                            ;   in Loop: Header=BB6_11223 Depth=3
	s_or_b32 exec_lo, exec_lo, s19
	s_and_saveexec_b32 s19, s16
	s_cbranch_execz .LBB6_12231
.LBB6_12230:                            ;   in Loop: Header=BB6_11223 Depth=3
	v_and_b32_e32 v23, 3, v51
	v_lshrrev_b16 v86, 2, v51
	v_ffbh_u32_e32 v81, v23
	v_and_b32_e32 v86, 31, v86
	v_min_u32_e32 v81, 32, v81
	v_cmp_eq_u32_e32 vcc_lo, 0, v86
	v_subrev_nc_u32_e32 v98, 29, v81
	v_sub_nc_u32_e32 v81, 30, v81
	v_lshlrev_b32_e32 v98, v98, v51
	v_lshlrev_b32_e32 v51, 24, v51
	v_cndmask_b32_e32 v81, v86, v81, vcc_lo
	v_and_b32_e32 v98, 3, v98
	v_and_b32_e32 v51, 0x80000000, v51
	v_lshl_add_u32 v81, v81, 23, 0x37800000
	v_cndmask_b32_e32 v23, v23, v98, vcc_lo
	v_lshlrev_b32_e32 v23, 21, v23
	v_or3_b32 v23, v51, v81, v23
.LBB6_12231:                            ;   in Loop: Header=BB6_11223 Depth=3
	s_or_b32 exec_lo, exec_lo, s19
	v_add_f32_e32 v51, v55, v23
	v_and_b32_e32 v23, 0x7f800000, v51
	v_cmp_ne_u32_e32 vcc_lo, 0x7f800000, v23
	v_mov_b32_e32 v23, 0x80
	s_and_saveexec_b32 s19, vcc_lo
	s_cbranch_execz .LBB6_12239
; %bb.12232:                            ;   in Loop: Header=BB6_11223 Depth=3
	v_mov_b32_e32 v23, 0
	s_mov_b32 s23, exec_lo
	v_cmpx_ne_u32_e32 0, v51
	s_cbranch_execz .LBB6_12238
; %bb.12233:                            ;   in Loop: Header=BB6_11223 Depth=3
	v_bfe_u32 v55, v51, 23, 8
	v_and_b32_e32 v23, 0x7fffff, v51
	v_cmp_gt_u32_e64 s16, 0x71, v55
	v_sub_nc_u32_e32 v81, 0x70, v55
	v_cmp_eq_u32_e32 vcc_lo, 0, v55
	v_or_b32_e32 v86, 0x800000, v23
	v_cndmask_b32_e64 v81, 0, v81, s16
	v_cndmask_b32_e32 v23, v86, v23, vcc_lo
	v_cndmask_b32_e64 v81, v81, 0x6f, vcc_lo
	v_lshl_add_u32 v86, 0x200000, v81, -1
	v_lshlrev_b32_e64 v98, v81, 0x100000
	v_and_b32_e32 v86, v86, v23
	v_cmp_eq_u32_e64 s16, v86, v98
	v_lshrrev_b32_e32 v86, v81, v23
	v_add_nc_u32_e32 v23, 0xffffff91, v55
	v_lshrrev_b32_e32 v55, 23, v86
	v_cndmask_b32_e64 v23, v23, 0xffffff92, vcc_lo
	v_xor_b32_e32 v55, 1, v55
	v_add_nc_u32_e32 v23, v81, v23
	v_bfe_u32 v81, v86, 21, 1
	v_add_nc_u32_e32 v81, -1, v81
	v_cndmask_b32_e64 v81, 0, v81, s16
	s_mov_b32 s16, exec_lo
	v_add_nc_u32_e32 v81, v81, v86
	v_and_b32_e32 v81, 0x1fffff, v81
	v_add_nc_u32_e32 v81, v81, v86
                                        ; implicit-def: $vgpr86
	v_cmpx_ne_u32_e64 v23, v55
	s_xor_b32 s16, exec_lo, s16
; %bb.12234:                            ;   in Loop: Header=BB6_11223 Depth=3
	v_cmp_lt_u32_e32 vcc_lo, 0xffffff, v81
	v_sub_nc_u32_e32 v23, v23, v55
	v_cndmask_b32_e64 v55, 0, 1, vcc_lo
	v_add_co_ci_u32_e64 v86, null, 0, v23, vcc_lo
	v_lshrrev_b32_e32 v81, v55, v81
; %bb.12235:                            ;   in Loop: Header=BB6_11223 Depth=3
	s_andn2_saveexec_b32 s16, s16
; %bb.12236:                            ;   in Loop: Header=BB6_11223 Depth=3
	v_bfe_u32 v86, v81, 23, 1
; %bb.12237:                            ;   in Loop: Header=BB6_11223 Depth=3
	s_or_b32 exec_lo, exec_lo, s16
	v_and_b32_sdwa v23, v51, v117 dst_sel:DWORD dst_unused:UNUSED_PAD src0_sel:BYTE_3 src1_sel:DWORD
	v_lshrrev_b32_e32 v51, 21, v81
	v_cmp_gt_i32_e32 vcc_lo, 32, v86
	v_min_i32_e32 v55, 31, v86
	v_cndmask_b32_e32 v51, 3, v51, vcc_lo
	v_lshlrev_b32_e32 v55, 2, v55
	v_or_b32_e32 v81, v86, v51
	v_and_b32_e32 v51, 3, v51
	v_cmp_ne_u32_e32 vcc_lo, 0, v81
	v_or3_b32 v23, v55, v23, v51
	v_cndmask_b32_e32 v23, 0, v23, vcc_lo
.LBB6_12238:                            ;   in Loop: Header=BB6_11223 Depth=3
	s_or_b32 exec_lo, exec_lo, s23
.LBB6_12239:                            ;   in Loop: Header=BB6_11223 Depth=3
	s_or_b32 exec_lo, exec_lo, s19
	v_cmp_gt_i16_sdwa s16, v21, v116 src0_sel:BYTE_0 src1_sel:DWORD
	s_mov_b32 s19, 0
	s_and_saveexec_b32 s23, s16
	s_xor_b32 s16, exec_lo, s23
	s_cbranch_execz .LBB6_12493
; %bb.12240:                            ;   in Loop: Header=BB6_11223 Depth=3
	v_cmp_eq_u16_sdwa s72, v21, v117 src0_sel:BYTE_0 src1_sel:DWORD
	s_mov_b32 s19, -1
	s_and_saveexec_b32 s23, s72
; %bb.12241:                            ;   in Loop: Header=BB6_11223 Depth=3
	s_xor_b32 s19, exec_lo, -1
; %bb.12242:                            ;   in Loop: Header=BB6_11223 Depth=3
	s_or_b32 exec_lo, exec_lo, s23
	s_and_b32 s19, s19, exec_lo
	s_or_saveexec_b32 s16, s16
	v_mov_b32_e32 v51, 0x7f800001
	s_xor_b32 exec_lo, exec_lo, s16
	s_cbranch_execnz .LBB6_12494
.LBB6_12243:                            ;   in Loop: Header=BB6_11223 Depth=3
	s_or_b32 exec_lo, exec_lo, s16
	s_and_saveexec_b32 s16, s19
	s_cbranch_execz .LBB6_12245
.LBB6_12244:                            ;   in Loop: Header=BB6_11223 Depth=3
	v_and_b32_e32 v51, 3, v21
	v_lshrrev_b16 v81, 2, v21
	v_ffbh_u32_e32 v55, v51
	v_and_b32_e32 v81, 31, v81
	v_min_u32_e32 v55, 32, v55
	v_cmp_eq_u32_e32 vcc_lo, 0, v81
	v_subrev_nc_u32_e32 v86, 29, v55
	v_sub_nc_u32_e32 v55, 30, v55
	v_lshlrev_b32_e32 v86, v86, v21
	v_lshlrev_b32_e32 v21, 24, v21
	v_cndmask_b32_e32 v55, v81, v55, vcc_lo
	v_and_b32_e32 v86, 3, v86
	v_and_b32_e32 v21, 0x80000000, v21
	v_lshl_add_u32 v55, v55, 23, 0x37800000
	v_cndmask_b32_e32 v51, v51, v86, vcc_lo
	v_lshlrev_b32_e32 v51, 21, v51
	v_or3_b32 v51, v21, v55, v51
.LBB6_12245:                            ;   in Loop: Header=BB6_11223 Depth=3
	s_or_b32 exec_lo, exec_lo, s16
	s_waitcnt vmcnt(3) lgkmcnt(3)
	v_cmp_gt_i16_sdwa s19, v31, v116 src0_sel:BYTE_0 src1_sel:DWORD
	s_mov_b32 s16, 0
	s_and_saveexec_b32 s23, s19
	s_xor_b32 s19, exec_lo, s23
	s_cbranch_execz .LBB6_12495
; %bb.12246:                            ;   in Loop: Header=BB6_11223 Depth=3
	v_cmp_eq_u16_sdwa s72, v31, v117 src0_sel:BYTE_0 src1_sel:DWORD
	s_mov_b32 s16, -1
	s_and_saveexec_b32 s23, s72
; %bb.12247:                            ;   in Loop: Header=BB6_11223 Depth=3
	s_xor_b32 s16, exec_lo, -1
; %bb.12248:                            ;   in Loop: Header=BB6_11223 Depth=3
	s_or_b32 exec_lo, exec_lo, s23
	s_and_b32 s16, s16, exec_lo
	s_or_saveexec_b32 s19, s19
	v_mov_b32_e32 v21, 0x7f800001
	s_xor_b32 exec_lo, exec_lo, s19
	s_cbranch_execnz .LBB6_12496
.LBB6_12249:                            ;   in Loop: Header=BB6_11223 Depth=3
	s_or_b32 exec_lo, exec_lo, s19
	s_and_saveexec_b32 s19, s16
	s_cbranch_execz .LBB6_12251
.LBB6_12250:                            ;   in Loop: Header=BB6_11223 Depth=3
	v_and_b32_e32 v21, 3, v31
	v_lshrrev_b16 v81, 2, v31
	v_ffbh_u32_e32 v55, v21
	v_and_b32_e32 v81, 31, v81
	v_min_u32_e32 v55, 32, v55
	v_cmp_eq_u32_e32 vcc_lo, 0, v81
	v_subrev_nc_u32_e32 v86, 29, v55
	v_sub_nc_u32_e32 v55, 30, v55
	v_lshlrev_b32_e32 v86, v86, v31
	v_lshlrev_b32_e32 v31, 24, v31
	v_cndmask_b32_e32 v55, v81, v55, vcc_lo
	v_and_b32_e32 v86, 3, v86
	v_and_b32_e32 v31, 0x80000000, v31
	v_lshl_add_u32 v55, v55, 23, 0x37800000
	v_cndmask_b32_e32 v21, v21, v86, vcc_lo
	v_lshlrev_b32_e32 v21, 21, v21
	v_or3_b32 v21, v31, v55, v21
.LBB6_12251:                            ;   in Loop: Header=BB6_11223 Depth=3
	s_or_b32 exec_lo, exec_lo, s19
	v_add_f32_e32 v31, v51, v21
	v_and_b32_e32 v21, 0x7f800000, v31
	v_cmp_ne_u32_e32 vcc_lo, 0x7f800000, v21
	v_mov_b32_e32 v21, 0x80
	s_and_saveexec_b32 s19, vcc_lo
	s_cbranch_execz .LBB6_12259
; %bb.12252:                            ;   in Loop: Header=BB6_11223 Depth=3
	v_mov_b32_e32 v21, 0
	s_mov_b32 s23, exec_lo
	v_cmpx_ne_u32_e32 0, v31
	s_cbranch_execz .LBB6_12258
; %bb.12253:                            ;   in Loop: Header=BB6_11223 Depth=3
	v_bfe_u32 v51, v31, 23, 8
	v_and_b32_e32 v21, 0x7fffff, v31
	v_cmp_gt_u32_e64 s16, 0x71, v51
	v_sub_nc_u32_e32 v55, 0x70, v51
	v_cmp_eq_u32_e32 vcc_lo, 0, v51
	v_or_b32_e32 v81, 0x800000, v21
	v_cndmask_b32_e64 v55, 0, v55, s16
	v_cndmask_b32_e32 v21, v81, v21, vcc_lo
	v_cndmask_b32_e64 v55, v55, 0x6f, vcc_lo
	v_lshl_add_u32 v81, 0x200000, v55, -1
	v_lshlrev_b32_e64 v86, v55, 0x100000
	v_and_b32_e32 v81, v81, v21
	v_cmp_eq_u32_e64 s16, v81, v86
	v_lshrrev_b32_e32 v81, v55, v21
	v_add_nc_u32_e32 v21, 0xffffff91, v51
	v_lshrrev_b32_e32 v51, 23, v81
	v_cndmask_b32_e64 v21, v21, 0xffffff92, vcc_lo
	v_xor_b32_e32 v51, 1, v51
	v_add_nc_u32_e32 v21, v55, v21
	v_bfe_u32 v55, v81, 21, 1
	v_add_nc_u32_e32 v55, -1, v55
	v_cndmask_b32_e64 v55, 0, v55, s16
	s_mov_b32 s16, exec_lo
	v_add_nc_u32_e32 v55, v55, v81
	v_and_b32_e32 v55, 0x1fffff, v55
	v_add_nc_u32_e32 v55, v55, v81
                                        ; implicit-def: $vgpr81
	v_cmpx_ne_u32_e64 v21, v51
	s_xor_b32 s16, exec_lo, s16
; %bb.12254:                            ;   in Loop: Header=BB6_11223 Depth=3
	v_cmp_lt_u32_e32 vcc_lo, 0xffffff, v55
	v_sub_nc_u32_e32 v21, v21, v51
	v_cndmask_b32_e64 v51, 0, 1, vcc_lo
	v_add_co_ci_u32_e64 v81, null, 0, v21, vcc_lo
	v_lshrrev_b32_e32 v55, v51, v55
; %bb.12255:                            ;   in Loop: Header=BB6_11223 Depth=3
	s_andn2_saveexec_b32 s16, s16
; %bb.12256:                            ;   in Loop: Header=BB6_11223 Depth=3
	v_bfe_u32 v81, v55, 23, 1
; %bb.12257:                            ;   in Loop: Header=BB6_11223 Depth=3
	s_or_b32 exec_lo, exec_lo, s16
	v_and_b32_sdwa v21, v31, v117 dst_sel:DWORD dst_unused:UNUSED_PAD src0_sel:BYTE_3 src1_sel:DWORD
	v_lshrrev_b32_e32 v31, 21, v55
	v_cmp_gt_i32_e32 vcc_lo, 32, v81
	v_min_i32_e32 v51, 31, v81
	v_cndmask_b32_e32 v31, 3, v31, vcc_lo
	v_lshlrev_b32_e32 v51, 2, v51
	v_or_b32_e32 v55, v81, v31
	v_and_b32_e32 v31, 3, v31
	v_cmp_ne_u32_e32 vcc_lo, 0, v55
	v_or3_b32 v21, v51, v21, v31
	v_cndmask_b32_e32 v21, 0, v21, vcc_lo
.LBB6_12258:                            ;   in Loop: Header=BB6_11223 Depth=3
	s_or_b32 exec_lo, exec_lo, s23
.LBB6_12259:                            ;   in Loop: Header=BB6_11223 Depth=3
	s_or_b32 exec_lo, exec_lo, s19
	v_cmp_gt_i16_sdwa s16, v17, v116 src0_sel:BYTE_0 src1_sel:DWORD
	s_mov_b32 s19, 0
	s_and_saveexec_b32 s23, s16
	s_xor_b32 s16, exec_lo, s23
	s_cbranch_execz .LBB6_12497
; %bb.12260:                            ;   in Loop: Header=BB6_11223 Depth=3
	v_cmp_eq_u16_sdwa s72, v17, v117 src0_sel:BYTE_0 src1_sel:DWORD
	s_mov_b32 s19, -1
	s_and_saveexec_b32 s23, s72
; %bb.12261:                            ;   in Loop: Header=BB6_11223 Depth=3
	s_xor_b32 s19, exec_lo, -1
; %bb.12262:                            ;   in Loop: Header=BB6_11223 Depth=3
	s_or_b32 exec_lo, exec_lo, s23
	s_and_b32 s19, s19, exec_lo
	s_or_saveexec_b32 s16, s16
	v_mov_b32_e32 v31, 0x7f800001
	s_xor_b32 exec_lo, exec_lo, s16
	s_cbranch_execnz .LBB6_12498
.LBB6_12263:                            ;   in Loop: Header=BB6_11223 Depth=3
	s_or_b32 exec_lo, exec_lo, s16
	s_and_saveexec_b32 s16, s19
	s_cbranch_execz .LBB6_12265
.LBB6_12264:                            ;   in Loop: Header=BB6_11223 Depth=3
	v_and_b32_e32 v31, 3, v17
	v_lshrrev_b16 v55, 2, v17
	v_ffbh_u32_e32 v51, v31
	v_and_b32_e32 v55, 31, v55
	v_min_u32_e32 v51, 32, v51
	v_cmp_eq_u32_e32 vcc_lo, 0, v55
	v_subrev_nc_u32_e32 v81, 29, v51
	v_sub_nc_u32_e32 v51, 30, v51
	v_lshlrev_b32_e32 v81, v81, v17
	v_lshlrev_b32_e32 v17, 24, v17
	v_cndmask_b32_e32 v51, v55, v51, vcc_lo
	v_and_b32_e32 v81, 3, v81
	v_and_b32_e32 v17, 0x80000000, v17
	v_lshl_add_u32 v51, v51, 23, 0x37800000
	v_cndmask_b32_e32 v31, v31, v81, vcc_lo
	v_lshlrev_b32_e32 v31, 21, v31
	v_or3_b32 v31, v17, v51, v31
.LBB6_12265:                            ;   in Loop: Header=BB6_11223 Depth=3
	s_or_b32 exec_lo, exec_lo, s16
	s_waitcnt vmcnt(2) lgkmcnt(2)
	v_cmp_gt_i16_sdwa s19, v27, v116 src0_sel:BYTE_0 src1_sel:DWORD
	s_mov_b32 s16, 0
	s_and_saveexec_b32 s23, s19
	s_xor_b32 s19, exec_lo, s23
	s_cbranch_execz .LBB6_12499
; %bb.12266:                            ;   in Loop: Header=BB6_11223 Depth=3
	v_cmp_eq_u16_sdwa s72, v27, v117 src0_sel:BYTE_0 src1_sel:DWORD
	s_mov_b32 s16, -1
	s_and_saveexec_b32 s23, s72
; %bb.12267:                            ;   in Loop: Header=BB6_11223 Depth=3
	s_xor_b32 s16, exec_lo, -1
; %bb.12268:                            ;   in Loop: Header=BB6_11223 Depth=3
	s_or_b32 exec_lo, exec_lo, s23
	s_and_b32 s16, s16, exec_lo
	s_or_saveexec_b32 s19, s19
	v_mov_b32_e32 v17, 0x7f800001
	s_xor_b32 exec_lo, exec_lo, s19
	s_cbranch_execnz .LBB6_12500
.LBB6_12269:                            ;   in Loop: Header=BB6_11223 Depth=3
	s_or_b32 exec_lo, exec_lo, s19
	s_and_saveexec_b32 s19, s16
	s_cbranch_execz .LBB6_12271
.LBB6_12270:                            ;   in Loop: Header=BB6_11223 Depth=3
	v_and_b32_e32 v17, 3, v27
	v_lshrrev_b16 v55, 2, v27
	v_ffbh_u32_e32 v51, v17
	v_and_b32_e32 v55, 31, v55
	v_min_u32_e32 v51, 32, v51
	v_cmp_eq_u32_e32 vcc_lo, 0, v55
	v_subrev_nc_u32_e32 v81, 29, v51
	v_sub_nc_u32_e32 v51, 30, v51
	v_lshlrev_b32_e32 v81, v81, v27
	v_lshlrev_b32_e32 v27, 24, v27
	v_cndmask_b32_e32 v51, v55, v51, vcc_lo
	v_and_b32_e32 v81, 3, v81
	v_and_b32_e32 v27, 0x80000000, v27
	v_lshl_add_u32 v51, v51, 23, 0x37800000
	v_cndmask_b32_e32 v17, v17, v81, vcc_lo
	v_lshlrev_b32_e32 v17, 21, v17
	v_or3_b32 v17, v27, v51, v17
.LBB6_12271:                            ;   in Loop: Header=BB6_11223 Depth=3
	s_or_b32 exec_lo, exec_lo, s19
	v_add_f32_e32 v27, v31, v17
	v_and_b32_e32 v17, 0x7f800000, v27
	v_cmp_ne_u32_e32 vcc_lo, 0x7f800000, v17
	v_mov_b32_e32 v17, 0x80
	s_and_saveexec_b32 s19, vcc_lo
	s_cbranch_execz .LBB6_12279
; %bb.12272:                            ;   in Loop: Header=BB6_11223 Depth=3
	v_mov_b32_e32 v17, 0
	s_mov_b32 s23, exec_lo
	v_cmpx_ne_u32_e32 0, v27
	s_cbranch_execz .LBB6_12278
; %bb.12273:                            ;   in Loop: Header=BB6_11223 Depth=3
	v_bfe_u32 v31, v27, 23, 8
	v_and_b32_e32 v17, 0x7fffff, v27
	v_cmp_gt_u32_e64 s16, 0x71, v31
	v_sub_nc_u32_e32 v51, 0x70, v31
	v_cmp_eq_u32_e32 vcc_lo, 0, v31
	v_or_b32_e32 v55, 0x800000, v17
	v_cndmask_b32_e64 v51, 0, v51, s16
	v_cndmask_b32_e32 v17, v55, v17, vcc_lo
	v_cndmask_b32_e64 v51, v51, 0x6f, vcc_lo
	v_lshl_add_u32 v55, 0x200000, v51, -1
	v_lshlrev_b32_e64 v81, v51, 0x100000
	v_and_b32_e32 v55, v55, v17
	v_cmp_eq_u32_e64 s16, v55, v81
	v_lshrrev_b32_e32 v55, v51, v17
	v_add_nc_u32_e32 v17, 0xffffff91, v31
	v_lshrrev_b32_e32 v31, 23, v55
	v_cndmask_b32_e64 v17, v17, 0xffffff92, vcc_lo
	v_xor_b32_e32 v31, 1, v31
	v_add_nc_u32_e32 v17, v51, v17
	v_bfe_u32 v51, v55, 21, 1
	v_add_nc_u32_e32 v51, -1, v51
	v_cndmask_b32_e64 v51, 0, v51, s16
	s_mov_b32 s16, exec_lo
	v_add_nc_u32_e32 v51, v51, v55
	v_and_b32_e32 v51, 0x1fffff, v51
	v_add_nc_u32_e32 v51, v51, v55
                                        ; implicit-def: $vgpr55
	v_cmpx_ne_u32_e64 v17, v31
	s_xor_b32 s16, exec_lo, s16
; %bb.12274:                            ;   in Loop: Header=BB6_11223 Depth=3
	v_cmp_lt_u32_e32 vcc_lo, 0xffffff, v51
	v_sub_nc_u32_e32 v17, v17, v31
	v_cndmask_b32_e64 v31, 0, 1, vcc_lo
	v_add_co_ci_u32_e64 v55, null, 0, v17, vcc_lo
	v_lshrrev_b32_e32 v51, v31, v51
; %bb.12275:                            ;   in Loop: Header=BB6_11223 Depth=3
	s_andn2_saveexec_b32 s16, s16
; %bb.12276:                            ;   in Loop: Header=BB6_11223 Depth=3
	v_bfe_u32 v55, v51, 23, 1
; %bb.12277:                            ;   in Loop: Header=BB6_11223 Depth=3
	s_or_b32 exec_lo, exec_lo, s16
	v_and_b32_sdwa v17, v27, v117 dst_sel:DWORD dst_unused:UNUSED_PAD src0_sel:BYTE_3 src1_sel:DWORD
	v_lshrrev_b32_e32 v27, 21, v51
	v_cmp_gt_i32_e32 vcc_lo, 32, v55
	v_min_i32_e32 v31, 31, v55
	v_cndmask_b32_e32 v27, 3, v27, vcc_lo
	v_lshlrev_b32_e32 v31, 2, v31
	v_or_b32_e32 v51, v55, v27
	v_and_b32_e32 v27, 3, v27
	v_cmp_ne_u32_e32 vcc_lo, 0, v51
	v_or3_b32 v17, v31, v17, v27
	v_cndmask_b32_e32 v17, 0, v17, vcc_lo
.LBB6_12278:                            ;   in Loop: Header=BB6_11223 Depth=3
	s_or_b32 exec_lo, exec_lo, s23
.LBB6_12279:                            ;   in Loop: Header=BB6_11223 Depth=3
	s_or_b32 exec_lo, exec_lo, s19
	v_cmp_gt_i16_sdwa s16, v16, v116 src0_sel:BYTE_0 src1_sel:DWORD
	s_mov_b32 s19, 0
	s_and_saveexec_b32 s23, s16
	s_xor_b32 s16, exec_lo, s23
	s_cbranch_execz .LBB6_12501
; %bb.12280:                            ;   in Loop: Header=BB6_11223 Depth=3
	v_cmp_eq_u16_sdwa s72, v16, v117 src0_sel:BYTE_0 src1_sel:DWORD
	s_mov_b32 s19, -1
	s_and_saveexec_b32 s23, s72
; %bb.12281:                            ;   in Loop: Header=BB6_11223 Depth=3
	s_xor_b32 s19, exec_lo, -1
; %bb.12282:                            ;   in Loop: Header=BB6_11223 Depth=3
	s_or_b32 exec_lo, exec_lo, s23
	s_and_b32 s19, s19, exec_lo
	s_or_saveexec_b32 s16, s16
	v_mov_b32_e32 v27, 0x7f800001
	s_xor_b32 exec_lo, exec_lo, s16
	s_cbranch_execnz .LBB6_12502
.LBB6_12283:                            ;   in Loop: Header=BB6_11223 Depth=3
	s_or_b32 exec_lo, exec_lo, s16
	s_and_saveexec_b32 s16, s19
	s_cbranch_execz .LBB6_12285
.LBB6_12284:                            ;   in Loop: Header=BB6_11223 Depth=3
	v_and_b32_e32 v27, 3, v16
	v_lshrrev_b16 v51, 2, v16
	v_ffbh_u32_e32 v31, v27
	v_and_b32_e32 v51, 31, v51
	v_min_u32_e32 v31, 32, v31
	v_cmp_eq_u32_e32 vcc_lo, 0, v51
	v_subrev_nc_u32_e32 v55, 29, v31
	v_sub_nc_u32_e32 v31, 30, v31
	v_lshlrev_b32_e32 v55, v55, v16
	v_lshlrev_b32_e32 v16, 24, v16
	v_cndmask_b32_e32 v31, v51, v31, vcc_lo
	v_and_b32_e32 v55, 3, v55
	v_and_b32_e32 v16, 0x80000000, v16
	v_lshl_add_u32 v31, v31, 23, 0x37800000
	v_cndmask_b32_e32 v27, v27, v55, vcc_lo
	v_lshlrev_b32_e32 v27, 21, v27
	v_or3_b32 v27, v16, v31, v27
.LBB6_12285:                            ;   in Loop: Header=BB6_11223 Depth=3
	s_or_b32 exec_lo, exec_lo, s16
	s_waitcnt vmcnt(1) lgkmcnt(1)
	v_cmp_gt_i16_sdwa s19, v22, v116 src0_sel:BYTE_0 src1_sel:DWORD
	s_mov_b32 s16, 0
	s_and_saveexec_b32 s23, s19
	s_xor_b32 s19, exec_lo, s23
	s_cbranch_execz .LBB6_12503
; %bb.12286:                            ;   in Loop: Header=BB6_11223 Depth=3
	v_cmp_eq_u16_sdwa s72, v22, v117 src0_sel:BYTE_0 src1_sel:DWORD
	s_mov_b32 s16, -1
	s_and_saveexec_b32 s23, s72
; %bb.12287:                            ;   in Loop: Header=BB6_11223 Depth=3
	s_xor_b32 s16, exec_lo, -1
; %bb.12288:                            ;   in Loop: Header=BB6_11223 Depth=3
	s_or_b32 exec_lo, exec_lo, s23
	s_and_b32 s16, s16, exec_lo
	s_or_saveexec_b32 s19, s19
	v_mov_b32_e32 v16, 0x7f800001
	s_xor_b32 exec_lo, exec_lo, s19
	s_cbranch_execnz .LBB6_12504
.LBB6_12289:                            ;   in Loop: Header=BB6_11223 Depth=3
	s_or_b32 exec_lo, exec_lo, s19
	s_and_saveexec_b32 s19, s16
	s_cbranch_execz .LBB6_12291
.LBB6_12290:                            ;   in Loop: Header=BB6_11223 Depth=3
	v_and_b32_e32 v16, 3, v22
	v_lshrrev_b16 v51, 2, v22
	v_ffbh_u32_e32 v31, v16
	v_and_b32_e32 v51, 31, v51
	v_min_u32_e32 v31, 32, v31
	v_cmp_eq_u32_e32 vcc_lo, 0, v51
	v_subrev_nc_u32_e32 v55, 29, v31
	v_sub_nc_u32_e32 v31, 30, v31
	v_lshlrev_b32_e32 v55, v55, v22
	v_lshlrev_b32_e32 v22, 24, v22
	v_cndmask_b32_e32 v31, v51, v31, vcc_lo
	v_and_b32_e32 v55, 3, v55
	v_and_b32_e32 v22, 0x80000000, v22
	v_lshl_add_u32 v31, v31, 23, 0x37800000
	v_cndmask_b32_e32 v16, v16, v55, vcc_lo
	v_lshlrev_b32_e32 v16, 21, v16
	v_or3_b32 v16, v22, v31, v16
.LBB6_12291:                            ;   in Loop: Header=BB6_11223 Depth=3
	s_or_b32 exec_lo, exec_lo, s19
	v_add_f32_e32 v22, v27, v16
	v_and_b32_e32 v16, 0x7f800000, v22
	v_cmp_ne_u32_e32 vcc_lo, 0x7f800000, v16
	v_mov_b32_e32 v16, 0x80
	s_and_saveexec_b32 s19, vcc_lo
	s_cbranch_execz .LBB6_12299
; %bb.12292:                            ;   in Loop: Header=BB6_11223 Depth=3
	v_mov_b32_e32 v16, 0
	s_mov_b32 s23, exec_lo
	v_cmpx_ne_u32_e32 0, v22
	s_cbranch_execz .LBB6_12298
; %bb.12293:                            ;   in Loop: Header=BB6_11223 Depth=3
	v_bfe_u32 v27, v22, 23, 8
	v_and_b32_e32 v16, 0x7fffff, v22
	v_cmp_gt_u32_e64 s16, 0x71, v27
	v_sub_nc_u32_e32 v31, 0x70, v27
	v_cmp_eq_u32_e32 vcc_lo, 0, v27
	v_or_b32_e32 v51, 0x800000, v16
	v_cndmask_b32_e64 v31, 0, v31, s16
	v_cndmask_b32_e32 v16, v51, v16, vcc_lo
	v_cndmask_b32_e64 v31, v31, 0x6f, vcc_lo
	v_lshl_add_u32 v51, 0x200000, v31, -1
	v_lshlrev_b32_e64 v55, v31, 0x100000
	v_and_b32_e32 v51, v51, v16
	v_cmp_eq_u32_e64 s16, v51, v55
	v_lshrrev_b32_e32 v51, v31, v16
	v_add_nc_u32_e32 v16, 0xffffff91, v27
	v_lshrrev_b32_e32 v27, 23, v51
	v_cndmask_b32_e64 v16, v16, 0xffffff92, vcc_lo
	v_xor_b32_e32 v27, 1, v27
	v_add_nc_u32_e32 v16, v31, v16
	v_bfe_u32 v31, v51, 21, 1
	v_add_nc_u32_e32 v31, -1, v31
	v_cndmask_b32_e64 v31, 0, v31, s16
	s_mov_b32 s16, exec_lo
	v_add_nc_u32_e32 v31, v31, v51
	v_and_b32_e32 v31, 0x1fffff, v31
	v_add_nc_u32_e32 v31, v31, v51
                                        ; implicit-def: $vgpr51
	v_cmpx_ne_u32_e64 v16, v27
	s_xor_b32 s16, exec_lo, s16
; %bb.12294:                            ;   in Loop: Header=BB6_11223 Depth=3
	v_cmp_lt_u32_e32 vcc_lo, 0xffffff, v31
	v_sub_nc_u32_e32 v16, v16, v27
	v_cndmask_b32_e64 v27, 0, 1, vcc_lo
	v_add_co_ci_u32_e64 v51, null, 0, v16, vcc_lo
	v_lshrrev_b32_e32 v31, v27, v31
; %bb.12295:                            ;   in Loop: Header=BB6_11223 Depth=3
	s_andn2_saveexec_b32 s16, s16
; %bb.12296:                            ;   in Loop: Header=BB6_11223 Depth=3
	v_bfe_u32 v51, v31, 23, 1
; %bb.12297:                            ;   in Loop: Header=BB6_11223 Depth=3
	s_or_b32 exec_lo, exec_lo, s16
	v_and_b32_sdwa v16, v22, v117 dst_sel:DWORD dst_unused:UNUSED_PAD src0_sel:BYTE_3 src1_sel:DWORD
	v_lshrrev_b32_e32 v22, 21, v31
	v_cmp_gt_i32_e32 vcc_lo, 32, v51
	v_min_i32_e32 v27, 31, v51
	v_cndmask_b32_e32 v22, 3, v22, vcc_lo
	v_lshlrev_b32_e32 v27, 2, v27
	v_or_b32_e32 v31, v51, v22
	v_and_b32_e32 v22, 3, v22
	v_cmp_ne_u32_e32 vcc_lo, 0, v31
	v_or3_b32 v16, v27, v16, v22
	v_cndmask_b32_e32 v16, 0, v16, vcc_lo
.LBB6_12298:                            ;   in Loop: Header=BB6_11223 Depth=3
	s_or_b32 exec_lo, exec_lo, s23
.LBB6_12299:                            ;   in Loop: Header=BB6_11223 Depth=3
	s_or_b32 exec_lo, exec_lo, s19
	v_cmp_gt_i16_sdwa s16, v6, v116 src0_sel:BYTE_0 src1_sel:DWORD
	s_mov_b32 s19, 0
	s_and_saveexec_b32 s23, s16
	s_xor_b32 s16, exec_lo, s23
	s_cbranch_execz .LBB6_12505
; %bb.12300:                            ;   in Loop: Header=BB6_11223 Depth=3
	v_cmp_eq_u16_sdwa s72, v6, v117 src0_sel:BYTE_0 src1_sel:DWORD
	s_mov_b32 s19, -1
	s_and_saveexec_b32 s23, s72
; %bb.12301:                            ;   in Loop: Header=BB6_11223 Depth=3
	s_xor_b32 s19, exec_lo, -1
; %bb.12302:                            ;   in Loop: Header=BB6_11223 Depth=3
	s_or_b32 exec_lo, exec_lo, s23
	s_and_b32 s19, s19, exec_lo
	s_or_saveexec_b32 s16, s16
	v_mov_b32_e32 v22, 0x7f800001
	s_xor_b32 exec_lo, exec_lo, s16
	s_cbranch_execnz .LBB6_12506
.LBB6_12303:                            ;   in Loop: Header=BB6_11223 Depth=3
	s_or_b32 exec_lo, exec_lo, s16
	s_and_saveexec_b32 s16, s19
	s_cbranch_execz .LBB6_12305
.LBB6_12304:                            ;   in Loop: Header=BB6_11223 Depth=3
	v_and_b32_e32 v22, 3, v6
	v_lshrrev_b16 v31, 2, v6
	v_ffbh_u32_e32 v27, v22
	v_and_b32_e32 v31, 31, v31
	v_min_u32_e32 v27, 32, v27
	v_cmp_eq_u32_e32 vcc_lo, 0, v31
	v_subrev_nc_u32_e32 v51, 29, v27
	v_sub_nc_u32_e32 v27, 30, v27
	v_lshlrev_b32_e32 v51, v51, v6
	v_lshlrev_b32_e32 v6, 24, v6
	v_cndmask_b32_e32 v27, v31, v27, vcc_lo
	v_and_b32_e32 v51, 3, v51
	v_and_b32_e32 v6, 0x80000000, v6
	v_lshl_add_u32 v27, v27, 23, 0x37800000
	v_cndmask_b32_e32 v22, v22, v51, vcc_lo
	v_lshlrev_b32_e32 v22, 21, v22
	v_or3_b32 v22, v6, v27, v22
.LBB6_12305:                            ;   in Loop: Header=BB6_11223 Depth=3
	s_or_b32 exec_lo, exec_lo, s16
	s_waitcnt vmcnt(0) lgkmcnt(0)
	v_cmp_gt_i16_sdwa s19, v0, v116 src0_sel:BYTE_0 src1_sel:DWORD
	s_mov_b32 s16, 0
	s_and_saveexec_b32 s23, s19
	s_xor_b32 s19, exec_lo, s23
	s_cbranch_execz .LBB6_12507
; %bb.12306:                            ;   in Loop: Header=BB6_11223 Depth=3
	v_cmp_eq_u16_sdwa s72, v0, v117 src0_sel:BYTE_0 src1_sel:DWORD
	s_mov_b32 s16, -1
	s_and_saveexec_b32 s23, s72
; %bb.12307:                            ;   in Loop: Header=BB6_11223 Depth=3
	s_xor_b32 s16, exec_lo, -1
; %bb.12308:                            ;   in Loop: Header=BB6_11223 Depth=3
	s_or_b32 exec_lo, exec_lo, s23
	s_and_b32 s16, s16, exec_lo
	s_or_saveexec_b32 s19, s19
	v_mov_b32_e32 v6, 0x7f800001
	s_xor_b32 exec_lo, exec_lo, s19
	s_cbranch_execnz .LBB6_12508
.LBB6_12309:                            ;   in Loop: Header=BB6_11223 Depth=3
	s_or_b32 exec_lo, exec_lo, s19
	s_and_saveexec_b32 s19, s16
	s_cbranch_execz .LBB6_12311
.LBB6_12310:                            ;   in Loop: Header=BB6_11223 Depth=3
	v_and_b32_e32 v6, 3, v0
	v_lshrrev_b16 v31, 2, v0
	v_ffbh_u32_e32 v27, v6
	v_and_b32_e32 v31, 31, v31
	v_min_u32_e32 v27, 32, v27
	v_cmp_eq_u32_e32 vcc_lo, 0, v31
	v_subrev_nc_u32_e32 v51, 29, v27
	v_sub_nc_u32_e32 v27, 30, v27
	v_lshlrev_b32_e32 v51, v51, v0
	v_lshlrev_b32_e32 v0, 24, v0
	v_cndmask_b32_e32 v27, v31, v27, vcc_lo
	v_and_b32_e32 v51, 3, v51
	v_and_b32_e32 v0, 0x80000000, v0
	v_lshl_add_u32 v27, v27, 23, 0x37800000
	v_cndmask_b32_e32 v6, v6, v51, vcc_lo
	v_lshlrev_b32_e32 v6, 21, v6
	v_or3_b32 v6, v0, v27, v6
.LBB6_12311:                            ;   in Loop: Header=BB6_11223 Depth=3
	s_or_b32 exec_lo, exec_lo, s19
	v_add_f32_e32 v0, v22, v6
	v_and_b32_e32 v6, 0x7f800000, v0
	v_cmp_ne_u32_e32 vcc_lo, 0x7f800000, v6
	v_mov_b32_e32 v6, 0x80
	s_and_saveexec_b32 s19, vcc_lo
	s_cbranch_execz .LBB6_11222
; %bb.12312:                            ;   in Loop: Header=BB6_11223 Depth=3
	v_mov_b32_e32 v6, 0
	s_mov_b32 s23, exec_lo
	v_cmpx_ne_u32_e32 0, v0
	s_cbranch_execz .LBB6_11221
; %bb.12313:                            ;   in Loop: Header=BB6_11223 Depth=3
	v_bfe_u32 v22, v0, 23, 8
	v_and_b32_e32 v6, 0x7fffff, v0
	v_cmp_gt_u32_e64 s16, 0x71, v22
	v_sub_nc_u32_e32 v27, 0x70, v22
	v_cmp_eq_u32_e32 vcc_lo, 0, v22
	v_or_b32_e32 v31, 0x800000, v6
	v_cndmask_b32_e64 v27, 0, v27, s16
	v_cndmask_b32_e32 v6, v31, v6, vcc_lo
	v_cndmask_b32_e64 v27, v27, 0x6f, vcc_lo
	v_lshl_add_u32 v31, 0x200000, v27, -1
	v_lshlrev_b32_e64 v51, v27, 0x100000
	v_and_b32_e32 v31, v31, v6
	v_cmp_eq_u32_e64 s16, v31, v51
	v_lshrrev_b32_e32 v31, v27, v6
	v_add_nc_u32_e32 v6, 0xffffff91, v22
	v_lshrrev_b32_e32 v22, 23, v31
	v_cndmask_b32_e64 v6, v6, 0xffffff92, vcc_lo
	v_xor_b32_e32 v22, 1, v22
	v_add_nc_u32_e32 v6, v27, v6
	v_bfe_u32 v27, v31, 21, 1
	v_add_nc_u32_e32 v27, -1, v27
	v_cndmask_b32_e64 v27, 0, v27, s16
	s_mov_b32 s16, exec_lo
	v_add_nc_u32_e32 v27, v27, v31
	v_and_b32_e32 v27, 0x1fffff, v27
	v_add_nc_u32_e32 v27, v27, v31
                                        ; implicit-def: $vgpr31
	v_cmpx_ne_u32_e64 v6, v22
	s_xor_b32 s16, exec_lo, s16
; %bb.12314:                            ;   in Loop: Header=BB6_11223 Depth=3
	v_cmp_lt_u32_e32 vcc_lo, 0xffffff, v27
	v_sub_nc_u32_e32 v6, v6, v22
	v_cndmask_b32_e64 v22, 0, 1, vcc_lo
	v_add_co_ci_u32_e64 v31, null, 0, v6, vcc_lo
	v_lshrrev_b32_e32 v27, v22, v27
; %bb.12315:                            ;   in Loop: Header=BB6_11223 Depth=3
	s_andn2_saveexec_b32 s16, s16
	s_cbranch_execz .LBB6_11220
; %bb.12316:                            ;   in Loop: Header=BB6_11223 Depth=3
	v_bfe_u32 v31, v27, 23, 1
	s_branch .LBB6_11220
.LBB6_12317:                            ;   in Loop: Header=BB6_11223 Depth=3
	s_or_saveexec_b32 s19, s19
	v_mov_b32_e32 v7, 0x7f800001
	s_xor_b32 exec_lo, exec_lo, s19
	s_cbranch_execz .LBB6_11235
.LBB6_12318:                            ;   in Loop: Header=BB6_11223 Depth=3
	v_cmp_ne_u16_e32 vcc_lo, 0, v6
	v_mov_b32_e32 v7, 0
	s_andn2_b32 s16, s16, exec_lo
	s_and_b32 s23, vcc_lo, exec_lo
	s_or_b32 s16, s16, s23
	s_or_b32 exec_lo, exec_lo, s19
	s_and_saveexec_b32 s19, s16
	s_cbranch_execnz .LBB6_11236
	s_branch .LBB6_11237
.LBB6_12319:                            ;   in Loop: Header=BB6_11223 Depth=3
	s_or_saveexec_b32 s19, s19
	v_mov_b32_e32 v16, 0x7f800001
	s_xor_b32 exec_lo, exec_lo, s19
	s_cbranch_execz .LBB6_11249
.LBB6_12320:                            ;   in Loop: Header=BB6_11223 Depth=3
	v_cmp_ne_u16_e32 vcc_lo, 0, v6
	v_mov_b32_e32 v16, 0
	s_andn2_b32 s16, s16, exec_lo
	s_and_b32 s23, vcc_lo, exec_lo
	s_or_b32 s16, s16, s23
	s_or_b32 exec_lo, exec_lo, s19
	s_and_saveexec_b32 s19, s16
	s_cbranch_execnz .LBB6_11250
	s_branch .LBB6_11251
.LBB6_12321:                            ;   in Loop: Header=BB6_11223 Depth=3
	s_or_saveexec_b32 s19, s19
	v_mov_b32_e32 v16, 0x7f800001
	s_xor_b32 exec_lo, exec_lo, s19
	s_cbranch_execz .LBB6_11263
.LBB6_12322:                            ;   in Loop: Header=BB6_11223 Depth=3
	v_cmp_ne_u16_e32 vcc_lo, 0, v6
	v_mov_b32_e32 v16, 0
	s_andn2_b32 s16, s16, exec_lo
	s_and_b32 s23, vcc_lo, exec_lo
	s_or_b32 s16, s16, s23
	s_or_b32 exec_lo, exec_lo, s19
	s_and_saveexec_b32 s19, s16
	s_cbranch_execnz .LBB6_11264
	s_branch .LBB6_11265
.LBB6_12323:                            ;   in Loop: Header=BB6_11223 Depth=3
	s_or_saveexec_b32 s19, s19
	v_mov_b32_e32 v16, 0x7f800001
	s_xor_b32 exec_lo, exec_lo, s19
	s_cbranch_execz .LBB6_11277
.LBB6_12324:                            ;   in Loop: Header=BB6_11223 Depth=3
	v_cmp_ne_u16_e32 vcc_lo, 0, v6
	v_mov_b32_e32 v16, 0
	s_andn2_b32 s16, s16, exec_lo
	s_and_b32 s23, vcc_lo, exec_lo
	s_or_b32 s16, s16, s23
	s_or_b32 exec_lo, exec_lo, s19
	s_and_saveexec_b32 s19, s16
	s_cbranch_execnz .LBB6_11278
	s_branch .LBB6_11279
.LBB6_12325:                            ;   in Loop: Header=BB6_11223 Depth=3
	s_or_saveexec_b32 s19, s19
	v_mov_b32_e32 v16, 0x7f800001
	s_xor_b32 exec_lo, exec_lo, s19
	s_cbranch_execz .LBB6_11291
.LBB6_12326:                            ;   in Loop: Header=BB6_11223 Depth=3
	v_cmp_ne_u16_e32 vcc_lo, 0, v6
	v_mov_b32_e32 v16, 0
	s_andn2_b32 s16, s16, exec_lo
	s_and_b32 s23, vcc_lo, exec_lo
	s_or_b32 s16, s16, s23
	s_or_b32 exec_lo, exec_lo, s19
	s_and_saveexec_b32 s19, s16
	s_cbranch_execnz .LBB6_11292
	s_branch .LBB6_11293
.LBB6_12327:                            ;   in Loop: Header=BB6_11223 Depth=3
	s_or_saveexec_b32 s19, s19
	v_mov_b32_e32 v16, 0x7f800001
	s_xor_b32 exec_lo, exec_lo, s19
	s_cbranch_execz .LBB6_11305
.LBB6_12328:                            ;   in Loop: Header=BB6_11223 Depth=3
	v_cmp_ne_u16_e32 vcc_lo, 0, v6
	v_mov_b32_e32 v16, 0
	s_andn2_b32 s16, s16, exec_lo
	s_and_b32 s23, vcc_lo, exec_lo
	s_or_b32 s16, s16, s23
	s_or_b32 exec_lo, exec_lo, s19
	s_and_saveexec_b32 s19, s16
	s_cbranch_execnz .LBB6_11306
	s_branch .LBB6_11307
.LBB6_12329:                            ;   in Loop: Header=BB6_11223 Depth=3
	s_or_saveexec_b32 s19, s19
	v_mov_b32_e32 v16, 0x7f800001
	s_xor_b32 exec_lo, exec_lo, s19
	s_cbranch_execz .LBB6_11319
.LBB6_12330:                            ;   in Loop: Header=BB6_11223 Depth=3
	v_cmp_ne_u16_e32 vcc_lo, 0, v6
	v_mov_b32_e32 v16, 0
	s_andn2_b32 s16, s16, exec_lo
	s_and_b32 s23, vcc_lo, exec_lo
	s_or_b32 s16, s16, s23
	s_or_b32 exec_lo, exec_lo, s19
	s_and_saveexec_b32 s19, s16
	s_cbranch_execnz .LBB6_11320
	s_branch .LBB6_11321
.LBB6_12331:                            ;   in Loop: Header=BB6_11223 Depth=3
	s_or_saveexec_b32 s19, s19
	v_mov_b32_e32 v16, 0x7f800001
	s_xor_b32 exec_lo, exec_lo, s19
	s_cbranch_execz .LBB6_11333
.LBB6_12332:                            ;   in Loop: Header=BB6_11223 Depth=3
	v_cmp_ne_u16_e32 vcc_lo, 0, v6
	v_mov_b32_e32 v16, 0
	s_andn2_b32 s16, s16, exec_lo
	s_and_b32 s23, vcc_lo, exec_lo
	s_or_b32 s16, s16, s23
	s_or_b32 exec_lo, exec_lo, s19
	s_and_saveexec_b32 s19, s16
	s_cbranch_execnz .LBB6_11334
	s_branch .LBB6_11335
.LBB6_12333:                            ;   in Loop: Header=BB6_11223 Depth=3
	s_or_saveexec_b32 s19, s19
	v_mov_b32_e32 v16, 0x7f800001
	s_xor_b32 exec_lo, exec_lo, s19
	s_cbranch_execz .LBB6_11347
.LBB6_12334:                            ;   in Loop: Header=BB6_11223 Depth=3
	v_cmp_ne_u16_e32 vcc_lo, 0, v6
	v_mov_b32_e32 v16, 0
	s_andn2_b32 s16, s16, exec_lo
	s_and_b32 s23, vcc_lo, exec_lo
	s_or_b32 s16, s16, s23
	s_or_b32 exec_lo, exec_lo, s19
	s_and_saveexec_b32 s19, s16
	s_cbranch_execnz .LBB6_11348
	s_branch .LBB6_11349
.LBB6_12335:                            ;   in Loop: Header=BB6_11223 Depth=3
	s_or_saveexec_b32 s19, s19
	v_mov_b32_e32 v16, 0x7f800001
	s_xor_b32 exec_lo, exec_lo, s19
	s_cbranch_execz .LBB6_11361
.LBB6_12336:                            ;   in Loop: Header=BB6_11223 Depth=3
	v_cmp_ne_u16_e32 vcc_lo, 0, v6
	v_mov_b32_e32 v16, 0
	s_andn2_b32 s16, s16, exec_lo
	s_and_b32 s23, vcc_lo, exec_lo
	s_or_b32 s16, s16, s23
	s_or_b32 exec_lo, exec_lo, s19
	s_and_saveexec_b32 s19, s16
	s_cbranch_execnz .LBB6_11362
	s_branch .LBB6_11363
.LBB6_12337:                            ;   in Loop: Header=BB6_11223 Depth=3
	s_or_saveexec_b32 s19, s19
	v_mov_b32_e32 v16, 0x7f800001
	s_xor_b32 exec_lo, exec_lo, s19
	s_cbranch_execz .LBB6_11375
.LBB6_12338:                            ;   in Loop: Header=BB6_11223 Depth=3
	v_cmp_ne_u16_e32 vcc_lo, 0, v6
	v_mov_b32_e32 v16, 0
	s_andn2_b32 s16, s16, exec_lo
	s_and_b32 s23, vcc_lo, exec_lo
	s_or_b32 s16, s16, s23
	s_or_b32 exec_lo, exec_lo, s19
	s_and_saveexec_b32 s19, s16
	s_cbranch_execnz .LBB6_11376
	s_branch .LBB6_11377
.LBB6_12339:                            ;   in Loop: Header=BB6_11223 Depth=3
	s_or_saveexec_b32 s19, s19
	v_mov_b32_e32 v16, 0x7f800001
	s_xor_b32 exec_lo, exec_lo, s19
	s_cbranch_execz .LBB6_11389
.LBB6_12340:                            ;   in Loop: Header=BB6_11223 Depth=3
	v_cmp_ne_u16_e32 vcc_lo, 0, v6
	v_mov_b32_e32 v16, 0
	s_andn2_b32 s16, s16, exec_lo
	s_and_b32 s23, vcc_lo, exec_lo
	s_or_b32 s16, s16, s23
	s_or_b32 exec_lo, exec_lo, s19
	s_and_saveexec_b32 s19, s16
	s_cbranch_execnz .LBB6_11390
	s_branch .LBB6_11391
.LBB6_12341:                            ;   in Loop: Header=BB6_11223 Depth=3
	s_or_saveexec_b32 s19, s19
	v_mov_b32_e32 v16, 0x7f800001
	s_xor_b32 exec_lo, exec_lo, s19
	s_cbranch_execz .LBB6_11403
.LBB6_12342:                            ;   in Loop: Header=BB6_11223 Depth=3
	v_cmp_ne_u16_e32 vcc_lo, 0, v6
	v_mov_b32_e32 v16, 0
	s_andn2_b32 s16, s16, exec_lo
	s_and_b32 s23, vcc_lo, exec_lo
	s_or_b32 s16, s16, s23
	s_or_b32 exec_lo, exec_lo, s19
	s_and_saveexec_b32 s19, s16
	s_cbranch_execnz .LBB6_11404
	s_branch .LBB6_11405
.LBB6_12343:                            ;   in Loop: Header=BB6_11223 Depth=3
	s_or_saveexec_b32 s19, s19
	v_mov_b32_e32 v16, 0x7f800001
	s_xor_b32 exec_lo, exec_lo, s19
	s_cbranch_execz .LBB6_11417
.LBB6_12344:                            ;   in Loop: Header=BB6_11223 Depth=3
	v_cmp_ne_u16_e32 vcc_lo, 0, v6
	v_mov_b32_e32 v16, 0
	s_andn2_b32 s16, s16, exec_lo
	s_and_b32 s23, vcc_lo, exec_lo
	s_or_b32 s16, s16, s23
	s_or_b32 exec_lo, exec_lo, s19
	s_and_saveexec_b32 s19, s16
	s_cbranch_execnz .LBB6_11418
	s_branch .LBB6_11419
.LBB6_12345:                            ;   in Loop: Header=BB6_11223 Depth=3
	s_or_saveexec_b32 s19, s19
	v_mov_b32_e32 v16, 0x7f800001
	s_xor_b32 exec_lo, exec_lo, s19
	s_cbranch_execz .LBB6_11431
.LBB6_12346:                            ;   in Loop: Header=BB6_11223 Depth=3
	v_cmp_ne_u16_e32 vcc_lo, 0, v6
	v_mov_b32_e32 v16, 0
	s_andn2_b32 s16, s16, exec_lo
	s_and_b32 s23, vcc_lo, exec_lo
	s_or_b32 s16, s16, s23
	s_or_b32 exec_lo, exec_lo, s19
	s_and_saveexec_b32 s19, s16
	s_cbranch_execnz .LBB6_11432
	s_branch .LBB6_11433
.LBB6_12347:                            ;   in Loop: Header=BB6_11223 Depth=3
	s_or_saveexec_b32 s19, s19
	v_mov_b32_e32 v16, 0x7f800001
	s_xor_b32 exec_lo, exec_lo, s19
	s_cbranch_execz .LBB6_11445
.LBB6_12348:                            ;   in Loop: Header=BB6_11223 Depth=3
	v_cmp_ne_u16_e32 vcc_lo, 0, v6
	v_mov_b32_e32 v16, 0
	s_andn2_b32 s16, s16, exec_lo
	s_and_b32 s23, vcc_lo, exec_lo
	s_or_b32 s16, s16, s23
	s_or_b32 exec_lo, exec_lo, s19
	s_and_saveexec_b32 s19, s16
	s_cbranch_execnz .LBB6_11446
	s_branch .LBB6_11447
.LBB6_12349:                            ;   in Loop: Header=BB6_11223 Depth=3
	s_or_saveexec_b32 s19, s19
	v_mov_b32_e32 v16, 0x7f800001
	s_xor_b32 exec_lo, exec_lo, s19
	s_cbranch_execz .LBB6_11459
.LBB6_12350:                            ;   in Loop: Header=BB6_11223 Depth=3
	v_cmp_ne_u16_e32 vcc_lo, 0, v6
	v_mov_b32_e32 v16, 0
	s_andn2_b32 s16, s16, exec_lo
	s_and_b32 s23, vcc_lo, exec_lo
	s_or_b32 s16, s16, s23
	s_or_b32 exec_lo, exec_lo, s19
	s_and_saveexec_b32 s19, s16
	s_cbranch_execnz .LBB6_11460
	s_branch .LBB6_11461
.LBB6_12351:                            ;   in Loop: Header=BB6_11223 Depth=3
	s_or_saveexec_b32 s19, s19
	v_mov_b32_e32 v16, 0x7f800001
	s_xor_b32 exec_lo, exec_lo, s19
	s_cbranch_execz .LBB6_11473
.LBB6_12352:                            ;   in Loop: Header=BB6_11223 Depth=3
	v_cmp_ne_u16_e32 vcc_lo, 0, v6
	v_mov_b32_e32 v16, 0
	s_andn2_b32 s16, s16, exec_lo
	s_and_b32 s23, vcc_lo, exec_lo
	s_or_b32 s16, s16, s23
	s_or_b32 exec_lo, exec_lo, s19
	s_and_saveexec_b32 s19, s16
	s_cbranch_execnz .LBB6_11474
	s_branch .LBB6_11475
.LBB6_12353:                            ;   in Loop: Header=BB6_11223 Depth=3
	s_or_saveexec_b32 s19, s19
	v_mov_b32_e32 v16, 0x7f800001
	s_xor_b32 exec_lo, exec_lo, s19
	s_cbranch_execz .LBB6_11487
.LBB6_12354:                            ;   in Loop: Header=BB6_11223 Depth=3
	v_cmp_ne_u16_e32 vcc_lo, 0, v6
	v_mov_b32_e32 v16, 0
	s_andn2_b32 s16, s16, exec_lo
	s_and_b32 s23, vcc_lo, exec_lo
	s_or_b32 s16, s16, s23
	s_or_b32 exec_lo, exec_lo, s19
	s_and_saveexec_b32 s19, s16
	s_cbranch_execnz .LBB6_11488
	s_branch .LBB6_11489
.LBB6_12355:                            ;   in Loop: Header=BB6_11223 Depth=3
	s_or_saveexec_b32 s19, s19
	v_mov_b32_e32 v16, 0x7f800001
	s_xor_b32 exec_lo, exec_lo, s19
	s_cbranch_execz .LBB6_11501
.LBB6_12356:                            ;   in Loop: Header=BB6_11223 Depth=3
	v_cmp_ne_u16_e32 vcc_lo, 0, v6
	v_mov_b32_e32 v16, 0
	s_andn2_b32 s16, s16, exec_lo
	s_and_b32 s23, vcc_lo, exec_lo
	s_or_b32 s16, s16, s23
	s_or_b32 exec_lo, exec_lo, s19
	s_and_saveexec_b32 s19, s16
	s_cbranch_execnz .LBB6_11502
	s_branch .LBB6_11503
.LBB6_12357:                            ;   in Loop: Header=BB6_11223 Depth=3
	s_or_saveexec_b32 s19, s19
	v_mov_b32_e32 v16, 0x7f800001
	s_xor_b32 exec_lo, exec_lo, s19
	s_cbranch_execz .LBB6_11515
.LBB6_12358:                            ;   in Loop: Header=BB6_11223 Depth=3
	v_cmp_ne_u16_e32 vcc_lo, 0, v6
	v_mov_b32_e32 v16, 0
	s_andn2_b32 s16, s16, exec_lo
	s_and_b32 s23, vcc_lo, exec_lo
	s_or_b32 s16, s16, s23
	s_or_b32 exec_lo, exec_lo, s19
	s_and_saveexec_b32 s19, s16
	s_cbranch_execnz .LBB6_11516
	s_branch .LBB6_11517
.LBB6_12359:                            ;   in Loop: Header=BB6_11223 Depth=3
	s_or_saveexec_b32 s19, s19
	v_mov_b32_e32 v16, 0x7f800001
	s_xor_b32 exec_lo, exec_lo, s19
	s_cbranch_execz .LBB6_11529
.LBB6_12360:                            ;   in Loop: Header=BB6_11223 Depth=3
	v_cmp_ne_u16_e32 vcc_lo, 0, v6
	v_mov_b32_e32 v16, 0
	s_andn2_b32 s16, s16, exec_lo
	s_and_b32 s23, vcc_lo, exec_lo
	s_or_b32 s16, s16, s23
	s_or_b32 exec_lo, exec_lo, s19
	s_and_saveexec_b32 s19, s16
	s_cbranch_execnz .LBB6_11530
	s_branch .LBB6_11531
.LBB6_12361:                            ;   in Loop: Header=BB6_11223 Depth=3
	s_or_saveexec_b32 s19, s19
	v_mov_b32_e32 v16, 0x7f800001
	s_xor_b32 exec_lo, exec_lo, s19
	s_cbranch_execz .LBB6_11543
.LBB6_12362:                            ;   in Loop: Header=BB6_11223 Depth=3
	v_cmp_ne_u16_e32 vcc_lo, 0, v6
	v_mov_b32_e32 v16, 0
	s_andn2_b32 s16, s16, exec_lo
	s_and_b32 s23, vcc_lo, exec_lo
	s_or_b32 s16, s16, s23
	s_or_b32 exec_lo, exec_lo, s19
	s_and_saveexec_b32 s19, s16
	s_cbranch_execnz .LBB6_11544
	s_branch .LBB6_11545
.LBB6_12363:                            ;   in Loop: Header=BB6_11223 Depth=3
	s_or_saveexec_b32 s19, s19
	v_mov_b32_e32 v16, 0x7f800001
	s_xor_b32 exec_lo, exec_lo, s19
	s_cbranch_execz .LBB6_11557
.LBB6_12364:                            ;   in Loop: Header=BB6_11223 Depth=3
	v_cmp_ne_u16_e32 vcc_lo, 0, v6
	v_mov_b32_e32 v16, 0
	s_andn2_b32 s16, s16, exec_lo
	s_and_b32 s23, vcc_lo, exec_lo
	s_or_b32 s16, s16, s23
	s_or_b32 exec_lo, exec_lo, s19
	s_and_saveexec_b32 s19, s16
	s_cbranch_execnz .LBB6_11558
	s_branch .LBB6_11559
.LBB6_12365:                            ;   in Loop: Header=BB6_11223 Depth=3
	s_or_saveexec_b32 s19, s19
	v_mov_b32_e32 v16, 0x7f800001
	s_xor_b32 exec_lo, exec_lo, s19
	s_cbranch_execz .LBB6_11571
.LBB6_12366:                            ;   in Loop: Header=BB6_11223 Depth=3
	v_cmp_ne_u16_e32 vcc_lo, 0, v6
	v_mov_b32_e32 v16, 0
	s_andn2_b32 s16, s16, exec_lo
	s_and_b32 s23, vcc_lo, exec_lo
	s_or_b32 s16, s16, s23
	s_or_b32 exec_lo, exec_lo, s19
	s_and_saveexec_b32 s19, s16
	s_cbranch_execnz .LBB6_11572
	s_branch .LBB6_11573
.LBB6_12367:                            ;   in Loop: Header=BB6_11223 Depth=3
	s_or_saveexec_b32 s19, s19
	v_mov_b32_e32 v16, 0x7f800001
	s_xor_b32 exec_lo, exec_lo, s19
	s_cbranch_execz .LBB6_11585
.LBB6_12368:                            ;   in Loop: Header=BB6_11223 Depth=3
	v_cmp_ne_u16_e32 vcc_lo, 0, v6
	v_mov_b32_e32 v16, 0
	s_andn2_b32 s16, s16, exec_lo
	s_and_b32 s23, vcc_lo, exec_lo
	s_or_b32 s16, s16, s23
	s_or_b32 exec_lo, exec_lo, s19
	s_and_saveexec_b32 s19, s16
	s_cbranch_execnz .LBB6_11586
	s_branch .LBB6_11587
.LBB6_12369:                            ;   in Loop: Header=BB6_11223 Depth=3
	s_or_saveexec_b32 s19, s19
	v_mov_b32_e32 v16, 0x7f800001
	s_xor_b32 exec_lo, exec_lo, s19
	s_cbranch_execz .LBB6_11599
.LBB6_12370:                            ;   in Loop: Header=BB6_11223 Depth=3
	v_cmp_ne_u16_e32 vcc_lo, 0, v6
	v_mov_b32_e32 v16, 0
	s_andn2_b32 s16, s16, exec_lo
	s_and_b32 s23, vcc_lo, exec_lo
	s_or_b32 s16, s16, s23
	s_or_b32 exec_lo, exec_lo, s19
	s_and_saveexec_b32 s19, s16
	s_cbranch_execnz .LBB6_11600
	s_branch .LBB6_11601
.LBB6_12371:                            ;   in Loop: Header=BB6_11223 Depth=3
	s_or_saveexec_b32 s19, s19
	v_mov_b32_e32 v16, 0x7f800001
	s_xor_b32 exec_lo, exec_lo, s19
	s_cbranch_execz .LBB6_11613
.LBB6_12372:                            ;   in Loop: Header=BB6_11223 Depth=3
	v_cmp_ne_u16_e32 vcc_lo, 0, v6
	v_mov_b32_e32 v16, 0
	s_andn2_b32 s16, s16, exec_lo
	s_and_b32 s23, vcc_lo, exec_lo
	s_or_b32 s16, s16, s23
	s_or_b32 exec_lo, exec_lo, s19
	s_and_saveexec_b32 s19, s16
	s_cbranch_execnz .LBB6_11614
	s_branch .LBB6_11615
.LBB6_12373:                            ;   in Loop: Header=BB6_11223 Depth=3
	s_or_saveexec_b32 s19, s19
	v_mov_b32_e32 v16, 0x7f800001
	s_xor_b32 exec_lo, exec_lo, s19
	s_cbranch_execz .LBB6_11627
.LBB6_12374:                            ;   in Loop: Header=BB6_11223 Depth=3
	v_cmp_ne_u16_e32 vcc_lo, 0, v6
	v_mov_b32_e32 v16, 0
	s_andn2_b32 s16, s16, exec_lo
	s_and_b32 s23, vcc_lo, exec_lo
	s_or_b32 s16, s16, s23
	s_or_b32 exec_lo, exec_lo, s19
	s_and_saveexec_b32 s19, s16
	s_cbranch_execnz .LBB6_11628
	s_branch .LBB6_11629
.LBB6_12375:                            ;   in Loop: Header=BB6_11223 Depth=3
	s_or_saveexec_b32 s19, s19
	v_mov_b32_e32 v16, 0x7f800001
	s_xor_b32 exec_lo, exec_lo, s19
	s_cbranch_execz .LBB6_11641
.LBB6_12376:                            ;   in Loop: Header=BB6_11223 Depth=3
	v_cmp_ne_u16_e32 vcc_lo, 0, v6
	v_mov_b32_e32 v16, 0
	s_andn2_b32 s16, s16, exec_lo
	s_and_b32 s23, vcc_lo, exec_lo
	s_or_b32 s16, s16, s23
	s_or_b32 exec_lo, exec_lo, s19
	s_and_saveexec_b32 s19, s16
	s_cbranch_execnz .LBB6_11642
	s_branch .LBB6_11643
.LBB6_12377:                            ;   in Loop: Header=BB6_11223 Depth=3
	s_or_saveexec_b32 s19, s19
	v_mov_b32_e32 v16, 0x7f800001
	s_xor_b32 exec_lo, exec_lo, s19
	s_cbranch_execz .LBB6_11655
.LBB6_12378:                            ;   in Loop: Header=BB6_11223 Depth=3
	v_cmp_ne_u16_e32 vcc_lo, 0, v6
	v_mov_b32_e32 v16, 0
	s_andn2_b32 s16, s16, exec_lo
	s_and_b32 s23, vcc_lo, exec_lo
	s_or_b32 s16, s16, s23
	s_or_b32 exec_lo, exec_lo, s19
	s_and_saveexec_b32 s19, s16
	s_cbranch_execnz .LBB6_11656
	s_branch .LBB6_11657
.LBB6_12379:                            ;   in Loop: Header=BB6_11223 Depth=3
	s_or_saveexec_b32 s19, s19
	v_mov_b32_e32 v22, 0x7f800001
	s_xor_b32 exec_lo, exec_lo, s19
	s_cbranch_execz .LBB6_11669
.LBB6_12380:                            ;   in Loop: Header=BB6_11223 Depth=3
	v_cmp_ne_u16_e32 vcc_lo, 0, v6
	v_mov_b32_e32 v22, 0
	s_andn2_b32 s16, s16, exec_lo
	s_and_b32 s23, vcc_lo, exec_lo
	s_or_b32 s16, s16, s23
	s_or_b32 exec_lo, exec_lo, s19
	s_and_saveexec_b32 s19, s16
	s_cbranch_execnz .LBB6_11670
	s_branch .LBB6_11671
.LBB6_12381:                            ;   in Loop: Header=BB6_11223 Depth=3
	s_or_saveexec_b32 s16, s16
	v_mov_b32_e32 v88, 0x7f800001
	s_xor_b32 exec_lo, exec_lo, s16
	s_cbranch_execz .LBB6_11683
.LBB6_12382:                            ;   in Loop: Header=BB6_11223 Depth=3
	v_cmp_ne_u16_sdwa s23, v7, v2 src0_sel:BYTE_0 src1_sel:DWORD
	v_mov_b32_e32 v88, 0
	s_andn2_b32 s19, s19, exec_lo
	s_and_b32 s23, s23, exec_lo
	s_or_b32 s19, s19, s23
	s_or_b32 exec_lo, exec_lo, s16
	s_and_saveexec_b32 s16, s19
	s_cbranch_execnz .LBB6_11684
	s_branch .LBB6_11685
.LBB6_12383:                            ;   in Loop: Header=BB6_11223 Depth=3
	s_or_saveexec_b32 s16, s16
	v_mov_b32_e32 v7, 0x7f800001
	s_xor_b32 exec_lo, exec_lo, s16
	s_cbranch_execz .LBB6_11689
.LBB6_12384:                            ;   in Loop: Header=BB6_11223 Depth=3
	v_cmp_ne_u16_sdwa s23, v79, v2 src0_sel:BYTE_0 src1_sel:DWORD
	v_mov_b32_e32 v7, 0
	s_andn2_b32 s19, s19, exec_lo
	s_and_b32 s23, s23, exec_lo
	s_or_b32 s19, s19, s23
	s_or_b32 exec_lo, exec_lo, s16
	s_and_saveexec_b32 s16, s19
	s_cbranch_execnz .LBB6_11690
	s_branch .LBB6_11691
.LBB6_12385:                            ;   in Loop: Header=BB6_11223 Depth=3
	s_or_saveexec_b32 s16, s16
	v_mov_b32_e32 v79, 0x7f800001
	s_xor_b32 exec_lo, exec_lo, s16
	s_cbranch_execz .LBB6_11703
.LBB6_12386:                            ;   in Loop: Header=BB6_11223 Depth=3
	v_cmp_ne_u16_sdwa s23, v24, v2 src0_sel:BYTE_0 src1_sel:DWORD
	v_mov_b32_e32 v79, 0
	s_andn2_b32 s19, s19, exec_lo
	s_and_b32 s23, s23, exec_lo
	s_or_b32 s19, s19, s23
	s_or_b32 exec_lo, exec_lo, s16
	s_and_saveexec_b32 s16, s19
	s_cbranch_execnz .LBB6_11704
	s_branch .LBB6_11705
.LBB6_12387:                            ;   in Loop: Header=BB6_11223 Depth=3
	s_or_saveexec_b32 s19, s19
	v_mov_b32_e32 v24, 0x7f800001
	s_xor_b32 exec_lo, exec_lo, s19
	s_cbranch_execz .LBB6_11709
.LBB6_12388:                            ;   in Loop: Header=BB6_11223 Depth=3
	v_cmp_ne_u16_sdwa s23, v78, v2 src0_sel:BYTE_0 src1_sel:DWORD
	v_mov_b32_e32 v24, 0
	s_andn2_b32 s16, s16, exec_lo
	s_and_b32 s23, s23, exec_lo
	s_or_b32 s16, s16, s23
	s_or_b32 exec_lo, exec_lo, s19
	s_and_saveexec_b32 s19, s16
	s_cbranch_execnz .LBB6_11710
	s_branch .LBB6_11711
.LBB6_12389:                            ;   in Loop: Header=BB6_11223 Depth=3
	s_or_saveexec_b32 s16, s16
	v_mov_b32_e32 v78, 0x7f800001
	s_xor_b32 exec_lo, exec_lo, s16
	s_cbranch_execz .LBB6_11723
.LBB6_12390:                            ;   in Loop: Header=BB6_11223 Depth=3
	v_cmp_ne_u16_sdwa s23, v28, v2 src0_sel:BYTE_0 src1_sel:DWORD
	v_mov_b32_e32 v78, 0
	s_andn2_b32 s19, s19, exec_lo
	s_and_b32 s23, s23, exec_lo
	s_or_b32 s19, s19, s23
	s_or_b32 exec_lo, exec_lo, s16
	s_and_saveexec_b32 s16, s19
	s_cbranch_execnz .LBB6_11724
	s_branch .LBB6_11725
.LBB6_12391:                            ;   in Loop: Header=BB6_11223 Depth=3
	s_or_saveexec_b32 s19, s19
	v_mov_b32_e32 v28, 0x7f800001
	s_xor_b32 exec_lo, exec_lo, s19
	s_cbranch_execz .LBB6_11729
.LBB6_12392:                            ;   in Loop: Header=BB6_11223 Depth=3
	v_cmp_ne_u16_sdwa s23, v77, v2 src0_sel:BYTE_0 src1_sel:DWORD
	v_mov_b32_e32 v28, 0
	s_andn2_b32 s16, s16, exec_lo
	s_and_b32 s23, s23, exec_lo
	s_or_b32 s16, s16, s23
	s_or_b32 exec_lo, exec_lo, s19
	s_and_saveexec_b32 s19, s16
	s_cbranch_execnz .LBB6_11730
	s_branch .LBB6_11731
.LBB6_12393:                            ;   in Loop: Header=BB6_11223 Depth=3
	s_or_saveexec_b32 s16, s16
	v_mov_b32_e32 v77, 0x7f800001
	s_xor_b32 exec_lo, exec_lo, s16
	s_cbranch_execz .LBB6_11743
.LBB6_12394:                            ;   in Loop: Header=BB6_11223 Depth=3
	v_cmp_ne_u16_sdwa s23, v37, v2 src0_sel:BYTE_0 src1_sel:DWORD
	v_mov_b32_e32 v77, 0
	s_andn2_b32 s19, s19, exec_lo
	s_and_b32 s23, s23, exec_lo
	s_or_b32 s19, s19, s23
	s_or_b32 exec_lo, exec_lo, s16
	s_and_saveexec_b32 s16, s19
	s_cbranch_execnz .LBB6_11744
	s_branch .LBB6_11745
.LBB6_12395:                            ;   in Loop: Header=BB6_11223 Depth=3
	s_or_saveexec_b32 s19, s19
	v_mov_b32_e32 v37, 0x7f800001
	s_xor_b32 exec_lo, exec_lo, s19
	s_cbranch_execz .LBB6_11749
.LBB6_12396:                            ;   in Loop: Header=BB6_11223 Depth=3
	v_cmp_ne_u16_sdwa s23, v76, v2 src0_sel:BYTE_0 src1_sel:DWORD
	v_mov_b32_e32 v37, 0
	s_andn2_b32 s16, s16, exec_lo
	s_and_b32 s23, s23, exec_lo
	s_or_b32 s16, s16, s23
	s_or_b32 exec_lo, exec_lo, s19
	s_and_saveexec_b32 s19, s16
	s_cbranch_execnz .LBB6_11750
	s_branch .LBB6_11751
.LBB6_12397:                            ;   in Loop: Header=BB6_11223 Depth=3
	s_or_saveexec_b32 s16, s16
	v_mov_b32_e32 v76, 0x7f800001
	s_xor_b32 exec_lo, exec_lo, s16
	s_cbranch_execz .LBB6_11763
.LBB6_12398:                            ;   in Loop: Header=BB6_11223 Depth=3
	v_cmp_ne_u16_sdwa s23, v53, v2 src0_sel:BYTE_0 src1_sel:DWORD
	v_mov_b32_e32 v76, 0
	s_andn2_b32 s19, s19, exec_lo
	s_and_b32 s23, s23, exec_lo
	s_or_b32 s19, s19, s23
	s_or_b32 exec_lo, exec_lo, s16
	s_and_saveexec_b32 s16, s19
	s_cbranch_execnz .LBB6_11764
	s_branch .LBB6_11765
.LBB6_12399:                            ;   in Loop: Header=BB6_11223 Depth=3
	s_or_saveexec_b32 s19, s19
	v_mov_b32_e32 v53, 0x7f800001
	s_xor_b32 exec_lo, exec_lo, s19
	s_cbranch_execz .LBB6_11769
.LBB6_12400:                            ;   in Loop: Header=BB6_11223 Depth=3
	v_cmp_ne_u16_sdwa s23, v75, v2 src0_sel:BYTE_0 src1_sel:DWORD
	v_mov_b32_e32 v53, 0
	s_andn2_b32 s16, s16, exec_lo
	s_and_b32 s23, s23, exec_lo
	s_or_b32 s16, s16, s23
	s_or_b32 exec_lo, exec_lo, s19
	s_and_saveexec_b32 s19, s16
	s_cbranch_execnz .LBB6_11770
	s_branch .LBB6_11771
.LBB6_12401:                            ;   in Loop: Header=BB6_11223 Depth=3
	s_or_saveexec_b32 s16, s16
	v_mov_b32_e32 v75, 0x7f800001
	s_xor_b32 exec_lo, exec_lo, s16
	s_cbranch_execz .LBB6_11783
.LBB6_12402:                            ;   in Loop: Header=BB6_11223 Depth=3
	v_cmp_ne_u16_sdwa s23, v67, v2 src0_sel:BYTE_0 src1_sel:DWORD
	v_mov_b32_e32 v75, 0
	s_andn2_b32 s19, s19, exec_lo
	s_and_b32 s23, s23, exec_lo
	s_or_b32 s19, s19, s23
	s_or_b32 exec_lo, exec_lo, s16
	s_and_saveexec_b32 s16, s19
	s_cbranch_execnz .LBB6_11784
	s_branch .LBB6_11785
.LBB6_12403:                            ;   in Loop: Header=BB6_11223 Depth=3
	s_or_saveexec_b32 s19, s19
	v_mov_b32_e32 v67, 0x7f800001
	s_xor_b32 exec_lo, exec_lo, s19
	s_cbranch_execz .LBB6_11789
.LBB6_12404:                            ;   in Loop: Header=BB6_11223 Depth=3
	v_cmp_ne_u16_sdwa s23, v74, v2 src0_sel:BYTE_0 src1_sel:DWORD
	v_mov_b32_e32 v67, 0
	s_andn2_b32 s16, s16, exec_lo
	s_and_b32 s23, s23, exec_lo
	s_or_b32 s16, s16, s23
	s_or_b32 exec_lo, exec_lo, s19
	s_and_saveexec_b32 s19, s16
	s_cbranch_execnz .LBB6_11790
	s_branch .LBB6_11791
.LBB6_12405:                            ;   in Loop: Header=BB6_11223 Depth=3
	s_or_saveexec_b32 s16, s16
	v_mov_b32_e32 v74, 0x7f800001
	s_xor_b32 exec_lo, exec_lo, s16
	s_cbranch_execz .LBB6_11803
.LBB6_12406:                            ;   in Loop: Header=BB6_11223 Depth=3
	v_cmp_ne_u16_sdwa s23, v83, v2 src0_sel:BYTE_0 src1_sel:DWORD
	v_mov_b32_e32 v74, 0
	s_andn2_b32 s19, s19, exec_lo
	s_and_b32 s23, s23, exec_lo
	s_or_b32 s19, s19, s23
	s_or_b32 exec_lo, exec_lo, s16
	s_and_saveexec_b32 s16, s19
	s_cbranch_execnz .LBB6_11804
	s_branch .LBB6_11805
.LBB6_12407:                            ;   in Loop: Header=BB6_11223 Depth=3
	s_or_saveexec_b32 s19, s19
	v_mov_b32_e32 v83, 0x7f800001
	s_xor_b32 exec_lo, exec_lo, s19
	s_cbranch_execz .LBB6_11809
.LBB6_12408:                            ;   in Loop: Header=BB6_11223 Depth=3
	v_cmp_ne_u16_sdwa s23, v73, v2 src0_sel:BYTE_0 src1_sel:DWORD
	v_mov_b32_e32 v83, 0
	s_andn2_b32 s16, s16, exec_lo
	s_and_b32 s23, s23, exec_lo
	s_or_b32 s16, s16, s23
	s_or_b32 exec_lo, exec_lo, s19
	s_and_saveexec_b32 s19, s16
	s_cbranch_execnz .LBB6_11810
	s_branch .LBB6_11811
.LBB6_12409:                            ;   in Loop: Header=BB6_11223 Depth=3
	s_or_saveexec_b32 s16, s16
	v_mov_b32_e32 v73, 0x7f800001
	s_xor_b32 exec_lo, exec_lo, s16
	s_cbranch_execz .LBB6_11823
.LBB6_12410:                            ;   in Loop: Header=BB6_11223 Depth=3
	v_cmp_ne_u16_sdwa s23, v87, v2 src0_sel:BYTE_0 src1_sel:DWORD
	v_mov_b32_e32 v73, 0
	s_andn2_b32 s19, s19, exec_lo
	s_and_b32 s23, s23, exec_lo
	s_or_b32 s19, s19, s23
	s_or_b32 exec_lo, exec_lo, s16
	s_and_saveexec_b32 s16, s19
	s_cbranch_execnz .LBB6_11824
	s_branch .LBB6_11825
.LBB6_12411:                            ;   in Loop: Header=BB6_11223 Depth=3
	s_or_saveexec_b32 s19, s19
	v_mov_b32_e32 v87, 0x7f800001
	s_xor_b32 exec_lo, exec_lo, s19
	s_cbranch_execz .LBB6_11829
.LBB6_12412:                            ;   in Loop: Header=BB6_11223 Depth=3
	v_cmp_ne_u16_sdwa s23, v72, v2 src0_sel:BYTE_0 src1_sel:DWORD
	v_mov_b32_e32 v87, 0
	s_andn2_b32 s16, s16, exec_lo
	s_and_b32 s23, s23, exec_lo
	s_or_b32 s16, s16, s23
	s_or_b32 exec_lo, exec_lo, s19
	s_and_saveexec_b32 s19, s16
	s_cbranch_execnz .LBB6_11830
	s_branch .LBB6_11831
.LBB6_12413:                            ;   in Loop: Header=BB6_11223 Depth=3
	s_or_saveexec_b32 s16, s16
	v_mov_b32_e32 v72, 0x7f800001
	s_xor_b32 exec_lo, exec_lo, s16
	s_cbranch_execz .LBB6_11843
.LBB6_12414:                            ;   in Loop: Header=BB6_11223 Depth=3
	v_cmp_ne_u16_sdwa s23, v99, v2 src0_sel:BYTE_0 src1_sel:DWORD
	v_mov_b32_e32 v72, 0
	s_andn2_b32 s19, s19, exec_lo
	s_and_b32 s23, s23, exec_lo
	s_or_b32 s19, s19, s23
	s_or_b32 exec_lo, exec_lo, s16
	s_and_saveexec_b32 s16, s19
	s_cbranch_execnz .LBB6_11844
	s_branch .LBB6_11845
.LBB6_12415:                            ;   in Loop: Header=BB6_11223 Depth=3
	s_or_saveexec_b32 s19, s19
	v_mov_b32_e32 v99, 0x7f800001
	s_xor_b32 exec_lo, exec_lo, s19
	s_cbranch_execz .LBB6_11849
.LBB6_12416:                            ;   in Loop: Header=BB6_11223 Depth=3
	v_cmp_ne_u16_sdwa s23, v63, v2 src0_sel:BYTE_0 src1_sel:DWORD
	v_mov_b32_e32 v99, 0
	s_andn2_b32 s16, s16, exec_lo
	s_and_b32 s23, s23, exec_lo
	s_or_b32 s16, s16, s23
	s_or_b32 exec_lo, exec_lo, s19
	s_and_saveexec_b32 s19, s16
	s_cbranch_execnz .LBB6_11850
	s_branch .LBB6_11851
.LBB6_12417:                            ;   in Loop: Header=BB6_11223 Depth=3
	s_or_saveexec_b32 s16, s16
	v_mov_b32_e32 v63, 0x7f800001
	s_xor_b32 exec_lo, exec_lo, s16
	s_cbranch_execz .LBB6_11863
.LBB6_12418:                            ;   in Loop: Header=BB6_11223 Depth=3
	v_cmp_ne_u16_sdwa s23, v113, v2 src0_sel:BYTE_0 src1_sel:DWORD
	v_mov_b32_e32 v63, 0
	s_andn2_b32 s19, s19, exec_lo
	s_and_b32 s23, s23, exec_lo
	s_or_b32 s19, s19, s23
	s_or_b32 exec_lo, exec_lo, s16
	s_and_saveexec_b32 s16, s19
	s_cbranch_execnz .LBB6_11864
	s_branch .LBB6_11865
.LBB6_12419:                            ;   in Loop: Header=BB6_11223 Depth=3
	s_or_saveexec_b32 s19, s19
	v_mov_b32_e32 v113, 0x7f800001
	s_xor_b32 exec_lo, exec_lo, s19
	s_cbranch_execz .LBB6_11869
.LBB6_12420:                            ;   in Loop: Header=BB6_11223 Depth=3
	v_cmp_ne_u16_sdwa s23, v62, v2 src0_sel:BYTE_0 src1_sel:DWORD
	v_mov_b32_e32 v113, 0
	s_andn2_b32 s16, s16, exec_lo
	s_and_b32 s23, s23, exec_lo
	s_or_b32 s16, s16, s23
	s_or_b32 exec_lo, exec_lo, s19
	s_and_saveexec_b32 s19, s16
	s_cbranch_execnz .LBB6_11870
	s_branch .LBB6_11871
.LBB6_12421:                            ;   in Loop: Header=BB6_11223 Depth=3
	s_or_saveexec_b32 s16, s16
	v_mov_b32_e32 v62, 0x7f800001
	s_xor_b32 exec_lo, exec_lo, s16
	s_cbranch_execz .LBB6_11883
.LBB6_12422:                            ;   in Loop: Header=BB6_11223 Depth=3
	v_cmp_ne_u16_sdwa s23, v102, v2 src0_sel:BYTE_0 src1_sel:DWORD
	v_mov_b32_e32 v62, 0
	s_andn2_b32 s19, s19, exec_lo
	s_and_b32 s23, s23, exec_lo
	s_or_b32 s19, s19, s23
	s_or_b32 exec_lo, exec_lo, s16
	s_and_saveexec_b32 s16, s19
	s_cbranch_execnz .LBB6_11884
	s_branch .LBB6_11885
.LBB6_12423:                            ;   in Loop: Header=BB6_11223 Depth=3
	s_or_saveexec_b32 s19, s19
	v_mov_b32_e32 v102, 0x7f800001
	s_xor_b32 exec_lo, exec_lo, s19
	s_cbranch_execz .LBB6_11889
.LBB6_12424:                            ;   in Loop: Header=BB6_11223 Depth=3
	v_cmp_ne_u16_sdwa s23, v61, v2 src0_sel:BYTE_0 src1_sel:DWORD
	v_mov_b32_e32 v102, 0
	s_andn2_b32 s16, s16, exec_lo
	s_and_b32 s23, s23, exec_lo
	s_or_b32 s16, s16, s23
	s_or_b32 exec_lo, exec_lo, s19
	s_and_saveexec_b32 s19, s16
	s_cbranch_execnz .LBB6_11890
	s_branch .LBB6_11891
.LBB6_12425:                            ;   in Loop: Header=BB6_11223 Depth=3
	s_or_saveexec_b32 s16, s16
	v_mov_b32_e32 v61, 0x7f800001
	s_xor_b32 exec_lo, exec_lo, s16
	s_cbranch_execz .LBB6_11903
.LBB6_12426:                            ;   in Loop: Header=BB6_11223 Depth=3
	v_cmp_ne_u16_sdwa s23, v101, v2 src0_sel:BYTE_0 src1_sel:DWORD
	v_mov_b32_e32 v61, 0
	s_andn2_b32 s19, s19, exec_lo
	s_and_b32 s23, s23, exec_lo
	s_or_b32 s19, s19, s23
	s_or_b32 exec_lo, exec_lo, s16
	s_and_saveexec_b32 s16, s19
	s_cbranch_execnz .LBB6_11904
	s_branch .LBB6_11905
.LBB6_12427:                            ;   in Loop: Header=BB6_11223 Depth=3
	s_or_saveexec_b32 s19, s19
	v_mov_b32_e32 v101, 0x7f800001
	s_xor_b32 exec_lo, exec_lo, s19
	s_cbranch_execz .LBB6_11909
.LBB6_12428:                            ;   in Loop: Header=BB6_11223 Depth=3
	v_cmp_ne_u16_sdwa s23, v60, v2 src0_sel:BYTE_0 src1_sel:DWORD
	v_mov_b32_e32 v101, 0
	s_andn2_b32 s16, s16, exec_lo
	s_and_b32 s23, s23, exec_lo
	s_or_b32 s16, s16, s23
	s_or_b32 exec_lo, exec_lo, s19
	s_and_saveexec_b32 s19, s16
	s_cbranch_execnz .LBB6_11910
	s_branch .LBB6_11911
.LBB6_12429:                            ;   in Loop: Header=BB6_11223 Depth=3
	s_or_saveexec_b32 s16, s16
	v_mov_b32_e32 v60, 0x7f800001
	s_xor_b32 exec_lo, exec_lo, s16
	s_cbranch_execz .LBB6_11923
.LBB6_12430:                            ;   in Loop: Header=BB6_11223 Depth=3
	v_cmp_ne_u16_sdwa s23, v97, v2 src0_sel:BYTE_0 src1_sel:DWORD
	v_mov_b32_e32 v60, 0
	s_andn2_b32 s19, s19, exec_lo
	s_and_b32 s23, s23, exec_lo
	s_or_b32 s19, s19, s23
	s_or_b32 exec_lo, exec_lo, s16
	s_and_saveexec_b32 s16, s19
	s_cbranch_execnz .LBB6_11924
	s_branch .LBB6_11925
.LBB6_12431:                            ;   in Loop: Header=BB6_11223 Depth=3
	s_or_saveexec_b32 s19, s19
	v_mov_b32_e32 v97, 0x7f800001
	s_xor_b32 exec_lo, exec_lo, s19
	s_cbranch_execz .LBB6_11929
.LBB6_12432:                            ;   in Loop: Header=BB6_11223 Depth=3
	v_cmp_ne_u16_sdwa s23, v45, v2 src0_sel:BYTE_0 src1_sel:DWORD
	v_mov_b32_e32 v97, 0
	s_andn2_b32 s16, s16, exec_lo
	s_and_b32 s23, s23, exec_lo
	s_or_b32 s16, s16, s23
	s_or_b32 exec_lo, exec_lo, s19
	s_and_saveexec_b32 s19, s16
	s_cbranch_execnz .LBB6_11930
	s_branch .LBB6_11931
.LBB6_12433:                            ;   in Loop: Header=BB6_11223 Depth=3
	s_or_saveexec_b32 s16, s16
	v_mov_b32_e32 v45, 0x7f800001
	s_xor_b32 exec_lo, exec_lo, s16
	s_cbranch_execz .LBB6_11943
.LBB6_12434:                            ;   in Loop: Header=BB6_11223 Depth=3
	v_cmp_ne_u16_sdwa s23, v96, v2 src0_sel:BYTE_0 src1_sel:DWORD
	v_mov_b32_e32 v45, 0
	s_andn2_b32 s19, s19, exec_lo
	s_and_b32 s23, s23, exec_lo
	s_or_b32 s19, s19, s23
	s_or_b32 exec_lo, exec_lo, s16
	s_and_saveexec_b32 s16, s19
	s_cbranch_execnz .LBB6_11944
	s_branch .LBB6_11945
.LBB6_12435:                            ;   in Loop: Header=BB6_11223 Depth=3
	s_or_saveexec_b32 s19, s19
	v_mov_b32_e32 v96, 0x7f800001
	s_xor_b32 exec_lo, exec_lo, s19
	s_cbranch_execz .LBB6_11949
.LBB6_12436:                            ;   in Loop: Header=BB6_11223 Depth=3
	v_cmp_ne_u16_sdwa s23, v59, v2 src0_sel:BYTE_0 src1_sel:DWORD
	v_mov_b32_e32 v96, 0
	s_andn2_b32 s16, s16, exec_lo
	s_and_b32 s23, s23, exec_lo
	s_or_b32 s16, s16, s23
	s_or_b32 exec_lo, exec_lo, s19
	s_and_saveexec_b32 s19, s16
	s_cbranch_execnz .LBB6_11950
	s_branch .LBB6_11951
.LBB6_12437:                            ;   in Loop: Header=BB6_11223 Depth=3
	s_or_saveexec_b32 s16, s16
	v_mov_b32_e32 v45, 0x7f800001
	s_xor_b32 exec_lo, exec_lo, s16
	s_cbranch_execz .LBB6_11963
.LBB6_12438:                            ;   in Loop: Header=BB6_11223 Depth=3
	v_cmp_ne_u16_sdwa s23, v85, v2 src0_sel:BYTE_0 src1_sel:DWORD
	v_mov_b32_e32 v45, 0
	s_andn2_b32 s19, s19, exec_lo
	s_and_b32 s23, s23, exec_lo
	s_or_b32 s19, s19, s23
	s_or_b32 exec_lo, exec_lo, s16
	s_and_saveexec_b32 s16, s19
	s_cbranch_execnz .LBB6_11964
	s_branch .LBB6_11965
.LBB6_12439:                            ;   in Loop: Header=BB6_11223 Depth=3
	s_or_saveexec_b32 s19, s19
	v_mov_b32_e32 v85, 0x7f800001
	s_xor_b32 exec_lo, exec_lo, s19
	s_cbranch_execz .LBB6_11969
.LBB6_12440:                            ;   in Loop: Header=BB6_11223 Depth=3
	v_cmp_ne_u16_sdwa s23, v58, v2 src0_sel:BYTE_0 src1_sel:DWORD
	v_mov_b32_e32 v85, 0
	s_andn2_b32 s16, s16, exec_lo
	s_and_b32 s23, s23, exec_lo
	s_or_b32 s16, s16, s23
	s_or_b32 exec_lo, exec_lo, s19
	s_and_saveexec_b32 s19, s16
	s_cbranch_execnz .LBB6_11970
	s_branch .LBB6_11971
.LBB6_12441:                            ;   in Loop: Header=BB6_11223 Depth=3
	s_or_saveexec_b32 s16, s16
	v_mov_b32_e32 v45, 0x7f800001
	s_xor_b32 exec_lo, exec_lo, s16
	s_cbranch_execz .LBB6_11983
.LBB6_12442:                            ;   in Loop: Header=BB6_11223 Depth=3
	v_cmp_ne_u16_sdwa s23, v84, v2 src0_sel:BYTE_0 src1_sel:DWORD
	v_mov_b32_e32 v45, 0
	s_andn2_b32 s19, s19, exec_lo
	s_and_b32 s23, s23, exec_lo
	s_or_b32 s19, s19, s23
	s_or_b32 exec_lo, exec_lo, s16
	s_and_saveexec_b32 s16, s19
	s_cbranch_execnz .LBB6_11984
	s_branch .LBB6_11985
.LBB6_12443:                            ;   in Loop: Header=BB6_11223 Depth=3
	s_or_saveexec_b32 s19, s19
	v_mov_b32_e32 v84, 0x7f800001
	s_xor_b32 exec_lo, exec_lo, s19
	s_cbranch_execz .LBB6_11989
.LBB6_12444:                            ;   in Loop: Header=BB6_11223 Depth=3
	v_cmp_ne_u16_sdwa s23, v57, v2 src0_sel:BYTE_0 src1_sel:DWORD
	v_mov_b32_e32 v84, 0
	s_andn2_b32 s16, s16, exec_lo
	s_and_b32 s23, s23, exec_lo
	s_or_b32 s16, s16, s23
	s_or_b32 exec_lo, exec_lo, s19
	s_and_saveexec_b32 s19, s16
	s_cbranch_execnz .LBB6_11990
	s_branch .LBB6_11991
.LBB6_12445:                            ;   in Loop: Header=BB6_11223 Depth=3
	s_or_saveexec_b32 s16, s16
	v_mov_b32_e32 v45, 0x7f800001
	s_xor_b32 exec_lo, exec_lo, s16
	s_cbranch_execz .LBB6_12003
.LBB6_12446:                            ;   in Loop: Header=BB6_11223 Depth=3
	v_cmp_ne_u16_sdwa s23, v82, v2 src0_sel:BYTE_0 src1_sel:DWORD
	v_mov_b32_e32 v45, 0
	s_andn2_b32 s19, s19, exec_lo
	s_and_b32 s23, s23, exec_lo
	s_or_b32 s19, s19, s23
	s_or_b32 exec_lo, exec_lo, s16
	s_and_saveexec_b32 s16, s19
	s_cbranch_execnz .LBB6_12004
	s_branch .LBB6_12005
.LBB6_12447:                            ;   in Loop: Header=BB6_11223 Depth=3
	s_or_saveexec_b32 s19, s19
	v_mov_b32_e32 v82, 0x7f800001
	s_xor_b32 exec_lo, exec_lo, s19
	s_cbranch_execz .LBB6_12009
.LBB6_12448:                            ;   in Loop: Header=BB6_11223 Depth=3
	v_cmp_ne_u16_sdwa s23, v56, v2 src0_sel:BYTE_0 src1_sel:DWORD
	v_mov_b32_e32 v82, 0
	s_andn2_b32 s16, s16, exec_lo
	s_and_b32 s23, s23, exec_lo
	s_or_b32 s16, s16, s23
	s_or_b32 exec_lo, exec_lo, s19
	s_and_saveexec_b32 s19, s16
	s_cbranch_execnz .LBB6_12010
	s_branch .LBB6_12011
.LBB6_12449:                            ;   in Loop: Header=BB6_11223 Depth=3
	s_or_saveexec_b32 s16, s16
	v_mov_b32_e32 v45, 0x7f800001
	s_xor_b32 exec_lo, exec_lo, s16
	s_cbranch_execz .LBB6_12023
.LBB6_12450:                            ;   in Loop: Header=BB6_11223 Depth=3
	v_cmp_ne_u16_sdwa s23, v80, v2 src0_sel:BYTE_0 src1_sel:DWORD
	v_mov_b32_e32 v45, 0
	s_andn2_b32 s19, s19, exec_lo
	s_and_b32 s23, s23, exec_lo
	s_or_b32 s19, s19, s23
	s_or_b32 exec_lo, exec_lo, s16
	s_and_saveexec_b32 s16, s19
	s_cbranch_execnz .LBB6_12024
	s_branch .LBB6_12025
.LBB6_12451:                            ;   in Loop: Header=BB6_11223 Depth=3
	s_or_saveexec_b32 s19, s19
	v_mov_b32_e32 v80, 0x7f800001
	s_xor_b32 exec_lo, exec_lo, s19
	s_cbranch_execz .LBB6_12029
.LBB6_12452:                            ;   in Loop: Header=BB6_11223 Depth=3
	v_cmp_ne_u16_sdwa s23, v44, v2 src0_sel:BYTE_0 src1_sel:DWORD
	v_mov_b32_e32 v80, 0
	s_andn2_b32 s16, s16, exec_lo
	s_and_b32 s23, s23, exec_lo
	s_or_b32 s16, s16, s23
	s_or_b32 exec_lo, exec_lo, s19
	s_and_saveexec_b32 s19, s16
	s_cbranch_execnz .LBB6_12030
	s_branch .LBB6_12031
.LBB6_12453:                            ;   in Loop: Header=BB6_11223 Depth=3
	s_or_saveexec_b32 s16, s16
	v_mov_b32_e32 v44, 0x7f800001
	s_xor_b32 exec_lo, exec_lo, s16
	s_cbranch_execz .LBB6_12043
.LBB6_12454:                            ;   in Loop: Header=BB6_11223 Depth=3
	v_cmp_ne_u16_sdwa s23, v66, v2 src0_sel:BYTE_0 src1_sel:DWORD
	v_mov_b32_e32 v44, 0
	s_andn2_b32 s19, s19, exec_lo
	s_and_b32 s23, s23, exec_lo
	s_or_b32 s19, s19, s23
	s_or_b32 exec_lo, exec_lo, s16
	s_and_saveexec_b32 s16, s19
	s_cbranch_execnz .LBB6_12044
	s_branch .LBB6_12045
.LBB6_12455:                            ;   in Loop: Header=BB6_11223 Depth=3
	s_or_saveexec_b32 s19, s19
	v_mov_b32_e32 v66, 0x7f800001
	s_xor_b32 exec_lo, exec_lo, s19
	s_cbranch_execz .LBB6_12049
.LBB6_12456:                            ;   in Loop: Header=BB6_11223 Depth=3
	v_cmp_ne_u16_sdwa s23, v43, v2 src0_sel:BYTE_0 src1_sel:DWORD
	v_mov_b32_e32 v66, 0
	s_andn2_b32 s16, s16, exec_lo
	s_and_b32 s23, s23, exec_lo
	s_or_b32 s16, s16, s23
	s_or_b32 exec_lo, exec_lo, s19
	s_and_saveexec_b32 s19, s16
	s_cbranch_execnz .LBB6_12050
	s_branch .LBB6_12051
.LBB6_12457:                            ;   in Loop: Header=BB6_11223 Depth=3
	s_or_saveexec_b32 s16, s16
	v_mov_b32_e32 v43, 0x7f800001
	s_xor_b32 exec_lo, exec_lo, s16
	s_cbranch_execz .LBB6_12063
.LBB6_12458:                            ;   in Loop: Header=BB6_11223 Depth=3
	v_cmp_ne_u16_sdwa s23, v54, v2 src0_sel:BYTE_0 src1_sel:DWORD
	v_mov_b32_e32 v43, 0
	s_andn2_b32 s19, s19, exec_lo
	s_and_b32 s23, s23, exec_lo
	s_or_b32 s19, s19, s23
	s_or_b32 exec_lo, exec_lo, s16
	s_and_saveexec_b32 s16, s19
	s_cbranch_execnz .LBB6_12064
	s_branch .LBB6_12065
.LBB6_12459:                            ;   in Loop: Header=BB6_11223 Depth=3
	s_or_saveexec_b32 s19, s19
	v_mov_b32_e32 v54, 0x7f800001
	s_xor_b32 exec_lo, exec_lo, s19
	s_cbranch_execz .LBB6_12069
.LBB6_12460:                            ;   in Loop: Header=BB6_11223 Depth=3
	v_cmp_ne_u16_sdwa s23, v42, v2 src0_sel:BYTE_0 src1_sel:DWORD
	v_mov_b32_e32 v54, 0
	s_andn2_b32 s16, s16, exec_lo
	s_and_b32 s23, s23, exec_lo
	s_or_b32 s16, s16, s23
	s_or_b32 exec_lo, exec_lo, s19
	s_and_saveexec_b32 s19, s16
	s_cbranch_execnz .LBB6_12070
	s_branch .LBB6_12071
.LBB6_12461:                            ;   in Loop: Header=BB6_11223 Depth=3
	s_or_saveexec_b32 s16, s16
	v_mov_b32_e32 v42, 0x7f800001
	s_xor_b32 exec_lo, exec_lo, s16
	s_cbranch_execz .LBB6_12083
.LBB6_12462:                            ;   in Loop: Header=BB6_11223 Depth=3
	v_cmp_ne_u16_sdwa s23, v52, v2 src0_sel:BYTE_0 src1_sel:DWORD
	v_mov_b32_e32 v42, 0
	s_andn2_b32 s19, s19, exec_lo
	s_and_b32 s23, s23, exec_lo
	s_or_b32 s19, s19, s23
	s_or_b32 exec_lo, exec_lo, s16
	s_and_saveexec_b32 s16, s19
	s_cbranch_execnz .LBB6_12084
	s_branch .LBB6_12085
.LBB6_12463:                            ;   in Loop: Header=BB6_11223 Depth=3
	s_or_saveexec_b32 s19, s19
	v_mov_b32_e32 v52, 0x7f800001
	s_xor_b32 exec_lo, exec_lo, s19
	s_cbranch_execz .LBB6_12089
.LBB6_12464:                            ;   in Loop: Header=BB6_11223 Depth=3
	v_cmp_ne_u16_sdwa s23, v41, v2 src0_sel:BYTE_0 src1_sel:DWORD
	v_mov_b32_e32 v52, 0
	s_andn2_b32 s16, s16, exec_lo
	s_and_b32 s23, s23, exec_lo
	s_or_b32 s16, s16, s23
	s_or_b32 exec_lo, exec_lo, s19
	s_and_saveexec_b32 s19, s16
	s_cbranch_execnz .LBB6_12090
	s_branch .LBB6_12091
.LBB6_12465:                            ;   in Loop: Header=BB6_11223 Depth=3
	s_or_saveexec_b32 s16, s16
	v_mov_b32_e32 v41, 0x7f800001
	s_xor_b32 exec_lo, exec_lo, s16
	s_cbranch_execz .LBB6_12103
.LBB6_12466:                            ;   in Loop: Header=BB6_11223 Depth=3
	v_cmp_ne_u16_sdwa s23, v50, v2 src0_sel:BYTE_0 src1_sel:DWORD
	v_mov_b32_e32 v41, 0
	s_andn2_b32 s19, s19, exec_lo
	s_and_b32 s23, s23, exec_lo
	s_or_b32 s19, s19, s23
	s_or_b32 exec_lo, exec_lo, s16
	s_and_saveexec_b32 s16, s19
	s_cbranch_execnz .LBB6_12104
	s_branch .LBB6_12105
.LBB6_12467:                            ;   in Loop: Header=BB6_11223 Depth=3
	s_or_saveexec_b32 s19, s19
	v_mov_b32_e32 v50, 0x7f800001
	s_xor_b32 exec_lo, exec_lo, s19
	s_cbranch_execz .LBB6_12109
.LBB6_12468:                            ;   in Loop: Header=BB6_11223 Depth=3
	v_cmp_ne_u16_sdwa s23, v115, v2 src0_sel:BYTE_0 src1_sel:DWORD
	v_mov_b32_e32 v50, 0
	s_andn2_b32 s16, s16, exec_lo
	s_and_b32 s23, s23, exec_lo
	s_or_b32 s16, s16, s23
	s_or_b32 exec_lo, exec_lo, s19
	s_and_saveexec_b32 s19, s16
	s_cbranch_execnz .LBB6_12110
	s_branch .LBB6_12111
.LBB6_12469:                            ;   in Loop: Header=BB6_11223 Depth=3
	s_or_saveexec_b32 s16, s16
	v_mov_b32_e32 v115, 0x7f800001
	s_xor_b32 exec_lo, exec_lo, s16
	s_cbranch_execz .LBB6_12123
.LBB6_12470:                            ;   in Loop: Header=BB6_11223 Depth=3
	v_cmp_ne_u16_sdwa s23, v36, v2 src0_sel:BYTE_0 src1_sel:DWORD
	v_mov_b32_e32 v115, 0
	s_andn2_b32 s19, s19, exec_lo
	s_and_b32 s23, s23, exec_lo
	s_or_b32 s19, s19, s23
	s_or_b32 exec_lo, exec_lo, s16
	s_and_saveexec_b32 s16, s19
	s_cbranch_execnz .LBB6_12124
	s_branch .LBB6_12125
.LBB6_12471:                            ;   in Loop: Header=BB6_11223 Depth=3
	s_or_saveexec_b32 s19, s19
	v_mov_b32_e32 v36, 0x7f800001
	s_xor_b32 exec_lo, exec_lo, s19
	s_cbranch_execz .LBB6_12129
.LBB6_12472:                            ;   in Loop: Header=BB6_11223 Depth=3
	v_cmp_ne_u16_sdwa s23, v112, v2 src0_sel:BYTE_0 src1_sel:DWORD
	v_mov_b32_e32 v36, 0
	s_andn2_b32 s16, s16, exec_lo
	s_and_b32 s23, s23, exec_lo
	s_or_b32 s16, s16, s23
	s_or_b32 exec_lo, exec_lo, s19
	s_and_saveexec_b32 s19, s16
	s_cbranch_execnz .LBB6_12130
	s_branch .LBB6_12131
.LBB6_12473:                            ;   in Loop: Header=BB6_11223 Depth=3
	s_or_saveexec_b32 s16, s16
	v_mov_b32_e32 v112, 0x7f800001
	s_xor_b32 exec_lo, exec_lo, s16
	s_cbranch_execz .LBB6_12143
.LBB6_12474:                            ;   in Loop: Header=BB6_11223 Depth=3
	v_cmp_ne_u16_sdwa s23, v30, v2 src0_sel:BYTE_0 src1_sel:DWORD
	v_mov_b32_e32 v112, 0
	s_andn2_b32 s19, s19, exec_lo
	s_and_b32 s23, s23, exec_lo
	s_or_b32 s19, s19, s23
	s_or_b32 exec_lo, exec_lo, s16
	s_and_saveexec_b32 s16, s19
	s_cbranch_execnz .LBB6_12144
	s_branch .LBB6_12145
.LBB6_12475:                            ;   in Loop: Header=BB6_11223 Depth=3
	s_or_saveexec_b32 s19, s19
	v_mov_b32_e32 v30, 0x7f800001
	s_xor_b32 exec_lo, exec_lo, s19
	s_cbranch_execz .LBB6_12149
.LBB6_12476:                            ;   in Loop: Header=BB6_11223 Depth=3
	v_cmp_ne_u16_sdwa s23, v98, v2 src0_sel:BYTE_0 src1_sel:DWORD
	v_mov_b32_e32 v30, 0
	s_andn2_b32 s16, s16, exec_lo
	s_and_b32 s23, s23, exec_lo
	s_or_b32 s16, s16, s23
	s_or_b32 exec_lo, exec_lo, s19
	s_and_saveexec_b32 s19, s16
	s_cbranch_execnz .LBB6_12150
	s_branch .LBB6_12151
.LBB6_12477:                            ;   in Loop: Header=BB6_11223 Depth=3
	s_or_saveexec_b32 s16, s16
	v_mov_b32_e32 v98, 0x7f800001
	s_xor_b32 exec_lo, exec_lo, s16
	s_cbranch_execz .LBB6_12163
.LBB6_12478:                            ;   in Loop: Header=BB6_11223 Depth=3
	v_cmp_ne_u16_sdwa s23, v29, v2 src0_sel:BYTE_0 src1_sel:DWORD
	v_mov_b32_e32 v98, 0
	s_andn2_b32 s19, s19, exec_lo
	s_and_b32 s23, s23, exec_lo
	s_or_b32 s19, s19, s23
	s_or_b32 exec_lo, exec_lo, s16
	s_and_saveexec_b32 s16, s19
	s_cbranch_execnz .LBB6_12164
	s_branch .LBB6_12165
.LBB6_12479:                            ;   in Loop: Header=BB6_11223 Depth=3
	s_or_saveexec_b32 s19, s19
	v_mov_b32_e32 v29, 0x7f800001
	s_xor_b32 exec_lo, exec_lo, s19
	s_cbranch_execz .LBB6_12169
.LBB6_12480:                            ;   in Loop: Header=BB6_11223 Depth=3
	v_cmp_ne_u16_sdwa s23, v86, v2 src0_sel:BYTE_0 src1_sel:DWORD
	v_mov_b32_e32 v29, 0
	s_andn2_b32 s16, s16, exec_lo
	s_and_b32 s23, s23, exec_lo
	s_or_b32 s16, s16, s23
	s_or_b32 exec_lo, exec_lo, s19
	s_and_saveexec_b32 s19, s16
	s_cbranch_execnz .LBB6_12170
	s_branch .LBB6_12171
.LBB6_12481:                            ;   in Loop: Header=BB6_11223 Depth=3
	s_or_saveexec_b32 s16, s16
	v_mov_b32_e32 v86, 0x7f800001
	s_xor_b32 exec_lo, exec_lo, s16
	s_cbranch_execz .LBB6_12183
.LBB6_12482:                            ;   in Loop: Header=BB6_11223 Depth=3
	v_cmp_ne_u16_sdwa s23, v26, v2 src0_sel:BYTE_0 src1_sel:DWORD
	v_mov_b32_e32 v86, 0
	s_andn2_b32 s19, s19, exec_lo
	s_and_b32 s23, s23, exec_lo
	s_or_b32 s19, s19, s23
	s_or_b32 exec_lo, exec_lo, s16
	s_and_saveexec_b32 s16, s19
	s_cbranch_execnz .LBB6_12184
	s_branch .LBB6_12185
.LBB6_12483:                            ;   in Loop: Header=BB6_11223 Depth=3
	s_or_saveexec_b32 s19, s19
	v_mov_b32_e32 v26, 0x7f800001
	s_xor_b32 exec_lo, exec_lo, s19
	s_cbranch_execz .LBB6_12189
.LBB6_12484:                            ;   in Loop: Header=BB6_11223 Depth=3
	v_cmp_ne_u16_sdwa s23, v81, v2 src0_sel:BYTE_0 src1_sel:DWORD
	v_mov_b32_e32 v26, 0
	s_andn2_b32 s16, s16, exec_lo
	s_and_b32 s23, s23, exec_lo
	s_or_b32 s16, s16, s23
	s_or_b32 exec_lo, exec_lo, s19
	s_and_saveexec_b32 s19, s16
	s_cbranch_execnz .LBB6_12190
	s_branch .LBB6_12191
.LBB6_12485:                            ;   in Loop: Header=BB6_11223 Depth=3
	s_or_saveexec_b32 s16, s16
	v_mov_b32_e32 v81, 0x7f800001
	s_xor_b32 exec_lo, exec_lo, s16
	s_cbranch_execz .LBB6_12203
.LBB6_12486:                            ;   in Loop: Header=BB6_11223 Depth=3
	v_cmp_ne_u16_sdwa s23, v25, v2 src0_sel:BYTE_0 src1_sel:DWORD
	v_mov_b32_e32 v81, 0
	s_andn2_b32 s19, s19, exec_lo
	s_and_b32 s23, s23, exec_lo
	s_or_b32 s19, s19, s23
	s_or_b32 exec_lo, exec_lo, s16
	s_and_saveexec_b32 s16, s19
	s_cbranch_execnz .LBB6_12204
	s_branch .LBB6_12205
.LBB6_12487:                            ;   in Loop: Header=BB6_11223 Depth=3
	s_or_saveexec_b32 s19, s19
	v_mov_b32_e32 v25, 0x7f800001
	s_xor_b32 exec_lo, exec_lo, s19
	s_cbranch_execz .LBB6_12209
.LBB6_12488:                            ;   in Loop: Header=BB6_11223 Depth=3
	v_cmp_ne_u16_sdwa s23, v55, v2 src0_sel:BYTE_0 src1_sel:DWORD
	v_mov_b32_e32 v25, 0
	s_andn2_b32 s16, s16, exec_lo
	s_and_b32 s23, s23, exec_lo
	s_or_b32 s16, s16, s23
	s_or_b32 exec_lo, exec_lo, s19
	s_and_saveexec_b32 s19, s16
	s_cbranch_execnz .LBB6_12210
	s_branch .LBB6_12211
.LBB6_12489:                            ;   in Loop: Header=BB6_11223 Depth=3
	s_or_saveexec_b32 s16, s16
	v_mov_b32_e32 v55, 0x7f800001
	s_xor_b32 exec_lo, exec_lo, s16
	s_cbranch_execz .LBB6_12223
.LBB6_12490:                            ;   in Loop: Header=BB6_11223 Depth=3
	v_cmp_ne_u16_sdwa s23, v23, v2 src0_sel:BYTE_0 src1_sel:DWORD
	v_mov_b32_e32 v55, 0
	s_andn2_b32 s19, s19, exec_lo
	s_and_b32 s23, s23, exec_lo
	s_or_b32 s19, s19, s23
	s_or_b32 exec_lo, exec_lo, s16
	s_and_saveexec_b32 s16, s19
	s_cbranch_execnz .LBB6_12224
	s_branch .LBB6_12225
.LBB6_12491:                            ;   in Loop: Header=BB6_11223 Depth=3
	s_or_saveexec_b32 s19, s19
	v_mov_b32_e32 v23, 0x7f800001
	s_xor_b32 exec_lo, exec_lo, s19
	s_cbranch_execz .LBB6_12229
.LBB6_12492:                            ;   in Loop: Header=BB6_11223 Depth=3
	v_cmp_ne_u16_sdwa s23, v51, v2 src0_sel:BYTE_0 src1_sel:DWORD
	v_mov_b32_e32 v23, 0
	s_andn2_b32 s16, s16, exec_lo
	s_and_b32 s23, s23, exec_lo
	s_or_b32 s16, s16, s23
	s_or_b32 exec_lo, exec_lo, s19
	s_and_saveexec_b32 s19, s16
	s_cbranch_execnz .LBB6_12230
	s_branch .LBB6_12231
.LBB6_12493:                            ;   in Loop: Header=BB6_11223 Depth=3
	s_or_saveexec_b32 s16, s16
	v_mov_b32_e32 v51, 0x7f800001
	s_xor_b32 exec_lo, exec_lo, s16
	s_cbranch_execz .LBB6_12243
.LBB6_12494:                            ;   in Loop: Header=BB6_11223 Depth=3
	v_cmp_ne_u16_sdwa s23, v21, v2 src0_sel:BYTE_0 src1_sel:DWORD
	v_mov_b32_e32 v51, 0
	s_andn2_b32 s19, s19, exec_lo
	s_and_b32 s23, s23, exec_lo
	s_or_b32 s19, s19, s23
	s_or_b32 exec_lo, exec_lo, s16
	s_and_saveexec_b32 s16, s19
	s_cbranch_execnz .LBB6_12244
	s_branch .LBB6_12245
.LBB6_12495:                            ;   in Loop: Header=BB6_11223 Depth=3
	s_or_saveexec_b32 s19, s19
	v_mov_b32_e32 v21, 0x7f800001
	s_xor_b32 exec_lo, exec_lo, s19
	s_cbranch_execz .LBB6_12249
.LBB6_12496:                            ;   in Loop: Header=BB6_11223 Depth=3
	v_cmp_ne_u16_sdwa s23, v31, v2 src0_sel:BYTE_0 src1_sel:DWORD
	v_mov_b32_e32 v21, 0
	s_andn2_b32 s16, s16, exec_lo
	s_and_b32 s23, s23, exec_lo
	s_or_b32 s16, s16, s23
	s_or_b32 exec_lo, exec_lo, s19
	s_and_saveexec_b32 s19, s16
	s_cbranch_execnz .LBB6_12250
	s_branch .LBB6_12251
.LBB6_12497:                            ;   in Loop: Header=BB6_11223 Depth=3
	s_or_saveexec_b32 s16, s16
	v_mov_b32_e32 v31, 0x7f800001
	s_xor_b32 exec_lo, exec_lo, s16
	s_cbranch_execz .LBB6_12263
.LBB6_12498:                            ;   in Loop: Header=BB6_11223 Depth=3
	v_cmp_ne_u16_sdwa s23, v17, v2 src0_sel:BYTE_0 src1_sel:DWORD
	v_mov_b32_e32 v31, 0
	s_andn2_b32 s19, s19, exec_lo
	s_and_b32 s23, s23, exec_lo
	s_or_b32 s19, s19, s23
	s_or_b32 exec_lo, exec_lo, s16
	s_and_saveexec_b32 s16, s19
	s_cbranch_execnz .LBB6_12264
	s_branch .LBB6_12265
.LBB6_12499:                            ;   in Loop: Header=BB6_11223 Depth=3
	s_or_saveexec_b32 s19, s19
	v_mov_b32_e32 v17, 0x7f800001
	s_xor_b32 exec_lo, exec_lo, s19
	s_cbranch_execz .LBB6_12269
.LBB6_12500:                            ;   in Loop: Header=BB6_11223 Depth=3
	v_cmp_ne_u16_sdwa s23, v27, v2 src0_sel:BYTE_0 src1_sel:DWORD
	v_mov_b32_e32 v17, 0
	s_andn2_b32 s16, s16, exec_lo
	s_and_b32 s23, s23, exec_lo
	s_or_b32 s16, s16, s23
	s_or_b32 exec_lo, exec_lo, s19
	s_and_saveexec_b32 s19, s16
	s_cbranch_execnz .LBB6_12270
	s_branch .LBB6_12271
.LBB6_12501:                            ;   in Loop: Header=BB6_11223 Depth=3
	s_or_saveexec_b32 s16, s16
	v_mov_b32_e32 v27, 0x7f800001
	s_xor_b32 exec_lo, exec_lo, s16
	s_cbranch_execz .LBB6_12283
.LBB6_12502:                            ;   in Loop: Header=BB6_11223 Depth=3
	v_cmp_ne_u16_sdwa s23, v16, v2 src0_sel:BYTE_0 src1_sel:DWORD
	v_mov_b32_e32 v27, 0
	s_andn2_b32 s19, s19, exec_lo
	s_and_b32 s23, s23, exec_lo
	s_or_b32 s19, s19, s23
	s_or_b32 exec_lo, exec_lo, s16
	s_and_saveexec_b32 s16, s19
	s_cbranch_execnz .LBB6_12284
	s_branch .LBB6_12285
.LBB6_12503:                            ;   in Loop: Header=BB6_11223 Depth=3
	s_or_saveexec_b32 s19, s19
	v_mov_b32_e32 v16, 0x7f800001
	s_xor_b32 exec_lo, exec_lo, s19
	s_cbranch_execz .LBB6_12289
.LBB6_12504:                            ;   in Loop: Header=BB6_11223 Depth=3
	v_cmp_ne_u16_sdwa s23, v22, v2 src0_sel:BYTE_0 src1_sel:DWORD
	v_mov_b32_e32 v16, 0
	s_andn2_b32 s16, s16, exec_lo
	s_and_b32 s23, s23, exec_lo
	s_or_b32 s16, s16, s23
	s_or_b32 exec_lo, exec_lo, s19
	s_and_saveexec_b32 s19, s16
	s_cbranch_execnz .LBB6_12290
	s_branch .LBB6_12291
.LBB6_12505:                            ;   in Loop: Header=BB6_11223 Depth=3
	s_or_saveexec_b32 s16, s16
	v_mov_b32_e32 v22, 0x7f800001
	s_xor_b32 exec_lo, exec_lo, s16
	s_cbranch_execz .LBB6_12303
.LBB6_12506:                            ;   in Loop: Header=BB6_11223 Depth=3
	v_cmp_ne_u16_sdwa s23, v6, v2 src0_sel:BYTE_0 src1_sel:DWORD
	v_mov_b32_e32 v22, 0
	s_andn2_b32 s19, s19, exec_lo
	s_and_b32 s23, s23, exec_lo
	s_or_b32 s19, s19, s23
	s_or_b32 exec_lo, exec_lo, s16
	s_and_saveexec_b32 s16, s19
	s_cbranch_execnz .LBB6_12304
	s_branch .LBB6_12305
.LBB6_12507:                            ;   in Loop: Header=BB6_11223 Depth=3
	s_or_saveexec_b32 s19, s19
	v_mov_b32_e32 v6, 0x7f800001
	s_xor_b32 exec_lo, exec_lo, s19
	s_cbranch_execz .LBB6_12309
.LBB6_12508:                            ;   in Loop: Header=BB6_11223 Depth=3
	v_cmp_ne_u16_sdwa s23, v0, v2 src0_sel:BYTE_0 src1_sel:DWORD
	v_mov_b32_e32 v6, 0
	s_andn2_b32 s16, s16, exec_lo
	s_and_b32 s23, s23, exec_lo
	s_or_b32 s16, s16, s23
	s_or_b32 exec_lo, exec_lo, s19
	s_and_saveexec_b32 s19, s16
	s_cbranch_execnz .LBB6_12310
	s_branch .LBB6_12311
.LBB6_12509:                            ;   in Loop: Header=BB6_7909 Depth=2
	s_or_b32 exec_lo, exec_lo, s18
.LBB6_12510:                            ;   in Loop: Header=BB6_7909 Depth=2
	s_or_b32 exec_lo, exec_lo, s17
	v_lshlrev_b32_e32 v0, 10, v20
	v_cmp_ne_u32_e32 vcc_lo, v4, v0
	s_and_b32 exec_lo, exec_lo, vcc_lo
	s_cbranch_execz .LBB6_12564
; %bb.12511:                            ;   in Loop: Header=BB6_7909 Depth=2
	v_lshlrev_b32_e32 v6, 5, v18
	v_sub_nc_u32_e32 v5, v5, v6
	v_lshlrev_b32_e32 v6, 5, v19
	v_sub_nc_u32_e32 v5, v5, v6
	v_add_nc_u32_e32 v5, v0, v5
	v_sub_nc_u32_e32 v0, v4, v5
	v_cmp_lt_i32_e32 vcc_lo, 0, v0
	s_and_b32 exec_lo, exec_lo, vcc_lo
	s_cbranch_execz .LBB6_12564
; %bb.12512:                            ;   in Loop: Header=BB6_7909 Depth=2
	s_trap 2
	ds_read_b128 v[8:11], v0
	v_add_nc_u32_e32 v1, v5, v1
	s_mov_b32 s23, 0
	v_ashrrev_i32_e32 v4, 31, v1
	s_waitcnt lgkmcnt(0)
	v_add_co_u32 v8, vcc_lo, v8, v1
	v_add_co_ci_u32_e64 v9, null, v9, v4, vcc_lo
	v_add_co_u32 v10, vcc_lo, v10, v1
	v_add_co_ci_u32_e64 v11, null, v11, v4, vcc_lo
	v_mov_b32_e32 v13, v9
	v_mov_b32_e32 v12, v8
	;; [unrolled: 1-line block ×4, first 2 shown]
.LBB6_12513:                            ;   Parent Loop BB6_47 Depth=1
                                        ;     Parent Loop BB6_7909 Depth=2
                                        ; =>    This Loop Header: Depth=3
                                        ;         Child Loop BB6_12556 Depth 4
	s_trap 2
	ds_read_b64 v[16:17], v0
	s_waitcnt lgkmcnt(0)
	v_readfirstlane_b32 s16, v16
	s_and_b32 s17, s16, 0xff
	s_cmpk_lt_i32 s17, 0x80
	s_cbranch_scc1 .LBB6_12517
; %bb.12514:                            ;   in Loop: Header=BB6_12513 Depth=3
	s_and_b32 s18, 0xffff, s17
	s_cmpk_eq_i32 s18, 0x80
	s_mov_b32 s18, -1
	s_cbranch_scc0 .LBB6_12516
; %bb.12515:                            ;   in Loop: Header=BB6_12513 Depth=3
	s_mov_b32 s18, 0
.LBB6_12516:                            ;   in Loop: Header=BB6_12513 Depth=3
	s_mov_b32 s19, 0x7f800001
	s_branch .LBB6_12519
.LBB6_12517:                            ;   in Loop: Header=BB6_12513 Depth=3
	s_mov_b32 s18, 0
	s_mov_b32 s19, 0x7f800001
	s_cbranch_execz .LBB6_12519
; %bb.12518:                            ;   in Loop: Header=BB6_12513 Depth=3
	s_and_b32 s17, 0xffff, s17
	s_mov_b32 s19, 0
	s_cmp_lg_u32 s17, 0
	s_cselect_b32 s18, -1, 0
.LBB6_12519:                            ;   in Loop: Header=BB6_12513 Depth=3
	v_mov_b32_e32 v1, s19
	s_andn2_b32 vcc_lo, exec_lo, s18
	s_cbranch_vccnz .LBB6_12521
; %bb.12520:                            ;   in Loop: Header=BB6_12513 Depth=3
	s_and_b32 s17, s16, 3
	s_bfe_u32 s19, s16, 0x50002
	s_flbit_i32_b32 s18, s17
	v_lshlrev_b32_e32 v1, 24, v16
	s_min_u32 s18, s18, 32
	s_sub_i32 s72, s18, 29
	s_sub_i32 s18, 30, s18
	s_lshl_b32 s16, s16, s72
	v_and_b32_e32 v1, 0x80000000, v1
	s_and_b32 s16, s16, 3
	s_cmp_eq_u32 s19, 0
	s_cselect_b32 s18, s18, s19
	s_cselect_b32 s16, s16, s17
	s_lshl_b32 s17, s18, 23
	s_lshl_b32 s16, s16, 21
	s_add_i32 s17, s17, 0x37800000
	v_or_b32_e32 v1, s17, v1
	v_or_b32_e32 v1, s16, v1
.LBB6_12521:                            ;   in Loop: Header=BB6_12513 Depth=3
	flat_load_ubyte v4, v[12:13] slc
	s_mov_b32 s16, 0
	s_mov_b32 s17, exec_lo
	s_waitcnt vmcnt(0) lgkmcnt(0)
	v_cmpx_lt_i16_e32 0x7f, v4
	s_xor_b32 s17, exec_lo, s17
	s_cbranch_execz .LBB6_12558
; %bb.12522:                            ;   in Loop: Header=BB6_12513 Depth=3
	s_mov_b32 s16, -1
	s_mov_b32 s18, exec_lo
	v_cmpx_eq_u16_e32 0x80, v4
; %bb.12523:                            ;   in Loop: Header=BB6_12513 Depth=3
	s_xor_b32 s16, exec_lo, -1
; %bb.12524:                            ;   in Loop: Header=BB6_12513 Depth=3
	s_or_b32 exec_lo, exec_lo, s18
	s_and_b32 s16, s16, exec_lo
	s_or_saveexec_b32 s17, s17
	v_mov_b32_e32 v5, 0x7f800001
	s_xor_b32 exec_lo, exec_lo, s17
	s_cbranch_execnz .LBB6_12559
.LBB6_12525:                            ;   in Loop: Header=BB6_12513 Depth=3
	s_or_b32 exec_lo, exec_lo, s17
	s_and_saveexec_b32 s17, s16
	s_cbranch_execz .LBB6_12527
.LBB6_12526:                            ;   in Loop: Header=BB6_12513 Depth=3
	v_and_b32_e32 v5, 0xffff, v4
	v_lshlrev_b32_e32 v4, 24, v4
	v_and_b32_e32 v6, 3, v5
	v_bfe_u32 v17, v5, 2, 5
	v_and_b32_e32 v4, 0x80000000, v4
	v_ffbh_u32_e32 v7, v6
	v_cmp_eq_u32_e32 vcc_lo, 0, v17
	v_min_u32_e32 v7, 32, v7
	v_subrev_nc_u32_e32 v16, 29, v7
	v_sub_nc_u32_e32 v7, 30, v7
	v_lshlrev_b32_e32 v5, v16, v5
	v_cndmask_b32_e32 v7, v17, v7, vcc_lo
	v_and_b32_e32 v5, 3, v5
	v_cndmask_b32_e32 v5, v6, v5, vcc_lo
	v_lshl_add_u32 v6, v7, 23, 0x37800000
	v_lshlrev_b32_e32 v5, 21, v5
	v_or3_b32 v5, v4, v6, v5
.LBB6_12527:                            ;   in Loop: Header=BB6_12513 Depth=3
	s_or_b32 exec_lo, exec_lo, s17
	v_mul_f32_e32 v1, v1, v5
	v_mov_b32_e32 v5, 0x80
	s_mov_b32 s17, exec_lo
	v_and_b32_e32 v4, 0x7f800000, v1
	v_cmpx_ne_u32_e32 0x7f800000, v4
	s_cbranch_execz .LBB6_12535
; %bb.12528:                            ;   in Loop: Header=BB6_12513 Depth=3
	v_mov_b32_e32 v5, 0
	s_mov_b32 s18, exec_lo
	v_cmpx_ne_u32_e32 0, v1
	s_cbranch_execz .LBB6_12534
; %bb.12529:                            ;   in Loop: Header=BB6_12513 Depth=3
	v_bfe_u32 v4, v1, 23, 8
	v_and_b32_e32 v5, 0x7fffff, v1
	v_sub_nc_u32_e32 v6, 0x70, v4
	v_cmp_gt_u32_e32 vcc_lo, 0x71, v4
	v_or_b32_e32 v7, 0x800000, v5
	v_cndmask_b32_e32 v6, 0, v6, vcc_lo
	v_cmp_eq_u32_e32 vcc_lo, 0, v4
	v_add_nc_u32_e32 v4, 0xffffff91, v4
	v_cndmask_b32_e64 v6, v6, 0x6f, vcc_lo
	v_cndmask_b32_e32 v5, v7, v5, vcc_lo
	v_cndmask_b32_e64 v4, v4, 0xffffff92, vcc_lo
	v_lshl_add_u32 v7, 0x200000, v6, -1
	v_lshrrev_b32_e32 v16, v6, v5
	v_lshlrev_b32_e64 v18, v6, 0x100000
	v_add_nc_u32_e32 v6, v6, v4
	v_and_b32_e32 v5, v7, v5
	v_bfe_u32 v17, v16, 21, 1
	v_cmp_eq_u32_e64 s16, v5, v18
	v_add_nc_u32_e32 v7, -1, v17
	v_cndmask_b32_e64 v5, 0, v7, s16
	v_lshrrev_b32_e32 v7, 23, v16
	s_mov_b32 s16, exec_lo
	v_add_nc_u32_e32 v5, v5, v16
	v_xor_b32_e32 v7, 1, v7
	v_and_b32_e32 v4, 0x1fffff, v5
	v_add_nc_u32_e32 v5, v4, v16
                                        ; implicit-def: $vgpr4
	v_cmpx_ne_u32_e64 v6, v7
	s_xor_b32 s16, exec_lo, s16
; %bb.12530:                            ;   in Loop: Header=BB6_12513 Depth=3
	v_cmp_lt_u32_e32 vcc_lo, 0xffffff, v5
	v_sub_nc_u32_e32 v4, v6, v7
	v_cndmask_b32_e64 v6, 0, 1, vcc_lo
	v_add_co_ci_u32_e64 v4, null, 0, v4, vcc_lo
	v_lshrrev_b32_e32 v5, v6, v5
; %bb.12531:                            ;   in Loop: Header=BB6_12513 Depth=3
	s_andn2_saveexec_b32 s16, s16
; %bb.12532:                            ;   in Loop: Header=BB6_12513 Depth=3
	v_bfe_u32 v4, v5, 23, 1
; %bb.12533:                            ;   in Loop: Header=BB6_12513 Depth=3
	s_or_b32 exec_lo, exec_lo, s16
	v_lshrrev_b32_e32 v5, 21, v5
	v_cmp_gt_i32_e32 vcc_lo, 32, v4
	v_min_i32_e32 v6, 31, v4
	v_and_b32_sdwa v1, v1, v117 dst_sel:DWORD dst_unused:UNUSED_PAD src0_sel:BYTE_3 src1_sel:DWORD
	v_cndmask_b32_e32 v5, 3, v5, vcc_lo
	v_lshlrev_b32_e32 v6, 2, v6
	v_and_b32_e32 v7, 3, v5
	v_or_b32_e32 v4, v4, v5
	v_or3_b32 v1, v6, v1, v7
	v_cmp_ne_u32_e32 vcc_lo, 0, v4
	v_cndmask_b32_e32 v5, 0, v1, vcc_lo
.LBB6_12534:                            ;   in Loop: Header=BB6_12513 Depth=3
	s_or_b32 exec_lo, exec_lo, s18
.LBB6_12535:                            ;   in Loop: Header=BB6_12513 Depth=3
	s_or_b32 exec_lo, exec_lo, s17
	flat_load_ubyte v1, v[14:15] slc
	v_cmp_gt_i16_sdwa s17, v5, v116 src0_sel:BYTE_0 src1_sel:DWORD
	s_mov_b32 s16, 0
	s_and_saveexec_b32 s18, s17
	s_xor_b32 s17, exec_lo, s18
	s_cbranch_execz .LBB6_12560
; %bb.12536:                            ;   in Loop: Header=BB6_12513 Depth=3
	v_cmp_eq_u16_sdwa s19, v5, v117 src0_sel:BYTE_0 src1_sel:DWORD
	s_mov_b32 s16, -1
	s_and_saveexec_b32 s18, s19
; %bb.12537:                            ;   in Loop: Header=BB6_12513 Depth=3
	s_xor_b32 s16, exec_lo, -1
; %bb.12538:                            ;   in Loop: Header=BB6_12513 Depth=3
	s_or_b32 exec_lo, exec_lo, s18
	s_and_b32 s16, s16, exec_lo
	s_or_saveexec_b32 s17, s17
	v_mov_b32_e32 v4, 0x7f800001
	s_xor_b32 exec_lo, exec_lo, s17
	s_cbranch_execnz .LBB6_12561
.LBB6_12539:                            ;   in Loop: Header=BB6_12513 Depth=3
	s_or_b32 exec_lo, exec_lo, s17
	s_and_saveexec_b32 s17, s16
	s_cbranch_execz .LBB6_12541
.LBB6_12540:                            ;   in Loop: Header=BB6_12513 Depth=3
	v_and_b32_e32 v4, 3, v5
	v_lshrrev_b16 v7, 2, v5
	v_ffbh_u32_e32 v6, v4
	v_and_b32_e32 v7, 31, v7
	v_min_u32_e32 v6, 32, v6
	v_cmp_eq_u32_e32 vcc_lo, 0, v7
	v_subrev_nc_u32_e32 v16, 29, v6
	v_sub_nc_u32_e32 v6, 30, v6
	v_lshlrev_b32_e32 v16, v16, v5
	v_lshlrev_b32_e32 v5, 24, v5
	v_cndmask_b32_e32 v6, v7, v6, vcc_lo
	v_and_b32_e32 v16, 3, v16
	v_and_b32_e32 v5, 0x80000000, v5
	v_lshl_add_u32 v6, v6, 23, 0x37800000
	v_cndmask_b32_e32 v4, v4, v16, vcc_lo
	v_lshlrev_b32_e32 v4, 21, v4
	v_or3_b32 v4, v5, v6, v4
.LBB6_12541:                            ;   in Loop: Header=BB6_12513 Depth=3
	s_or_b32 exec_lo, exec_lo, s17
	s_waitcnt vmcnt(0) lgkmcnt(0)
	v_cmp_gt_i16_sdwa s17, v1, v116 src0_sel:BYTE_0 src1_sel:DWORD
	s_mov_b32 s16, 0
	s_and_saveexec_b32 s18, s17
	s_xor_b32 s17, exec_lo, s18
	s_cbranch_execz .LBB6_12562
; %bb.12542:                            ;   in Loop: Header=BB6_12513 Depth=3
	v_cmp_eq_u16_sdwa s19, v1, v117 src0_sel:BYTE_0 src1_sel:DWORD
	s_mov_b32 s16, -1
	s_and_saveexec_b32 s18, s19
; %bb.12543:                            ;   in Loop: Header=BB6_12513 Depth=3
	s_xor_b32 s16, exec_lo, -1
; %bb.12544:                            ;   in Loop: Header=BB6_12513 Depth=3
	s_or_b32 exec_lo, exec_lo, s18
	s_and_b32 s16, s16, exec_lo
	s_or_saveexec_b32 s17, s17
	v_mov_b32_e32 v5, 0x7f800001
	s_xor_b32 exec_lo, exec_lo, s17
	s_cbranch_execnz .LBB6_12563
.LBB6_12545:                            ;   in Loop: Header=BB6_12513 Depth=3
	s_or_b32 exec_lo, exec_lo, s17
	s_and_saveexec_b32 s17, s16
	s_cbranch_execz .LBB6_12547
.LBB6_12546:                            ;   in Loop: Header=BB6_12513 Depth=3
	v_and_b32_e32 v5, 3, v1
	v_lshrrev_b16 v7, 2, v1
	v_ffbh_u32_e32 v6, v5
	v_and_b32_e32 v7, 31, v7
	v_min_u32_e32 v6, 32, v6
	v_cmp_eq_u32_e32 vcc_lo, 0, v7
	v_subrev_nc_u32_e32 v16, 29, v6
	v_sub_nc_u32_e32 v6, 30, v6
	v_lshlrev_b32_e32 v16, v16, v1
	v_lshlrev_b32_e32 v1, 24, v1
	v_cndmask_b32_e32 v6, v7, v6, vcc_lo
	v_and_b32_e32 v16, 3, v16
	v_and_b32_e32 v1, 0x80000000, v1
	v_lshl_add_u32 v6, v6, 23, 0x37800000
	v_cndmask_b32_e32 v5, v5, v16, vcc_lo
	v_lshlrev_b32_e32 v5, 21, v5
	v_or3_b32 v5, v1, v6, v5
.LBB6_12547:                            ;   in Loop: Header=BB6_12513 Depth=3
	s_or_b32 exec_lo, exec_lo, s17
	v_add_f32_e32 v1, v4, v5
	v_and_b32_e32 v4, 0x7f800000, v1
	v_cmp_ne_u32_e32 vcc_lo, 0x7f800000, v4
	v_mov_b32_e32 v4, 0x80
	s_and_saveexec_b32 s17, vcc_lo
	s_cbranch_execz .LBB6_12555
; %bb.12548:                            ;   in Loop: Header=BB6_12513 Depth=3
	v_mov_b32_e32 v4, 0
	s_mov_b32 s18, exec_lo
	v_cmpx_ne_u32_e32 0, v1
	s_cbranch_execz .LBB6_12554
; %bb.12549:                            ;   in Loop: Header=BB6_12513 Depth=3
	v_bfe_u32 v4, v1, 23, 8
	v_and_b32_e32 v5, 0x7fffff, v1
	v_sub_nc_u32_e32 v6, 0x70, v4
	v_cmp_gt_u32_e32 vcc_lo, 0x71, v4
	v_or_b32_e32 v7, 0x800000, v5
	v_cndmask_b32_e32 v6, 0, v6, vcc_lo
	v_cmp_eq_u32_e32 vcc_lo, 0, v4
	v_add_nc_u32_e32 v4, 0xffffff91, v4
	v_cndmask_b32_e64 v6, v6, 0x6f, vcc_lo
	v_cndmask_b32_e32 v5, v7, v5, vcc_lo
	v_cndmask_b32_e64 v4, v4, 0xffffff92, vcc_lo
	v_lshl_add_u32 v7, 0x200000, v6, -1
	v_lshrrev_b32_e32 v16, v6, v5
	v_lshlrev_b32_e64 v18, v6, 0x100000
	v_add_nc_u32_e32 v6, v6, v4
	v_and_b32_e32 v5, v7, v5
	v_bfe_u32 v17, v16, 21, 1
	v_cmp_eq_u32_e64 s16, v5, v18
	v_add_nc_u32_e32 v7, -1, v17
	v_cndmask_b32_e64 v5, 0, v7, s16
	v_lshrrev_b32_e32 v7, 23, v16
	s_mov_b32 s16, exec_lo
	v_add_nc_u32_e32 v5, v5, v16
	v_xor_b32_e32 v7, 1, v7
	v_and_b32_e32 v4, 0x1fffff, v5
	v_add_nc_u32_e32 v5, v4, v16
                                        ; implicit-def: $vgpr4
	v_cmpx_ne_u32_e64 v6, v7
	s_xor_b32 s16, exec_lo, s16
; %bb.12550:                            ;   in Loop: Header=BB6_12513 Depth=3
	v_cmp_lt_u32_e32 vcc_lo, 0xffffff, v5
	v_sub_nc_u32_e32 v4, v6, v7
	v_cndmask_b32_e64 v6, 0, 1, vcc_lo
	v_add_co_ci_u32_e64 v4, null, 0, v4, vcc_lo
	v_lshrrev_b32_e32 v5, v6, v5
; %bb.12551:                            ;   in Loop: Header=BB6_12513 Depth=3
	s_andn2_saveexec_b32 s16, s16
; %bb.12552:                            ;   in Loop: Header=BB6_12513 Depth=3
	v_bfe_u32 v4, v5, 23, 1
; %bb.12553:                            ;   in Loop: Header=BB6_12513 Depth=3
	s_or_b32 exec_lo, exec_lo, s16
	v_lshrrev_b32_e32 v5, 21, v5
	v_cmp_gt_i32_e32 vcc_lo, 32, v4
	v_min_i32_e32 v6, 31, v4
	v_and_b32_sdwa v1, v1, v117 dst_sel:DWORD dst_unused:UNUSED_PAD src0_sel:BYTE_3 src1_sel:DWORD
	v_cndmask_b32_e32 v5, 3, v5, vcc_lo
	v_lshlrev_b32_e32 v6, 2, v6
	v_and_b32_e32 v7, 3, v5
	v_or_b32_e32 v4, v4, v5
	v_or3_b32 v1, v6, v1, v7
	v_cmp_ne_u32_e32 vcc_lo, 0, v4
	v_cndmask_b32_e32 v4, 0, v1, vcc_lo
.LBB6_12554:                            ;   in Loop: Header=BB6_12513 Depth=3
	s_or_b32 exec_lo, exec_lo, s18
.LBB6_12555:                            ;   in Loop: Header=BB6_12513 Depth=3
	s_or_b32 exec_lo, exec_lo, s17
	s_mov_b64 s[18:19], 0
	s_mov_b32 s72, -1
	.p2align	6
.LBB6_12556:                            ;   Parent Loop BB6_47 Depth=1
                                        ;     Parent Loop BB6_7909 Depth=2
                                        ;       Parent Loop BB6_12513 Depth=3
                                        ; =>      This Inner Loop Header: Depth=4
	s_cmp_eq_u32 s18, 1
	s_cselect_b32 vcc_lo, -1, 0
	s_cmp_eq_u32 s18, 0
	v_cndmask_b32_e32 v5, v8, v10, vcc_lo
	v_cndmask_b32_e32 v6, v9, v11, vcc_lo
	s_mov_b64 s[18:19], 1
	v_add_co_u32 v1, s16, v5, 32
	v_add_co_ci_u32_e64 v7, null, 0, v6, s16
	s_cselect_b32 s16, -1, 0
	v_cndmask_b32_e32 v10, v10, v1, vcc_lo
	v_cndmask_b32_e64 v8, v8, v1, s16
	v_cndmask_b32_e32 v11, v11, v7, vcc_lo
	v_cndmask_b32_e64 v9, v9, v7, s16
	s_and_b32 s17, exec_lo, s72
	s_mov_b32 s72, 0
	s_mov_b32 vcc_lo, s17
	flat_store_byte v[5:6], v4 glc slc
	s_cbranch_vccnz .LBB6_12556
; %bb.12557:                            ;   in Loop: Header=BB6_12513 Depth=3
	s_clause 0x1
	buffer_load_dword v1, off, s[0:3], s33 offset:192
	buffer_load_dword v4, off, s[0:3], s33 offset:196
	v_sub_nc_u32_e32 v0, v0, v114
	s_waitcnt vmcnt(1)
	v_add_co_u32 v12, vcc_lo, v12, v1
	s_waitcnt vmcnt(0)
	v_add_co_ci_u32_e64 v13, null, v13, v4, vcc_lo
	v_add_co_u32 v14, vcc_lo, v14, v1
	v_add_co_ci_u32_e64 v15, null, v15, v4, vcc_lo
	buffer_load_dword v4, off, s[0:3], s33 offset:188 ; 4-byte Folded Reload
	v_subrev_nc_u32_e32 v1, 32, v114
	v_add_co_u32 v8, vcc_lo, v8, v1
	v_add_co_u32 v10, s16, v10, v1
	s_waitcnt vmcnt(0)
	v_add_co_ci_u32_e64 v9, null, v9, v4, vcc_lo
	v_cmp_gt_i32_e32 vcc_lo, 1, v0
	v_add_co_ci_u32_e64 v11, null, v11, v4, s16
	s_or_b32 s23, vcc_lo, s23
	s_andn2_b32 exec_lo, exec_lo, s23
	s_cbranch_execnz .LBB6_12513
	s_branch .LBB6_12564
.LBB6_12558:                            ;   in Loop: Header=BB6_12513 Depth=3
	s_or_saveexec_b32 s17, s17
	v_mov_b32_e32 v5, 0x7f800001
	s_xor_b32 exec_lo, exec_lo, s17
	s_cbranch_execz .LBB6_12525
.LBB6_12559:                            ;   in Loop: Header=BB6_12513 Depth=3
	v_cmp_ne_u16_e32 vcc_lo, 0, v4
	v_mov_b32_e32 v5, 0
	s_andn2_b32 s16, s16, exec_lo
	s_and_b32 s18, vcc_lo, exec_lo
	s_or_b32 s16, s16, s18
	s_or_b32 exec_lo, exec_lo, s17
	s_and_saveexec_b32 s17, s16
	s_cbranch_execnz .LBB6_12526
	s_branch .LBB6_12527
.LBB6_12560:                            ;   in Loop: Header=BB6_12513 Depth=3
	s_or_saveexec_b32 s17, s17
	v_mov_b32_e32 v4, 0x7f800001
	s_xor_b32 exec_lo, exec_lo, s17
	s_cbranch_execz .LBB6_12539
.LBB6_12561:                            ;   in Loop: Header=BB6_12513 Depth=3
	v_cmp_ne_u16_sdwa s18, v5, v2 src0_sel:BYTE_0 src1_sel:DWORD
	v_mov_b32_e32 v4, 0
	s_andn2_b32 s16, s16, exec_lo
	s_and_b32 s18, s18, exec_lo
	s_or_b32 s16, s16, s18
	s_or_b32 exec_lo, exec_lo, s17
	s_and_saveexec_b32 s17, s16
	s_cbranch_execnz .LBB6_12540
	s_branch .LBB6_12541
.LBB6_12562:                            ;   in Loop: Header=BB6_12513 Depth=3
	s_or_saveexec_b32 s17, s17
	v_mov_b32_e32 v5, 0x7f800001
	s_xor_b32 exec_lo, exec_lo, s17
	s_cbranch_execz .LBB6_12545
.LBB6_12563:                            ;   in Loop: Header=BB6_12513 Depth=3
	v_cmp_ne_u16_sdwa s18, v1, v2 src0_sel:BYTE_0 src1_sel:DWORD
	v_mov_b32_e32 v5, 0
	s_andn2_b32 s16, s16, exec_lo
	s_and_b32 s18, s18, exec_lo
	s_or_b32 s16, s16, s18
	s_or_b32 exec_lo, exec_lo, s17
	s_and_saveexec_b32 s17, s16
	s_cbranch_execnz .LBB6_12546
	s_branch .LBB6_12547
.LBB6_12564:                            ;   in Loop: Header=BB6_7909 Depth=2
	s_or_b32 exec_lo, exec_lo, s22
	s_mov_b32 s16, 0
.LBB6_12565:                            ;   in Loop: Header=BB6_7909 Depth=2
	s_and_b32 vcc_lo, exec_lo, s16
	s_cbranch_vccnz .LBB6_12566
; %bb.17821:                            ;   in Loop: Header=BB6_7909 Depth=2
	s_getpc_b64 s[34:35]
.Lpost_getpc48:
	s_add_u32 s34, s34, (.LBB6_17144-.Lpost_getpc48)&4294967295
	s_addc_u32 s35, s35, (.LBB6_17144-.Lpost_getpc48)>>32
	s_setpc_b64 s[34:35]
.LBB6_12566:                            ;   in Loop: Header=BB6_7909 Depth=2
	s_mov_b32 s16, -1
	s_and_saveexec_b32 s17, s14
	s_cbranch_execz .LBB6_12568
; %bb.12567:                            ;   in Loop: Header=BB6_7909 Depth=2
	ds_read_b32 v0, v0 offset:720
	s_waitcnt lgkmcnt(0)
	v_and_b32_e32 v0, 15, v0
	v_cmp_eq_u32_e32 vcc_lo, 0, v0
	s_orn2_b32 s16, vcc_lo, exec_lo
.LBB6_12568:                            ;   in Loop: Header=BB6_7909 Depth=2
	s_or_b32 exec_lo, exec_lo, s17
	s_and_saveexec_b32 s17, s12
	s_cbranch_execz .LBB6_12570
; %bb.12569:                            ;   in Loop: Header=BB6_7909 Depth=2
	ds_read_b32 v0, v0 offset:784
	s_waitcnt lgkmcnt(0)
	v_and_b32_e32 v0, 15, v0
	v_cmp_eq_u32_e32 vcc_lo, 0, v0
	s_and_b32 s18, s16, vcc_lo
	s_andn2_b32 s16, s16, exec_lo
	s_and_b32 s18, s18, exec_lo
	s_or_b32 s16, s16, s18
.LBB6_12570:                            ;   in Loop: Header=BB6_7909 Depth=2
	s_or_b32 exec_lo, exec_lo, s17
	s_clause 0x1
	buffer_load_dword v1, off, s[0:3], s33 offset:260
	buffer_load_dword v4, off, s[0:3], s33 offset:204
	s_xor_b32 s16, s16, -1
	v_cndmask_b32_e64 v0, 0, 1, s16
	s_mov_b32 s16, -1
	v_cmp_ne_u32_e32 vcc_lo, 0, v0
	v_mov_b32_e32 v0, 0
	s_cbranch_vccz .LBB6_12572
; %bb.12571:                            ;   in Loop: Header=BB6_7909 Depth=2
	s_and_saveexec_b32 s17, s16
	s_cbranch_execnz .LBB6_15799
; %bb.17773:                            ;   in Loop: Header=BB6_7909 Depth=2
	s_getpc_b64 s[34:35]
.Lpost_getpc24:
	s_add_u32 s34, s34, (.LBB6_17143-.Lpost_getpc24)&4294967295
	s_addc_u32 s35, s35, (.LBB6_17143-.Lpost_getpc24)>>32
	s_setpc_b64 s[34:35]
.LBB6_12572:                            ;   in Loop: Header=BB6_7909 Depth=2
	buffer_load_dword v1, off, s[0:3], s33 offset:260 ; 4-byte Folded Reload
	s_mov_b32 s17, exec_lo
	s_waitcnt vmcnt(0)
	v_ashrrev_i32_e32 v0, 31, v1
	v_lshrrev_b32_e32 v0, 21, v0
	v_add_nc_u32_e32 v0, v1, v0
	v_ashrrev_i32_e32 v97, 11, v0
	buffer_load_dword v0, off, s[0:3], s33 offset:332 ; 4-byte Folded Reload
	s_waitcnt vmcnt(0)
	v_sub_nc_u32_e32 v96, v97, v0
	v_cmpx_lt_i32_e32 0, v96
	s_cbranch_execz .LBB6_15144
; %bb.12573:                            ;   in Loop: Header=BB6_7909 Depth=2
	s_trap 2
	buffer_load_dword v4, off, s[0:3], s33 offset:440 ; 4-byte Folded Reload
	ds_read_b64 v[0:1], v0
	s_clause 0x1
	buffer_load_dword v5, off, s[0:3], s33 offset:264
	buffer_load_dword v6, off, s[0:3], s33 offset:268
	s_waitcnt lgkmcnt(0)
	v_readfirstlane_b32 s16, v0
	s_and_b32 s18, s16, 3
	s_bfe_u32 s23, s16, 0x50002
	s_flbit_i32_b32 s19, s18
	s_min_u32 s19, s19, 32
	s_sub_i32 s22, s19, 29
	s_sub_i32 s19, 30, s19
	s_lshl_b32 s22, s16, s22
	s_and_b32 s22, s22, 3
	s_cmp_eq_u32 s23, 0
	s_cselect_b32 s19, s19, s23
	s_cselect_b32 s18, s22, s18
	s_lshl_b32 s22, s16, 24
	s_lshl_b32 s19, s19, 23
	s_and_b32 s22, s22, 0x80000000
	s_add_i32 s19, s19, 0x37800000
	s_lshl_b32 s23, s18, 21
	s_or_b32 s19, s22, s19
	s_mov_b32 s18, 0
	s_or_b32 s19, s19, s23
	s_and_b32 s22, s16, 0xff
	s_waitcnt vmcnt(2)
	v_add_co_u32 v82, vcc_lo, v69, v4
	v_add_co_ci_u32_e64 v83, null, 0, v70, vcc_lo
	s_waitcnt vmcnt(1)
	v_add_co_u32 v84, vcc_lo, v5, v4
	s_waitcnt vmcnt(0)
	v_add_co_ci_u32_e64 v85, null, 0, v6, vcc_lo
	v_add_co_u32 v86, vcc_lo, v0, v4
	v_add_co_ci_u32_e64 v87, null, 0, v1, vcc_lo
	s_branch .LBB6_12577
.LBB6_12574:                            ;   in Loop: Header=BB6_12577 Depth=3
	s_or_b32 exec_lo, exec_lo, s16
	v_lshrrev_b32_e32 v28, 21, v62
	v_min_i32_e32 v98, 31, v63
	v_cmp_gt_i32_e32 vcc_lo, 32, v63
	v_and_b32_sdwa v11, v11, v117 dst_sel:DWORD dst_unused:UNUSED_PAD src0_sel:BYTE_3 src1_sel:DWORD
	v_lshlrev_b32_e32 v98, 2, v98
	v_cndmask_b32_e32 v28, 3, v28, vcc_lo
	v_and_b32_e32 v98, 0xfc, v98
	v_or_b32_e32 v62, v63, v28
	v_and_b32_e32 v28, 3, v28
	v_cmp_ne_u32_e32 vcc_lo, 0, v62
	v_or3_b32 v11, v11, v98, v28
	v_lshlrev_b32_e32 v11, 8, v11
	v_cndmask_b32_e32 v28, 0, v11, vcc_lo
.LBB6_12575:                            ;   in Loop: Header=BB6_12577 Depth=3
	s_or_b32 exec_lo, exec_lo, s72
.LBB6_12576:                            ;   in Loop: Header=BB6_12577 Depth=3
	s_or_b32 exec_lo, exec_lo, s23
	v_or_b32_sdwa v11, v13, v101 dst_sel:WORD_1 dst_unused:UNUSED_PAD src0_sel:DWORD src1_sel:DWORD
	v_add_co_u32 v82, vcc_lo, v82, v47
	v_sub_nc_u32_e32 v96, v96, v103
	v_add_co_ci_u32_e64 v83, null, 0, v83, vcc_lo
	v_or3_b32 v13, v31, v1, v11
	v_or_b32_sdwa v1, v12, v81 dst_sel:WORD_1 dst_unused:UNUSED_PAD src0_sel:DWORD src1_sel:DWORD
	v_add_co_u32 v86, vcc_lo, v86, v47
	v_add_co_ci_u32_e64 v87, null, 0, v87, vcc_lo
	v_or3_b32 v12, v19, v7, v1
	v_or_b32_sdwa v1, v14, v112 dst_sel:WORD_1 dst_unused:UNUSED_PAD src0_sel:DWORD src1_sel:DWORD
	v_or3_b32 v14, v42, v113, v1
	v_or_b32_sdwa v1, v15, v57 dst_sel:WORD_1 dst_unused:UNUSED_PAD src0_sel:DWORD src1_sel:DWORD
	;; [unrolled: 2-line block ×14, first 2 shown]
	v_or3_b32 v8, v30, v25, v0
	global_store_dwordx4 v[84:85], v[20:23], off glc slc
	global_store_dwordx4 v[84:85], v[16:19], off offset:512 glc slc
	global_store_dwordx4 v[84:85], v[12:15], off offset:1024 glc slc
	global_store_dwordx4 v[84:85], v[5:8], off offset:1536 glc slc
	v_add_co_u32 v84, vcc_lo, v84, v47
	v_add_co_ci_u32_e64 v85, null, 0, v85, vcc_lo
	v_cmp_gt_i32_e32 vcc_lo, 1, v96
	s_or_b32 s18, vcc_lo, s18
	s_andn2_b32 exec_lo, exec_lo, s18
	s_cbranch_execz .LBB6_15143
.LBB6_12577:                            ;   Parent Loop BB6_47 Depth=1
                                        ;     Parent Loop BB6_7909 Depth=2
                                        ; =>    This Inner Loop Header: Depth=3
	s_cmpk_lt_i32 s22, 0x80
	s_cbranch_scc1 .LBB6_12581
; %bb.12578:                            ;   in Loop: Header=BB6_12577 Depth=3
	s_and_b32 s16, 0xffff, s22
	s_cmpk_eq_i32 s16, 0x80
	s_mov_b32 s16, -1
	s_cbranch_scc0 .LBB6_12580
; %bb.12579:                            ;   in Loop: Header=BB6_12577 Depth=3
	s_mov_b32 s16, 0
.LBB6_12580:                            ;   in Loop: Header=BB6_12577 Depth=3
	s_mov_b32 s23, 0x7f800001
	s_branch .LBB6_12583
.LBB6_12581:                            ;   in Loop: Header=BB6_12577 Depth=3
	s_mov_b32 s16, 0
	s_mov_b32 s23, 0x7f800001
	s_cbranch_execz .LBB6_12583
; %bb.12582:                            ;   in Loop: Header=BB6_12577 Depth=3
	s_and_b32 s16, 0xffff, s22
	s_mov_b32 s23, 0
	s_cmp_lg_u32 s16, 0
	s_cselect_b32 s16, -1, 0
.LBB6_12583:                            ;   in Loop: Header=BB6_12577 Depth=3
	s_andn2_b32 vcc_lo, exec_lo, s16
	s_cbranch_vccnz .LBB6_12585
; %bb.12584:                            ;   in Loop: Header=BB6_12577 Depth=3
	s_mov_b32 s23, s19
.LBB6_12585:                            ;   in Loop: Header=BB6_12577 Depth=3
	global_load_dwordx4 v[8:11], v[82:83], off slc
	s_mov_b32 s16, 0
	s_waitcnt vmcnt(0)
	v_cmp_gt_i16_sdwa s72, v8, v116 src0_sel:BYTE_0 src1_sel:DWORD
	s_and_saveexec_b32 s73, s72
	s_xor_b32 s72, exec_lo, s73
	s_cbranch_execz .LBB6_14759
; %bb.12586:                            ;   in Loop: Header=BB6_12577 Depth=3
	v_cmp_eq_u16_sdwa s74, v8, v117 src0_sel:BYTE_0 src1_sel:DWORD
	s_mov_b32 s16, -1
	s_and_saveexec_b32 s73, s74
; %bb.12587:                            ;   in Loop: Header=BB6_12577 Depth=3
	s_xor_b32 s16, exec_lo, -1
; %bb.12588:                            ;   in Loop: Header=BB6_12577 Depth=3
	s_or_b32 exec_lo, exec_lo, s73
	s_and_b32 s16, s16, exec_lo
	s_or_saveexec_b32 s72, s72
	v_mov_b32_e32 v0, 0x7f800001
	s_xor_b32 exec_lo, exec_lo, s72
	s_cbranch_execnz .LBB6_14760
.LBB6_12589:                            ;   in Loop: Header=BB6_12577 Depth=3
	s_or_b32 exec_lo, exec_lo, s72
	s_and_saveexec_b32 s72, s16
	s_cbranch_execz .LBB6_12591
.LBB6_12590:                            ;   in Loop: Header=BB6_12577 Depth=3
	v_and_b32_e32 v0, 3, v8
	v_bfe_u32 v5, v8, 2, 5
	v_lshlrev_b32_e32 v6, 24, v8
	v_ffbh_u32_e32 v1, v0
	v_cmp_eq_u32_e32 vcc_lo, 0, v5
	v_min_u32_e32 v1, 32, v1
	v_subrev_nc_u32_e32 v4, 29, v1
	v_sub_nc_u32_e32 v1, 30, v1
	v_lshlrev_b32_e32 v4, v4, v8
	v_cndmask_b32_e32 v1, v5, v1, vcc_lo
	v_and_b32_e32 v4, 3, v4
	v_lshl_add_u32 v1, v1, 23, 0x37800000
	v_cndmask_b32_e32 v0, v0, v4, vcc_lo
	v_and_b32_e32 v4, 0x80000000, v6
	v_lshlrev_b32_e32 v0, 21, v0
	v_or3_b32 v0, v4, v1, v0
.LBB6_12591:                            ;   in Loop: Header=BB6_12577 Depth=3
	s_or_b32 exec_lo, exec_lo, s72
	v_mul_f32_e32 v0, s23, v0
	v_mov_b32_e32 v12, 0x80
	s_mov_b32 s72, exec_lo
	v_and_b32_e32 v1, 0x7f800000, v0
	v_cmpx_ne_u32_e32 0x7f800000, v1
	s_cbranch_execz .LBB6_12599
; %bb.12592:                            ;   in Loop: Header=BB6_12577 Depth=3
	v_mov_b32_e32 v12, 0
	s_mov_b32 s73, exec_lo
	v_cmpx_ne_u32_e32 0, v0
	s_cbranch_execz .LBB6_12598
; %bb.12593:                            ;   in Loop: Header=BB6_12577 Depth=3
	v_bfe_u32 v1, v0, 23, 8
	v_and_b32_e32 v4, 0x7fffff, v0
	v_sub_nc_u32_e32 v5, 0x70, v1
	v_cmp_gt_u32_e32 vcc_lo, 0x71, v1
	v_or_b32_e32 v6, 0x800000, v4
	v_cndmask_b32_e32 v5, 0, v5, vcc_lo
	v_cmp_eq_u32_e32 vcc_lo, 0, v1
	v_add_nc_u32_e32 v1, 0xffffff91, v1
	v_cndmask_b32_e64 v5, v5, 0x6f, vcc_lo
	v_cndmask_b32_e32 v4, v6, v4, vcc_lo
	v_cndmask_b32_e64 v1, v1, 0xffffff92, vcc_lo
	v_lshl_add_u32 v6, 0x200000, v5, -1
	v_lshrrev_b32_e32 v7, v5, v4
	v_lshlrev_b32_e64 v13, v5, 0x100000
	v_add_nc_u32_e32 v5, v5, v1
	v_and_b32_e32 v4, v6, v4
	v_bfe_u32 v12, v7, 21, 1
	v_cmp_eq_u32_e64 s16, v4, v13
	v_add_nc_u32_e32 v6, -1, v12
	v_cndmask_b32_e64 v4, 0, v6, s16
	v_lshrrev_b32_e32 v6, 23, v7
	s_mov_b32 s16, exec_lo
	v_add_nc_u32_e32 v4, v4, v7
	v_xor_b32_e32 v6, 1, v6
	v_and_b32_e32 v1, 0x1fffff, v4
	v_add_nc_u32_e32 v4, v1, v7
                                        ; implicit-def: $vgpr1
	v_cmpx_ne_u32_e64 v5, v6
	s_xor_b32 s16, exec_lo, s16
; %bb.12594:                            ;   in Loop: Header=BB6_12577 Depth=3
	v_cmp_lt_u32_e32 vcc_lo, 0xffffff, v4
	v_sub_nc_u32_e32 v1, v5, v6
	v_cndmask_b32_e64 v5, 0, 1, vcc_lo
	v_add_co_ci_u32_e64 v1, null, 0, v1, vcc_lo
	v_lshrrev_b32_e32 v4, v5, v4
; %bb.12595:                            ;   in Loop: Header=BB6_12577 Depth=3
	s_andn2_saveexec_b32 s16, s16
; %bb.12596:                            ;   in Loop: Header=BB6_12577 Depth=3
	v_bfe_u32 v1, v4, 23, 1
; %bb.12597:                            ;   in Loop: Header=BB6_12577 Depth=3
	s_or_b32 exec_lo, exec_lo, s16
	v_lshrrev_b32_e32 v4, 21, v4
	v_min_i32_e32 v5, 31, v1
	v_cmp_gt_i32_e32 vcc_lo, 32, v1
	v_and_b32_sdwa v0, v0, v117 dst_sel:DWORD dst_unused:UNUSED_PAD src0_sel:BYTE_3 src1_sel:DWORD
	v_lshlrev_b32_e32 v5, 2, v5
	v_cndmask_b32_e32 v4, 3, v4, vcc_lo
	v_and_b32_e32 v5, 0xfc, v5
	v_and_b32_e32 v6, 3, v4
	v_or_b32_e32 v1, v1, v4
	v_or3_b32 v0, v5, v0, v6
	v_cmp_ne_u32_e32 vcc_lo, 0, v1
	v_cndmask_b32_e32 v12, 0, v0, vcc_lo
.LBB6_12598:                            ;   in Loop: Header=BB6_12577 Depth=3
	s_or_b32 exec_lo, exec_lo, s73
.LBB6_12599:                            ;   in Loop: Header=BB6_12577 Depth=3
	s_or_b32 exec_lo, exec_lo, s72
	v_cmp_gt_i16_sdwa s72, v8, v116 src0_sel:BYTE_1 src1_sel:DWORD
	s_mov_b32 s16, 0
	s_and_saveexec_b32 s73, s72
	s_xor_b32 s72, exec_lo, s73
	s_cbranch_execz .LBB6_14761
; %bb.12600:                            ;   in Loop: Header=BB6_12577 Depth=3
	v_cmp_eq_u16_sdwa s74, v8, v117 src0_sel:BYTE_1 src1_sel:DWORD
	s_mov_b32 s16, -1
	s_and_saveexec_b32 s73, s74
; %bb.12601:                            ;   in Loop: Header=BB6_12577 Depth=3
	s_xor_b32 s16, exec_lo, -1
; %bb.12602:                            ;   in Loop: Header=BB6_12577 Depth=3
	s_or_b32 exec_lo, exec_lo, s73
	s_and_b32 s16, s16, exec_lo
	s_or_saveexec_b32 s72, s72
	v_mov_b32_e32 v0, 0x7f800001
	s_xor_b32 exec_lo, exec_lo, s72
	s_cbranch_execnz .LBB6_14762
.LBB6_12603:                            ;   in Loop: Header=BB6_12577 Depth=3
	s_or_b32 exec_lo, exec_lo, s72
	s_and_saveexec_b32 s72, s16
	s_cbranch_execz .LBB6_12605
.LBB6_12604:                            ;   in Loop: Header=BB6_12577 Depth=3
	v_and_b32_sdwa v0, v118, v8 dst_sel:DWORD dst_unused:UNUSED_PAD src0_sel:DWORD src1_sel:BYTE_1
	v_and_b32_e32 v1, 3, v0
	v_bfe_u32 v6, v0, 2, 5
	v_ffbh_u32_e32 v4, v1
	v_cmp_eq_u32_e32 vcc_lo, 0, v6
	v_min_u32_e32 v4, 32, v4
	v_subrev_nc_u32_e32 v5, 29, v4
	v_sub_nc_u32_e32 v4, 30, v4
	v_lshlrev_b32_e32 v0, v5, v0
	v_lshlrev_b32_sdwa v5, v119, v8 dst_sel:DWORD dst_unused:UNUSED_PAD src0_sel:DWORD src1_sel:BYTE_1
	v_cndmask_b32_e32 v4, v6, v4, vcc_lo
	v_and_b32_e32 v0, 3, v0
	v_lshl_add_u32 v4, v4, 23, 0x37800000
	v_cndmask_b32_e32 v0, v1, v0, vcc_lo
	v_and_b32_e32 v1, 0x80000000, v5
	v_lshlrev_b32_e32 v0, 21, v0
	v_or3_b32 v0, v1, v4, v0
.LBB6_12605:                            ;   in Loop: Header=BB6_12577 Depth=3
	s_or_b32 exec_lo, exec_lo, s72
	v_mul_f32_e32 v0, s23, v0
	v_mov_b32_e32 v13, 0x8000
	s_mov_b32 s72, exec_lo
	v_and_b32_e32 v1, 0x7f800000, v0
	v_cmpx_ne_u32_e32 0x7f800000, v1
	s_cbranch_execz .LBB6_12613
; %bb.12606:                            ;   in Loop: Header=BB6_12577 Depth=3
	v_mov_b32_e32 v13, 0
	s_mov_b32 s73, exec_lo
	v_cmpx_ne_u32_e32 0, v0
	s_cbranch_execz .LBB6_12612
; %bb.12607:                            ;   in Loop: Header=BB6_12577 Depth=3
	v_bfe_u32 v1, v0, 23, 8
	v_and_b32_e32 v4, 0x7fffff, v0
	v_sub_nc_u32_e32 v5, 0x70, v1
	v_cmp_gt_u32_e32 vcc_lo, 0x71, v1
	v_or_b32_e32 v6, 0x800000, v4
	v_cndmask_b32_e32 v5, 0, v5, vcc_lo
	v_cmp_eq_u32_e32 vcc_lo, 0, v1
	v_add_nc_u32_e32 v1, 0xffffff91, v1
	v_cndmask_b32_e64 v5, v5, 0x6f, vcc_lo
	v_cndmask_b32_e32 v4, v6, v4, vcc_lo
	v_cndmask_b32_e64 v1, v1, 0xffffff92, vcc_lo
	v_lshl_add_u32 v6, 0x200000, v5, -1
	v_lshrrev_b32_e32 v7, v5, v4
	v_lshlrev_b32_e64 v14, v5, 0x100000
	v_add_nc_u32_e32 v5, v5, v1
	v_and_b32_e32 v4, v6, v4
	v_bfe_u32 v13, v7, 21, 1
	v_cmp_eq_u32_e64 s16, v4, v14
	v_add_nc_u32_e32 v6, -1, v13
	v_cndmask_b32_e64 v4, 0, v6, s16
	v_lshrrev_b32_e32 v6, 23, v7
	s_mov_b32 s16, exec_lo
	v_add_nc_u32_e32 v4, v4, v7
	v_xor_b32_e32 v6, 1, v6
	v_and_b32_e32 v1, 0x1fffff, v4
	v_add_nc_u32_e32 v4, v1, v7
                                        ; implicit-def: $vgpr1
	v_cmpx_ne_u32_e64 v5, v6
	s_xor_b32 s16, exec_lo, s16
; %bb.12608:                            ;   in Loop: Header=BB6_12577 Depth=3
	v_cmp_lt_u32_e32 vcc_lo, 0xffffff, v4
	v_sub_nc_u32_e32 v1, v5, v6
	v_cndmask_b32_e64 v5, 0, 1, vcc_lo
	v_add_co_ci_u32_e64 v1, null, 0, v1, vcc_lo
	v_lshrrev_b32_e32 v4, v5, v4
; %bb.12609:                            ;   in Loop: Header=BB6_12577 Depth=3
	s_andn2_saveexec_b32 s16, s16
; %bb.12610:                            ;   in Loop: Header=BB6_12577 Depth=3
	v_bfe_u32 v1, v4, 23, 1
; %bb.12611:                            ;   in Loop: Header=BB6_12577 Depth=3
	s_or_b32 exec_lo, exec_lo, s16
	v_lshrrev_b32_e32 v4, 21, v4
	v_min_i32_e32 v5, 31, v1
	v_cmp_gt_i32_e32 vcc_lo, 32, v1
	v_and_b32_sdwa v0, v0, v117 dst_sel:DWORD dst_unused:UNUSED_PAD src0_sel:BYTE_3 src1_sel:DWORD
	v_lshlrev_b32_e32 v5, 2, v5
	v_cndmask_b32_e32 v4, 3, v4, vcc_lo
	v_and_b32_e32 v5, 0xfc, v5
	v_and_b32_e32 v6, 3, v4
	v_or_b32_e32 v1, v1, v4
	v_or3_b32 v0, v0, v5, v6
	v_cmp_ne_u32_e32 vcc_lo, 0, v1
	v_lshlrev_b32_e32 v0, 8, v0
	v_cndmask_b32_e32 v13, 0, v0, vcc_lo
.LBB6_12612:                            ;   in Loop: Header=BB6_12577 Depth=3
	s_or_b32 exec_lo, exec_lo, s73
.LBB6_12613:                            ;   in Loop: Header=BB6_12577 Depth=3
	s_or_b32 exec_lo, exec_lo, s72
	v_and_b32_sdwa v1, v8, v40 dst_sel:DWORD dst_unused:UNUSED_PAD src0_sel:WORD_1 src1_sel:DWORD
	s_mov_b32 s16, 0
	s_mov_b32 s72, exec_lo
	v_cmpx_lt_i16_e32 0x7f, v1
	s_xor_b32 s72, exec_lo, s72
	s_cbranch_execz .LBB6_14763
; %bb.12614:                            ;   in Loop: Header=BB6_12577 Depth=3
	s_mov_b32 s16, -1
	s_mov_b32 s73, exec_lo
	v_cmpx_eq_u16_e32 0x80, v1
; %bb.12615:                            ;   in Loop: Header=BB6_12577 Depth=3
	s_xor_b32 s16, exec_lo, -1
; %bb.12616:                            ;   in Loop: Header=BB6_12577 Depth=3
	s_or_b32 exec_lo, exec_lo, s73
	s_and_b32 s16, s16, exec_lo
                                        ; implicit-def: $vgpr1
	s_or_saveexec_b32 s72, s72
	v_mov_b32_e32 v0, 0x7f800001
	s_xor_b32 exec_lo, exec_lo, s72
	s_cbranch_execnz .LBB6_14764
.LBB6_12617:                            ;   in Loop: Header=BB6_12577 Depth=3
	s_or_b32 exec_lo, exec_lo, s72
	s_and_saveexec_b32 s72, s16
	s_cbranch_execz .LBB6_12619
.LBB6_12618:                            ;   in Loop: Header=BB6_12577 Depth=3
	v_bfe_u32 v0, v8, 16, 2
	v_bfe_u32 v5, v8, 18, 5
	v_lshlrev_b32_e32 v6, 8, v8
	v_ffbh_u32_e32 v1, v0
	v_cmp_eq_u32_e32 vcc_lo, 0, v5
	v_min_u32_e32 v1, 32, v1
	v_subrev_nc_u32_e32 v4, 29, v1
	v_sub_nc_u32_e32 v1, 30, v1
	v_lshlrev_b32_sdwa v4, v4, v8 dst_sel:DWORD dst_unused:UNUSED_PAD src0_sel:DWORD src1_sel:WORD_1
	v_cndmask_b32_e32 v1, v5, v1, vcc_lo
	v_and_b32_e32 v4, 3, v4
	v_lshl_add_u32 v1, v1, 23, 0x37800000
	v_cndmask_b32_e32 v0, v0, v4, vcc_lo
	v_and_b32_e32 v4, 0x80000000, v6
	v_lshlrev_b32_e32 v0, 21, v0
	v_or3_b32 v0, v4, v1, v0
.LBB6_12619:                            ;   in Loop: Header=BB6_12577 Depth=3
	s_or_b32 exec_lo, exec_lo, s72
	v_mul_f32_e32 v0, s23, v0
	v_mov_b32_e32 v53, 0x80
	s_mov_b32 s72, exec_lo
	v_and_b32_e32 v1, 0x7f800000, v0
	v_cmpx_ne_u32_e32 0x7f800000, v1
	s_cbranch_execz .LBB6_12627
; %bb.12620:                            ;   in Loop: Header=BB6_12577 Depth=3
	v_mov_b32_e32 v53, 0
	s_mov_b32 s73, exec_lo
	v_cmpx_ne_u32_e32 0, v0
	s_cbranch_execz .LBB6_12626
; %bb.12621:                            ;   in Loop: Header=BB6_12577 Depth=3
	v_bfe_u32 v1, v0, 23, 8
	v_and_b32_e32 v4, 0x7fffff, v0
	v_sub_nc_u32_e32 v5, 0x70, v1
	v_cmp_gt_u32_e32 vcc_lo, 0x71, v1
	v_or_b32_e32 v6, 0x800000, v4
	v_cndmask_b32_e32 v5, 0, v5, vcc_lo
	v_cmp_eq_u32_e32 vcc_lo, 0, v1
	v_add_nc_u32_e32 v1, 0xffffff91, v1
	v_cndmask_b32_e64 v5, v5, 0x6f, vcc_lo
	v_cndmask_b32_e32 v4, v6, v4, vcc_lo
	v_cndmask_b32_e64 v1, v1, 0xffffff92, vcc_lo
	v_lshl_add_u32 v6, 0x200000, v5, -1
	v_lshrrev_b32_e32 v7, v5, v4
	v_lshlrev_b32_e64 v15, v5, 0x100000
	v_add_nc_u32_e32 v5, v5, v1
	v_and_b32_e32 v4, v6, v4
	v_bfe_u32 v14, v7, 21, 1
	v_cmp_eq_u32_e64 s16, v4, v15
	v_add_nc_u32_e32 v6, -1, v14
	v_cndmask_b32_e64 v4, 0, v6, s16
	v_lshrrev_b32_e32 v6, 23, v7
	s_mov_b32 s16, exec_lo
	v_add_nc_u32_e32 v4, v4, v7
	v_xor_b32_e32 v6, 1, v6
	v_and_b32_e32 v1, 0x1fffff, v4
	v_add_nc_u32_e32 v4, v1, v7
                                        ; implicit-def: $vgpr1
	v_cmpx_ne_u32_e64 v5, v6
	s_xor_b32 s16, exec_lo, s16
; %bb.12622:                            ;   in Loop: Header=BB6_12577 Depth=3
	v_cmp_lt_u32_e32 vcc_lo, 0xffffff, v4
	v_sub_nc_u32_e32 v1, v5, v6
	v_cndmask_b32_e64 v5, 0, 1, vcc_lo
	v_add_co_ci_u32_e64 v1, null, 0, v1, vcc_lo
	v_lshrrev_b32_e32 v4, v5, v4
; %bb.12623:                            ;   in Loop: Header=BB6_12577 Depth=3
	s_andn2_saveexec_b32 s16, s16
; %bb.12624:                            ;   in Loop: Header=BB6_12577 Depth=3
	v_bfe_u32 v1, v4, 23, 1
; %bb.12625:                            ;   in Loop: Header=BB6_12577 Depth=3
	s_or_b32 exec_lo, exec_lo, s16
	v_lshrrev_b32_e32 v4, 21, v4
	v_min_i32_e32 v5, 31, v1
	v_cmp_gt_i32_e32 vcc_lo, 32, v1
	v_and_b32_sdwa v0, v0, v117 dst_sel:DWORD dst_unused:UNUSED_PAD src0_sel:BYTE_3 src1_sel:DWORD
	v_lshlrev_b32_e32 v5, 2, v5
	v_cndmask_b32_e32 v4, 3, v4, vcc_lo
	v_and_b32_e32 v5, 0xfc, v5
	v_and_b32_e32 v6, 3, v4
	v_or_b32_e32 v1, v1, v4
	v_or3_b32 v0, v5, v0, v6
	v_cmp_ne_u32_e32 vcc_lo, 0, v1
	v_cndmask_b32_e32 v53, 0, v0, vcc_lo
.LBB6_12626:                            ;   in Loop: Header=BB6_12577 Depth=3
	s_or_b32 exec_lo, exec_lo, s73
.LBB6_12627:                            ;   in Loop: Header=BB6_12577 Depth=3
	s_or_b32 exec_lo, exec_lo, s72
	v_cmp_gt_i16_sdwa s72, v8, v116 src0_sel:BYTE_3 src1_sel:DWORD
	s_mov_b32 s16, 0
	s_and_saveexec_b32 s73, s72
	s_xor_b32 s72, exec_lo, s73
	s_cbranch_execz .LBB6_14765
; %bb.12628:                            ;   in Loop: Header=BB6_12577 Depth=3
	v_cmp_eq_u16_sdwa s74, v8, v117 src0_sel:BYTE_3 src1_sel:DWORD
	s_mov_b32 s16, -1
	s_and_saveexec_b32 s73, s74
; %bb.12629:                            ;   in Loop: Header=BB6_12577 Depth=3
	s_xor_b32 s16, exec_lo, -1
; %bb.12630:                            ;   in Loop: Header=BB6_12577 Depth=3
	s_or_b32 exec_lo, exec_lo, s73
	s_and_b32 s16, s16, exec_lo
	s_or_saveexec_b32 s72, s72
	v_mov_b32_e32 v0, 0x7f800001
	s_xor_b32 exec_lo, exec_lo, s72
	s_cbranch_execnz .LBB6_14766
.LBB6_12631:                            ;   in Loop: Header=BB6_12577 Depth=3
	s_or_b32 exec_lo, exec_lo, s72
	s_and_saveexec_b32 s72, s16
	s_cbranch_execz .LBB6_12633
.LBB6_12632:                            ;   in Loop: Header=BB6_12577 Depth=3
	v_bfe_u32 v0, v8, 24, 2
	v_bfe_u32 v5, v8, 26, 5
	v_ffbh_u32_e32 v1, v0
	v_cmp_eq_u32_e32 vcc_lo, 0, v5
	v_min_u32_e32 v1, 32, v1
	v_subrev_nc_u32_e32 v4, 29, v1
	v_sub_nc_u32_e32 v1, 30, v1
	v_lshlrev_b32_sdwa v4, v4, v8 dst_sel:DWORD dst_unused:UNUSED_PAD src0_sel:DWORD src1_sel:BYTE_3
	v_cndmask_b32_e32 v1, v5, v1, vcc_lo
	v_and_b32_e32 v4, 3, v4
	v_lshl_add_u32 v1, v1, 23, 0x37800000
	v_cndmask_b32_e32 v0, v0, v4, vcc_lo
	v_and_b32_e32 v4, 0x80000000, v8
	v_lshlrev_b32_e32 v0, 21, v0
	v_or3_b32 v0, v4, v1, v0
.LBB6_12633:                            ;   in Loop: Header=BB6_12577 Depth=3
	s_or_b32 exec_lo, exec_lo, s72
	v_mul_f32_e32 v0, s23, v0
	v_mov_b32_e32 v94, 0x8000
	s_mov_b32 s72, exec_lo
	v_and_b32_e32 v1, 0x7f800000, v0
	v_cmpx_ne_u32_e32 0x7f800000, v1
	s_cbranch_execz .LBB6_12641
; %bb.12634:                            ;   in Loop: Header=BB6_12577 Depth=3
	v_mov_b32_e32 v94, 0
	s_mov_b32 s73, exec_lo
	v_cmpx_ne_u32_e32 0, v0
	s_cbranch_execz .LBB6_12640
; %bb.12635:                            ;   in Loop: Header=BB6_12577 Depth=3
	v_bfe_u32 v1, v0, 23, 8
	v_and_b32_e32 v4, 0x7fffff, v0
	v_sub_nc_u32_e32 v5, 0x70, v1
	v_cmp_gt_u32_e32 vcc_lo, 0x71, v1
	v_or_b32_e32 v6, 0x800000, v4
	v_cndmask_b32_e32 v5, 0, v5, vcc_lo
	v_cmp_eq_u32_e32 vcc_lo, 0, v1
	v_add_nc_u32_e32 v1, 0xffffff91, v1
	v_cndmask_b32_e64 v5, v5, 0x6f, vcc_lo
	v_cndmask_b32_e32 v4, v6, v4, vcc_lo
	v_cndmask_b32_e64 v1, v1, 0xffffff92, vcc_lo
	v_lshl_add_u32 v6, 0x200000, v5, -1
	v_lshrrev_b32_e32 v7, v5, v4
	v_lshlrev_b32_e64 v14, v5, 0x100000
	v_add_nc_u32_e32 v5, v5, v1
	v_and_b32_e32 v4, v6, v4
	v_bfe_u32 v8, v7, 21, 1
	v_cmp_eq_u32_e64 s16, v4, v14
	v_add_nc_u32_e32 v6, -1, v8
	v_cndmask_b32_e64 v4, 0, v6, s16
	v_lshrrev_b32_e32 v6, 23, v7
	s_mov_b32 s16, exec_lo
	v_add_nc_u32_e32 v4, v4, v7
	v_xor_b32_e32 v6, 1, v6
	v_and_b32_e32 v1, 0x1fffff, v4
	v_add_nc_u32_e32 v4, v1, v7
                                        ; implicit-def: $vgpr1
	v_cmpx_ne_u32_e64 v5, v6
	s_xor_b32 s16, exec_lo, s16
; %bb.12636:                            ;   in Loop: Header=BB6_12577 Depth=3
	v_cmp_lt_u32_e32 vcc_lo, 0xffffff, v4
	v_sub_nc_u32_e32 v1, v5, v6
	v_cndmask_b32_e64 v5, 0, 1, vcc_lo
	v_add_co_ci_u32_e64 v1, null, 0, v1, vcc_lo
	v_lshrrev_b32_e32 v4, v5, v4
; %bb.12637:                            ;   in Loop: Header=BB6_12577 Depth=3
	s_andn2_saveexec_b32 s16, s16
; %bb.12638:                            ;   in Loop: Header=BB6_12577 Depth=3
	v_bfe_u32 v1, v4, 23, 1
; %bb.12639:                            ;   in Loop: Header=BB6_12577 Depth=3
	s_or_b32 exec_lo, exec_lo, s16
	v_lshrrev_b32_e32 v4, 21, v4
	v_min_i32_e32 v5, 31, v1
	v_cmp_gt_i32_e32 vcc_lo, 32, v1
	v_and_b32_sdwa v0, v0, v117 dst_sel:DWORD dst_unused:UNUSED_PAD src0_sel:BYTE_3 src1_sel:DWORD
	v_lshlrev_b32_e32 v5, 2, v5
	v_cndmask_b32_e32 v4, 3, v4, vcc_lo
	v_and_b32_e32 v5, 0xfc, v5
	v_and_b32_e32 v6, 3, v4
	v_or_b32_e32 v1, v1, v4
	v_or3_b32 v0, v0, v5, v6
	v_cmp_ne_u32_e32 vcc_lo, 0, v1
	v_lshlrev_b32_e32 v0, 8, v0
	v_cndmask_b32_e32 v94, 0, v0, vcc_lo
.LBB6_12640:                            ;   in Loop: Header=BB6_12577 Depth=3
	s_or_b32 exec_lo, exec_lo, s73
.LBB6_12641:                            ;   in Loop: Header=BB6_12577 Depth=3
	s_or_b32 exec_lo, exec_lo, s72
	v_cmp_gt_i16_sdwa s72, v9, v116 src0_sel:BYTE_0 src1_sel:DWORD
	s_mov_b32 s16, 0
	s_and_saveexec_b32 s73, s72
	s_xor_b32 s72, exec_lo, s73
	s_cbranch_execz .LBB6_14767
; %bb.12642:                            ;   in Loop: Header=BB6_12577 Depth=3
	v_cmp_eq_u16_sdwa s74, v9, v117 src0_sel:BYTE_0 src1_sel:DWORD
	s_mov_b32 s16, -1
	s_and_saveexec_b32 s73, s74
; %bb.12643:                            ;   in Loop: Header=BB6_12577 Depth=3
	s_xor_b32 s16, exec_lo, -1
; %bb.12644:                            ;   in Loop: Header=BB6_12577 Depth=3
	s_or_b32 exec_lo, exec_lo, s73
	s_and_b32 s16, s16, exec_lo
	s_or_saveexec_b32 s72, s72
	v_mov_b32_e32 v0, 0x7f800001
	s_xor_b32 exec_lo, exec_lo, s72
	s_cbranch_execnz .LBB6_14768
.LBB6_12645:                            ;   in Loop: Header=BB6_12577 Depth=3
	s_or_b32 exec_lo, exec_lo, s72
	s_and_saveexec_b32 s72, s16
	s_cbranch_execz .LBB6_12647
.LBB6_12646:                            ;   in Loop: Header=BB6_12577 Depth=3
	v_and_b32_e32 v0, 3, v9
	v_bfe_u32 v5, v9, 2, 5
	v_lshlrev_b32_e32 v6, 24, v9
	v_ffbh_u32_e32 v1, v0
	v_cmp_eq_u32_e32 vcc_lo, 0, v5
	v_min_u32_e32 v1, 32, v1
	v_subrev_nc_u32_e32 v4, 29, v1
	v_sub_nc_u32_e32 v1, 30, v1
	v_lshlrev_b32_e32 v4, v4, v9
	v_cndmask_b32_e32 v1, v5, v1, vcc_lo
	v_and_b32_e32 v4, 3, v4
	v_lshl_add_u32 v1, v1, 23, 0x37800000
	v_cndmask_b32_e32 v0, v0, v4, vcc_lo
	v_and_b32_e32 v4, 0x80000000, v6
	v_lshlrev_b32_e32 v0, 21, v0
	v_or3_b32 v0, v4, v1, v0
.LBB6_12647:                            ;   in Loop: Header=BB6_12577 Depth=3
	s_or_b32 exec_lo, exec_lo, s72
	v_mul_f32_e32 v0, s23, v0
	v_mov_b32_e32 v115, 0x80
	s_mov_b32 s72, exec_lo
	v_and_b32_e32 v1, 0x7f800000, v0
	v_cmpx_ne_u32_e32 0x7f800000, v1
	s_cbranch_execz .LBB6_12655
; %bb.12648:                            ;   in Loop: Header=BB6_12577 Depth=3
	v_mov_b32_e32 v115, 0
	s_mov_b32 s73, exec_lo
	v_cmpx_ne_u32_e32 0, v0
	s_cbranch_execz .LBB6_12654
; %bb.12649:                            ;   in Loop: Header=BB6_12577 Depth=3
	v_bfe_u32 v1, v0, 23, 8
	v_and_b32_e32 v4, 0x7fffff, v0
	v_sub_nc_u32_e32 v5, 0x70, v1
	v_cmp_gt_u32_e32 vcc_lo, 0x71, v1
	v_or_b32_e32 v6, 0x800000, v4
	v_cndmask_b32_e32 v5, 0, v5, vcc_lo
	v_cmp_eq_u32_e32 vcc_lo, 0, v1
	v_add_nc_u32_e32 v1, 0xffffff91, v1
	v_cndmask_b32_e64 v5, v5, 0x6f, vcc_lo
	v_cndmask_b32_e32 v4, v6, v4, vcc_lo
	v_cndmask_b32_e64 v1, v1, 0xffffff92, vcc_lo
	v_lshl_add_u32 v6, 0x200000, v5, -1
	v_lshrrev_b32_e32 v7, v5, v4
	v_lshlrev_b32_e64 v14, v5, 0x100000
	v_add_nc_u32_e32 v5, v5, v1
	v_and_b32_e32 v4, v6, v4
	v_bfe_u32 v8, v7, 21, 1
	v_cmp_eq_u32_e64 s16, v4, v14
	v_add_nc_u32_e32 v6, -1, v8
	v_cndmask_b32_e64 v4, 0, v6, s16
	v_lshrrev_b32_e32 v6, 23, v7
	s_mov_b32 s16, exec_lo
	v_add_nc_u32_e32 v4, v4, v7
	v_xor_b32_e32 v6, 1, v6
	v_and_b32_e32 v1, 0x1fffff, v4
	v_add_nc_u32_e32 v4, v1, v7
                                        ; implicit-def: $vgpr1
	v_cmpx_ne_u32_e64 v5, v6
	s_xor_b32 s16, exec_lo, s16
; %bb.12650:                            ;   in Loop: Header=BB6_12577 Depth=3
	v_cmp_lt_u32_e32 vcc_lo, 0xffffff, v4
	v_sub_nc_u32_e32 v1, v5, v6
	v_cndmask_b32_e64 v5, 0, 1, vcc_lo
	v_add_co_ci_u32_e64 v1, null, 0, v1, vcc_lo
	v_lshrrev_b32_e32 v4, v5, v4
; %bb.12651:                            ;   in Loop: Header=BB6_12577 Depth=3
	s_andn2_saveexec_b32 s16, s16
; %bb.12652:                            ;   in Loop: Header=BB6_12577 Depth=3
	v_bfe_u32 v1, v4, 23, 1
; %bb.12653:                            ;   in Loop: Header=BB6_12577 Depth=3
	s_or_b32 exec_lo, exec_lo, s16
	v_lshrrev_b32_e32 v4, 21, v4
	v_min_i32_e32 v5, 31, v1
	v_cmp_gt_i32_e32 vcc_lo, 32, v1
	v_and_b32_sdwa v0, v0, v117 dst_sel:DWORD dst_unused:UNUSED_PAD src0_sel:BYTE_3 src1_sel:DWORD
	v_lshlrev_b32_e32 v5, 2, v5
	v_cndmask_b32_e32 v4, 3, v4, vcc_lo
	v_and_b32_e32 v5, 0xfc, v5
	v_and_b32_e32 v6, 3, v4
	v_or_b32_e32 v1, v1, v4
	v_or3_b32 v0, v5, v0, v6
	v_cmp_ne_u32_e32 vcc_lo, 0, v1
	v_cndmask_b32_e32 v115, 0, v0, vcc_lo
.LBB6_12654:                            ;   in Loop: Header=BB6_12577 Depth=3
	s_or_b32 exec_lo, exec_lo, s73
.LBB6_12655:                            ;   in Loop: Header=BB6_12577 Depth=3
	s_or_b32 exec_lo, exec_lo, s72
	v_cmp_gt_i16_sdwa s72, v9, v116 src0_sel:BYTE_1 src1_sel:DWORD
	s_mov_b32 s16, 0
	s_and_saveexec_b32 s73, s72
	s_xor_b32 s72, exec_lo, s73
	s_cbranch_execz .LBB6_14769
; %bb.12656:                            ;   in Loop: Header=BB6_12577 Depth=3
	v_cmp_eq_u16_sdwa s74, v9, v117 src0_sel:BYTE_1 src1_sel:DWORD
	s_mov_b32 s16, -1
	s_and_saveexec_b32 s73, s74
; %bb.12657:                            ;   in Loop: Header=BB6_12577 Depth=3
	s_xor_b32 s16, exec_lo, -1
; %bb.12658:                            ;   in Loop: Header=BB6_12577 Depth=3
	s_or_b32 exec_lo, exec_lo, s73
	s_and_b32 s16, s16, exec_lo
	s_or_saveexec_b32 s72, s72
	v_mov_b32_e32 v0, 0x7f800001
	s_xor_b32 exec_lo, exec_lo, s72
	s_cbranch_execnz .LBB6_14770
.LBB6_12659:                            ;   in Loop: Header=BB6_12577 Depth=3
	s_or_b32 exec_lo, exec_lo, s72
	s_and_saveexec_b32 s72, s16
	s_cbranch_execz .LBB6_12661
.LBB6_12660:                            ;   in Loop: Header=BB6_12577 Depth=3
	v_and_b32_sdwa v0, v118, v9 dst_sel:DWORD dst_unused:UNUSED_PAD src0_sel:DWORD src1_sel:BYTE_1
	v_and_b32_e32 v1, 3, v0
	v_bfe_u32 v6, v0, 2, 5
	v_ffbh_u32_e32 v4, v1
	v_cmp_eq_u32_e32 vcc_lo, 0, v6
	v_min_u32_e32 v4, 32, v4
	v_subrev_nc_u32_e32 v5, 29, v4
	v_sub_nc_u32_e32 v4, 30, v4
	v_lshlrev_b32_e32 v0, v5, v0
	v_lshlrev_b32_sdwa v5, v119, v9 dst_sel:DWORD dst_unused:UNUSED_PAD src0_sel:DWORD src1_sel:BYTE_1
	v_cndmask_b32_e32 v4, v6, v4, vcc_lo
	v_and_b32_e32 v0, 3, v0
	v_lshl_add_u32 v4, v4, 23, 0x37800000
	v_cndmask_b32_e32 v0, v1, v0, vcc_lo
	v_and_b32_e32 v1, 0x80000000, v5
	v_lshlrev_b32_e32 v0, 21, v0
	v_or3_b32 v0, v1, v4, v0
.LBB6_12661:                            ;   in Loop: Header=BB6_12577 Depth=3
	s_or_b32 exec_lo, exec_lo, s72
	v_mul_f32_e32 v0, s23, v0
	v_mov_b32_e32 v91, 0x8000
	s_mov_b32 s72, exec_lo
	v_and_b32_e32 v1, 0x7f800000, v0
	v_cmpx_ne_u32_e32 0x7f800000, v1
	s_cbranch_execz .LBB6_12669
; %bb.12662:                            ;   in Loop: Header=BB6_12577 Depth=3
	v_mov_b32_e32 v91, 0
	s_mov_b32 s73, exec_lo
	v_cmpx_ne_u32_e32 0, v0
	s_cbranch_execz .LBB6_12668
; %bb.12663:                            ;   in Loop: Header=BB6_12577 Depth=3
	v_bfe_u32 v1, v0, 23, 8
	v_and_b32_e32 v4, 0x7fffff, v0
	v_sub_nc_u32_e32 v5, 0x70, v1
	v_cmp_gt_u32_e32 vcc_lo, 0x71, v1
	v_or_b32_e32 v6, 0x800000, v4
	v_cndmask_b32_e32 v5, 0, v5, vcc_lo
	v_cmp_eq_u32_e32 vcc_lo, 0, v1
	v_add_nc_u32_e32 v1, 0xffffff91, v1
	v_cndmask_b32_e64 v5, v5, 0x6f, vcc_lo
	v_cndmask_b32_e32 v4, v6, v4, vcc_lo
	v_cndmask_b32_e64 v1, v1, 0xffffff92, vcc_lo
	v_lshl_add_u32 v6, 0x200000, v5, -1
	v_lshrrev_b32_e32 v7, v5, v4
	v_lshlrev_b32_e64 v14, v5, 0x100000
	v_add_nc_u32_e32 v5, v5, v1
	v_and_b32_e32 v4, v6, v4
	v_bfe_u32 v8, v7, 21, 1
	v_cmp_eq_u32_e64 s16, v4, v14
	v_add_nc_u32_e32 v6, -1, v8
	v_cndmask_b32_e64 v4, 0, v6, s16
	v_lshrrev_b32_e32 v6, 23, v7
	s_mov_b32 s16, exec_lo
	v_add_nc_u32_e32 v4, v4, v7
	v_xor_b32_e32 v6, 1, v6
	v_and_b32_e32 v1, 0x1fffff, v4
	v_add_nc_u32_e32 v4, v1, v7
                                        ; implicit-def: $vgpr1
	v_cmpx_ne_u32_e64 v5, v6
	s_xor_b32 s16, exec_lo, s16
; %bb.12664:                            ;   in Loop: Header=BB6_12577 Depth=3
	v_cmp_lt_u32_e32 vcc_lo, 0xffffff, v4
	v_sub_nc_u32_e32 v1, v5, v6
	v_cndmask_b32_e64 v5, 0, 1, vcc_lo
	v_add_co_ci_u32_e64 v1, null, 0, v1, vcc_lo
	v_lshrrev_b32_e32 v4, v5, v4
; %bb.12665:                            ;   in Loop: Header=BB6_12577 Depth=3
	s_andn2_saveexec_b32 s16, s16
; %bb.12666:                            ;   in Loop: Header=BB6_12577 Depth=3
	v_bfe_u32 v1, v4, 23, 1
; %bb.12667:                            ;   in Loop: Header=BB6_12577 Depth=3
	s_or_b32 exec_lo, exec_lo, s16
	v_lshrrev_b32_e32 v4, 21, v4
	v_min_i32_e32 v5, 31, v1
	v_cmp_gt_i32_e32 vcc_lo, 32, v1
	v_and_b32_sdwa v0, v0, v117 dst_sel:DWORD dst_unused:UNUSED_PAD src0_sel:BYTE_3 src1_sel:DWORD
	v_lshlrev_b32_e32 v5, 2, v5
	v_cndmask_b32_e32 v4, 3, v4, vcc_lo
	v_and_b32_e32 v5, 0xfc, v5
	v_and_b32_e32 v6, 3, v4
	v_or_b32_e32 v1, v1, v4
	v_or3_b32 v0, v0, v5, v6
	v_cmp_ne_u32_e32 vcc_lo, 0, v1
	v_lshlrev_b32_e32 v0, 8, v0
	v_cndmask_b32_e32 v91, 0, v0, vcc_lo
.LBB6_12668:                            ;   in Loop: Header=BB6_12577 Depth=3
	s_or_b32 exec_lo, exec_lo, s73
.LBB6_12669:                            ;   in Loop: Header=BB6_12577 Depth=3
	s_or_b32 exec_lo, exec_lo, s72
	v_and_b32_sdwa v1, v9, v40 dst_sel:DWORD dst_unused:UNUSED_PAD src0_sel:WORD_1 src1_sel:DWORD
	s_mov_b32 s16, 0
	s_mov_b32 s72, exec_lo
	v_cmpx_lt_i16_e32 0x7f, v1
	s_xor_b32 s72, exec_lo, s72
	s_cbranch_execz .LBB6_14771
; %bb.12670:                            ;   in Loop: Header=BB6_12577 Depth=3
	s_mov_b32 s16, -1
	s_mov_b32 s73, exec_lo
	v_cmpx_eq_u16_e32 0x80, v1
; %bb.12671:                            ;   in Loop: Header=BB6_12577 Depth=3
	s_xor_b32 s16, exec_lo, -1
; %bb.12672:                            ;   in Loop: Header=BB6_12577 Depth=3
	s_or_b32 exec_lo, exec_lo, s73
	s_and_b32 s16, s16, exec_lo
                                        ; implicit-def: $vgpr1
	s_or_saveexec_b32 s72, s72
	v_mov_b32_e32 v0, 0x7f800001
	s_xor_b32 exec_lo, exec_lo, s72
	s_cbranch_execnz .LBB6_14772
.LBB6_12673:                            ;   in Loop: Header=BB6_12577 Depth=3
	s_or_b32 exec_lo, exec_lo, s72
	s_and_saveexec_b32 s72, s16
	s_cbranch_execz .LBB6_12675
.LBB6_12674:                            ;   in Loop: Header=BB6_12577 Depth=3
	v_bfe_u32 v0, v9, 16, 2
	v_bfe_u32 v5, v9, 18, 5
	v_lshlrev_b32_e32 v6, 8, v9
	v_ffbh_u32_e32 v1, v0
	v_cmp_eq_u32_e32 vcc_lo, 0, v5
	v_min_u32_e32 v1, 32, v1
	v_subrev_nc_u32_e32 v4, 29, v1
	v_sub_nc_u32_e32 v1, 30, v1
	v_lshlrev_b32_sdwa v4, v4, v9 dst_sel:DWORD dst_unused:UNUSED_PAD src0_sel:DWORD src1_sel:WORD_1
	v_cndmask_b32_e32 v1, v5, v1, vcc_lo
	v_and_b32_e32 v4, 3, v4
	v_lshl_add_u32 v1, v1, 23, 0x37800000
	v_cndmask_b32_e32 v0, v0, v4, vcc_lo
	v_and_b32_e32 v4, 0x80000000, v6
	v_lshlrev_b32_e32 v0, 21, v0
	v_or3_b32 v0, v4, v1, v0
.LBB6_12675:                            ;   in Loop: Header=BB6_12577 Depth=3
	s_or_b32 exec_lo, exec_lo, s72
	v_mul_f32_e32 v0, s23, v0
	v_mov_b32_e32 v78, 0x80
	s_mov_b32 s72, exec_lo
	v_and_b32_e32 v1, 0x7f800000, v0
	v_cmpx_ne_u32_e32 0x7f800000, v1
	s_cbranch_execz .LBB6_12683
; %bb.12676:                            ;   in Loop: Header=BB6_12577 Depth=3
	v_mov_b32_e32 v78, 0
	s_mov_b32 s73, exec_lo
	v_cmpx_ne_u32_e32 0, v0
	s_cbranch_execz .LBB6_12682
; %bb.12677:                            ;   in Loop: Header=BB6_12577 Depth=3
	v_bfe_u32 v1, v0, 23, 8
	v_and_b32_e32 v4, 0x7fffff, v0
	v_sub_nc_u32_e32 v5, 0x70, v1
	v_cmp_gt_u32_e32 vcc_lo, 0x71, v1
	v_or_b32_e32 v6, 0x800000, v4
	v_cndmask_b32_e32 v5, 0, v5, vcc_lo
	v_cmp_eq_u32_e32 vcc_lo, 0, v1
	v_add_nc_u32_e32 v1, 0xffffff91, v1
	v_cndmask_b32_e64 v5, v5, 0x6f, vcc_lo
	v_cndmask_b32_e32 v4, v6, v4, vcc_lo
	v_cndmask_b32_e64 v1, v1, 0xffffff92, vcc_lo
	v_lshl_add_u32 v6, 0x200000, v5, -1
	v_lshrrev_b32_e32 v7, v5, v4
	v_lshlrev_b32_e64 v14, v5, 0x100000
	v_add_nc_u32_e32 v5, v5, v1
	v_and_b32_e32 v4, v6, v4
	v_bfe_u32 v8, v7, 21, 1
	v_cmp_eq_u32_e64 s16, v4, v14
	v_add_nc_u32_e32 v6, -1, v8
	v_cndmask_b32_e64 v4, 0, v6, s16
	v_lshrrev_b32_e32 v6, 23, v7
	s_mov_b32 s16, exec_lo
	v_add_nc_u32_e32 v4, v4, v7
	v_xor_b32_e32 v6, 1, v6
	v_and_b32_e32 v1, 0x1fffff, v4
	v_add_nc_u32_e32 v4, v1, v7
                                        ; implicit-def: $vgpr1
	v_cmpx_ne_u32_e64 v5, v6
	s_xor_b32 s16, exec_lo, s16
; %bb.12678:                            ;   in Loop: Header=BB6_12577 Depth=3
	v_cmp_lt_u32_e32 vcc_lo, 0xffffff, v4
	v_sub_nc_u32_e32 v1, v5, v6
	v_cndmask_b32_e64 v5, 0, 1, vcc_lo
	v_add_co_ci_u32_e64 v1, null, 0, v1, vcc_lo
	v_lshrrev_b32_e32 v4, v5, v4
; %bb.12679:                            ;   in Loop: Header=BB6_12577 Depth=3
	s_andn2_saveexec_b32 s16, s16
; %bb.12680:                            ;   in Loop: Header=BB6_12577 Depth=3
	v_bfe_u32 v1, v4, 23, 1
; %bb.12681:                            ;   in Loop: Header=BB6_12577 Depth=3
	s_or_b32 exec_lo, exec_lo, s16
	v_lshrrev_b32_e32 v4, 21, v4
	v_min_i32_e32 v5, 31, v1
	v_cmp_gt_i32_e32 vcc_lo, 32, v1
	v_and_b32_sdwa v0, v0, v117 dst_sel:DWORD dst_unused:UNUSED_PAD src0_sel:BYTE_3 src1_sel:DWORD
	v_lshlrev_b32_e32 v5, 2, v5
	v_cndmask_b32_e32 v4, 3, v4, vcc_lo
	v_and_b32_e32 v5, 0xfc, v5
	v_and_b32_e32 v6, 3, v4
	v_or_b32_e32 v1, v1, v4
	v_or3_b32 v0, v5, v0, v6
	v_cmp_ne_u32_e32 vcc_lo, 0, v1
	v_cndmask_b32_e32 v78, 0, v0, vcc_lo
.LBB6_12682:                            ;   in Loop: Header=BB6_12577 Depth=3
	s_or_b32 exec_lo, exec_lo, s73
.LBB6_12683:                            ;   in Loop: Header=BB6_12577 Depth=3
	s_or_b32 exec_lo, exec_lo, s72
	v_cmp_gt_i16_sdwa s72, v9, v116 src0_sel:BYTE_3 src1_sel:DWORD
	s_mov_b32 s16, 0
	s_and_saveexec_b32 s73, s72
	s_xor_b32 s72, exec_lo, s73
	s_cbranch_execz .LBB6_14773
; %bb.12684:                            ;   in Loop: Header=BB6_12577 Depth=3
	v_cmp_eq_u16_sdwa s74, v9, v117 src0_sel:BYTE_3 src1_sel:DWORD
	s_mov_b32 s16, -1
	s_and_saveexec_b32 s73, s74
; %bb.12685:                            ;   in Loop: Header=BB6_12577 Depth=3
	s_xor_b32 s16, exec_lo, -1
; %bb.12686:                            ;   in Loop: Header=BB6_12577 Depth=3
	s_or_b32 exec_lo, exec_lo, s73
	s_and_b32 s16, s16, exec_lo
	s_or_saveexec_b32 s72, s72
	v_mov_b32_e32 v0, 0x7f800001
	s_xor_b32 exec_lo, exec_lo, s72
	s_cbranch_execnz .LBB6_14774
.LBB6_12687:                            ;   in Loop: Header=BB6_12577 Depth=3
	s_or_b32 exec_lo, exec_lo, s72
	s_and_saveexec_b32 s72, s16
	s_cbranch_execz .LBB6_12689
.LBB6_12688:                            ;   in Loop: Header=BB6_12577 Depth=3
	v_bfe_u32 v0, v9, 24, 2
	v_bfe_u32 v5, v9, 26, 5
	v_ffbh_u32_e32 v1, v0
	v_cmp_eq_u32_e32 vcc_lo, 0, v5
	v_min_u32_e32 v1, 32, v1
	v_subrev_nc_u32_e32 v4, 29, v1
	v_sub_nc_u32_e32 v1, 30, v1
	v_lshlrev_b32_sdwa v4, v4, v9 dst_sel:DWORD dst_unused:UNUSED_PAD src0_sel:DWORD src1_sel:BYTE_3
	v_cndmask_b32_e32 v1, v5, v1, vcc_lo
	v_and_b32_e32 v4, 3, v4
	v_lshl_add_u32 v1, v1, 23, 0x37800000
	v_cndmask_b32_e32 v0, v0, v4, vcc_lo
	v_and_b32_e32 v4, 0x80000000, v9
	v_lshlrev_b32_e32 v0, 21, v0
	v_or3_b32 v0, v4, v1, v0
.LBB6_12689:                            ;   in Loop: Header=BB6_12577 Depth=3
	s_or_b32 exec_lo, exec_lo, s72
	v_mul_f32_e32 v0, s23, v0
	v_mov_b32_e32 v107, 0x8000
	s_mov_b32 s72, exec_lo
	v_and_b32_e32 v1, 0x7f800000, v0
	v_cmpx_ne_u32_e32 0x7f800000, v1
	s_cbranch_execz .LBB6_12697
; %bb.12690:                            ;   in Loop: Header=BB6_12577 Depth=3
	v_mov_b32_e32 v107, 0
	s_mov_b32 s73, exec_lo
	v_cmpx_ne_u32_e32 0, v0
	s_cbranch_execz .LBB6_12696
; %bb.12691:                            ;   in Loop: Header=BB6_12577 Depth=3
	v_bfe_u32 v1, v0, 23, 8
	v_and_b32_e32 v4, 0x7fffff, v0
	v_sub_nc_u32_e32 v5, 0x70, v1
	v_cmp_gt_u32_e32 vcc_lo, 0x71, v1
	v_or_b32_e32 v6, 0x800000, v4
	v_cndmask_b32_e32 v5, 0, v5, vcc_lo
	v_cmp_eq_u32_e32 vcc_lo, 0, v1
	v_add_nc_u32_e32 v1, 0xffffff91, v1
	v_cndmask_b32_e64 v5, v5, 0x6f, vcc_lo
	v_cndmask_b32_e32 v4, v6, v4, vcc_lo
	v_cndmask_b32_e64 v1, v1, 0xffffff92, vcc_lo
	v_lshl_add_u32 v6, 0x200000, v5, -1
	v_lshrrev_b32_e32 v7, v5, v4
	v_lshlrev_b32_e64 v9, v5, 0x100000
	v_add_nc_u32_e32 v5, v5, v1
	v_and_b32_e32 v4, v6, v4
	v_bfe_u32 v8, v7, 21, 1
	v_cmp_eq_u32_e64 s16, v4, v9
	v_add_nc_u32_e32 v6, -1, v8
	v_cndmask_b32_e64 v4, 0, v6, s16
	v_lshrrev_b32_e32 v6, 23, v7
	s_mov_b32 s16, exec_lo
	v_add_nc_u32_e32 v4, v4, v7
	v_xor_b32_e32 v6, 1, v6
	v_and_b32_e32 v1, 0x1fffff, v4
	v_add_nc_u32_e32 v4, v1, v7
                                        ; implicit-def: $vgpr1
	v_cmpx_ne_u32_e64 v5, v6
	s_xor_b32 s16, exec_lo, s16
; %bb.12692:                            ;   in Loop: Header=BB6_12577 Depth=3
	v_cmp_lt_u32_e32 vcc_lo, 0xffffff, v4
	v_sub_nc_u32_e32 v1, v5, v6
	v_cndmask_b32_e64 v5, 0, 1, vcc_lo
	v_add_co_ci_u32_e64 v1, null, 0, v1, vcc_lo
	v_lshrrev_b32_e32 v4, v5, v4
; %bb.12693:                            ;   in Loop: Header=BB6_12577 Depth=3
	s_andn2_saveexec_b32 s16, s16
; %bb.12694:                            ;   in Loop: Header=BB6_12577 Depth=3
	v_bfe_u32 v1, v4, 23, 1
; %bb.12695:                            ;   in Loop: Header=BB6_12577 Depth=3
	s_or_b32 exec_lo, exec_lo, s16
	v_lshrrev_b32_e32 v4, 21, v4
	v_min_i32_e32 v5, 31, v1
	v_cmp_gt_i32_e32 vcc_lo, 32, v1
	v_and_b32_sdwa v0, v0, v117 dst_sel:DWORD dst_unused:UNUSED_PAD src0_sel:BYTE_3 src1_sel:DWORD
	v_lshlrev_b32_e32 v5, 2, v5
	v_cndmask_b32_e32 v4, 3, v4, vcc_lo
	v_and_b32_e32 v5, 0xfc, v5
	v_and_b32_e32 v6, 3, v4
	v_or_b32_e32 v1, v1, v4
	v_or3_b32 v0, v0, v5, v6
	v_cmp_ne_u32_e32 vcc_lo, 0, v1
	v_lshlrev_b32_e32 v0, 8, v0
	v_cndmask_b32_e32 v107, 0, v0, vcc_lo
.LBB6_12696:                            ;   in Loop: Header=BB6_12577 Depth=3
	s_or_b32 exec_lo, exec_lo, s73
.LBB6_12697:                            ;   in Loop: Header=BB6_12577 Depth=3
	s_or_b32 exec_lo, exec_lo, s72
	v_cmp_gt_i16_sdwa s72, v10, v116 src0_sel:BYTE_0 src1_sel:DWORD
	s_mov_b32 s16, 0
	s_and_saveexec_b32 s73, s72
	s_xor_b32 s72, exec_lo, s73
	s_cbranch_execz .LBB6_14775
; %bb.12698:                            ;   in Loop: Header=BB6_12577 Depth=3
	v_cmp_eq_u16_sdwa s74, v10, v117 src0_sel:BYTE_0 src1_sel:DWORD
	s_mov_b32 s16, -1
	s_and_saveexec_b32 s73, s74
; %bb.12699:                            ;   in Loop: Header=BB6_12577 Depth=3
	s_xor_b32 s16, exec_lo, -1
; %bb.12700:                            ;   in Loop: Header=BB6_12577 Depth=3
	s_or_b32 exec_lo, exec_lo, s73
	s_and_b32 s16, s16, exec_lo
	s_or_saveexec_b32 s72, s72
	v_mov_b32_e32 v0, 0x7f800001
	s_xor_b32 exec_lo, exec_lo, s72
	s_cbranch_execnz .LBB6_14776
.LBB6_12701:                            ;   in Loop: Header=BB6_12577 Depth=3
	s_or_b32 exec_lo, exec_lo, s72
	s_and_saveexec_b32 s72, s16
	s_cbranch_execz .LBB6_12703
.LBB6_12702:                            ;   in Loop: Header=BB6_12577 Depth=3
	v_and_b32_e32 v0, 3, v10
	v_bfe_u32 v5, v10, 2, 5
	v_lshlrev_b32_e32 v6, 24, v10
	v_ffbh_u32_e32 v1, v0
	v_cmp_eq_u32_e32 vcc_lo, 0, v5
	v_min_u32_e32 v1, 32, v1
	v_subrev_nc_u32_e32 v4, 29, v1
	v_sub_nc_u32_e32 v1, 30, v1
	v_lshlrev_b32_e32 v4, v4, v10
	v_cndmask_b32_e32 v1, v5, v1, vcc_lo
	v_and_b32_e32 v4, 3, v4
	v_lshl_add_u32 v1, v1, 23, 0x37800000
	v_cndmask_b32_e32 v0, v0, v4, vcc_lo
	v_and_b32_e32 v4, 0x80000000, v6
	v_lshlrev_b32_e32 v0, 21, v0
	v_or3_b32 v0, v4, v1, v0
.LBB6_12703:                            ;   in Loop: Header=BB6_12577 Depth=3
	s_or_b32 exec_lo, exec_lo, s72
	v_mul_f32_e32 v0, s23, v0
	v_mov_b32_e32 v63, 0x80
	s_mov_b32 s72, exec_lo
	v_and_b32_e32 v1, 0x7f800000, v0
	v_cmpx_ne_u32_e32 0x7f800000, v1
	s_cbranch_execz .LBB6_12711
; %bb.12704:                            ;   in Loop: Header=BB6_12577 Depth=3
	v_mov_b32_e32 v63, 0
	s_mov_b32 s73, exec_lo
	v_cmpx_ne_u32_e32 0, v0
	s_cbranch_execz .LBB6_12710
; %bb.12705:                            ;   in Loop: Header=BB6_12577 Depth=3
	v_bfe_u32 v1, v0, 23, 8
	v_and_b32_e32 v4, 0x7fffff, v0
	v_sub_nc_u32_e32 v5, 0x70, v1
	v_cmp_gt_u32_e32 vcc_lo, 0x71, v1
	v_or_b32_e32 v6, 0x800000, v4
	v_cndmask_b32_e32 v5, 0, v5, vcc_lo
	v_cmp_eq_u32_e32 vcc_lo, 0, v1
	v_add_nc_u32_e32 v1, 0xffffff91, v1
	v_cndmask_b32_e64 v5, v5, 0x6f, vcc_lo
	v_cndmask_b32_e32 v4, v6, v4, vcc_lo
	v_cndmask_b32_e64 v1, v1, 0xffffff92, vcc_lo
	v_lshl_add_u32 v6, 0x200000, v5, -1
	v_lshrrev_b32_e32 v7, v5, v4
	v_lshlrev_b32_e64 v9, v5, 0x100000
	v_add_nc_u32_e32 v5, v5, v1
	v_and_b32_e32 v4, v6, v4
	v_bfe_u32 v8, v7, 21, 1
	v_cmp_eq_u32_e64 s16, v4, v9
	v_add_nc_u32_e32 v6, -1, v8
	v_cndmask_b32_e64 v4, 0, v6, s16
	v_lshrrev_b32_e32 v6, 23, v7
	s_mov_b32 s16, exec_lo
	v_add_nc_u32_e32 v4, v4, v7
	v_xor_b32_e32 v6, 1, v6
	v_and_b32_e32 v1, 0x1fffff, v4
	v_add_nc_u32_e32 v4, v1, v7
                                        ; implicit-def: $vgpr1
	v_cmpx_ne_u32_e64 v5, v6
	s_xor_b32 s16, exec_lo, s16
; %bb.12706:                            ;   in Loop: Header=BB6_12577 Depth=3
	v_cmp_lt_u32_e32 vcc_lo, 0xffffff, v4
	v_sub_nc_u32_e32 v1, v5, v6
	v_cndmask_b32_e64 v5, 0, 1, vcc_lo
	v_add_co_ci_u32_e64 v1, null, 0, v1, vcc_lo
	v_lshrrev_b32_e32 v4, v5, v4
; %bb.12707:                            ;   in Loop: Header=BB6_12577 Depth=3
	s_andn2_saveexec_b32 s16, s16
; %bb.12708:                            ;   in Loop: Header=BB6_12577 Depth=3
	v_bfe_u32 v1, v4, 23, 1
; %bb.12709:                            ;   in Loop: Header=BB6_12577 Depth=3
	s_or_b32 exec_lo, exec_lo, s16
	v_lshrrev_b32_e32 v4, 21, v4
	v_min_i32_e32 v5, 31, v1
	v_cmp_gt_i32_e32 vcc_lo, 32, v1
	v_and_b32_sdwa v0, v0, v117 dst_sel:DWORD dst_unused:UNUSED_PAD src0_sel:BYTE_3 src1_sel:DWORD
	v_lshlrev_b32_e32 v5, 2, v5
	v_cndmask_b32_e32 v4, 3, v4, vcc_lo
	v_and_b32_e32 v5, 0xfc, v5
	v_and_b32_e32 v6, 3, v4
	v_or_b32_e32 v1, v1, v4
	v_or3_b32 v0, v5, v0, v6
	v_cmp_ne_u32_e32 vcc_lo, 0, v1
	v_cndmask_b32_e32 v63, 0, v0, vcc_lo
.LBB6_12710:                            ;   in Loop: Header=BB6_12577 Depth=3
	s_or_b32 exec_lo, exec_lo, s73
.LBB6_12711:                            ;   in Loop: Header=BB6_12577 Depth=3
	s_or_b32 exec_lo, exec_lo, s72
	v_cmp_gt_i16_sdwa s72, v10, v116 src0_sel:BYTE_1 src1_sel:DWORD
	s_mov_b32 s16, 0
	s_and_saveexec_b32 s73, s72
	s_xor_b32 s72, exec_lo, s73
	s_cbranch_execz .LBB6_14777
; %bb.12712:                            ;   in Loop: Header=BB6_12577 Depth=3
	v_cmp_eq_u16_sdwa s74, v10, v117 src0_sel:BYTE_1 src1_sel:DWORD
	s_mov_b32 s16, -1
	s_and_saveexec_b32 s73, s74
; %bb.12713:                            ;   in Loop: Header=BB6_12577 Depth=3
	s_xor_b32 s16, exec_lo, -1
; %bb.12714:                            ;   in Loop: Header=BB6_12577 Depth=3
	s_or_b32 exec_lo, exec_lo, s73
	s_and_b32 s16, s16, exec_lo
	s_or_saveexec_b32 s72, s72
	v_mov_b32_e32 v0, 0x7f800001
	s_xor_b32 exec_lo, exec_lo, s72
	s_cbranch_execnz .LBB6_14778
.LBB6_12715:                            ;   in Loop: Header=BB6_12577 Depth=3
	s_or_b32 exec_lo, exec_lo, s72
	s_and_saveexec_b32 s72, s16
	s_cbranch_execz .LBB6_12717
.LBB6_12716:                            ;   in Loop: Header=BB6_12577 Depth=3
	v_and_b32_sdwa v0, v118, v10 dst_sel:DWORD dst_unused:UNUSED_PAD src0_sel:DWORD src1_sel:BYTE_1
	v_and_b32_e32 v1, 3, v0
	v_bfe_u32 v6, v0, 2, 5
	v_ffbh_u32_e32 v4, v1
	v_cmp_eq_u32_e32 vcc_lo, 0, v6
	v_min_u32_e32 v4, 32, v4
	v_subrev_nc_u32_e32 v5, 29, v4
	v_sub_nc_u32_e32 v4, 30, v4
	v_lshlrev_b32_e32 v0, v5, v0
	v_lshlrev_b32_sdwa v5, v119, v10 dst_sel:DWORD dst_unused:UNUSED_PAD src0_sel:DWORD src1_sel:BYTE_1
	v_cndmask_b32_e32 v4, v6, v4, vcc_lo
	v_and_b32_e32 v0, 3, v0
	v_lshl_add_u32 v4, v4, 23, 0x37800000
	v_cndmask_b32_e32 v0, v1, v0, vcc_lo
	v_and_b32_e32 v1, 0x80000000, v5
	v_lshlrev_b32_e32 v0, 21, v0
	v_or3_b32 v0, v1, v4, v0
.LBB6_12717:                            ;   in Loop: Header=BB6_12577 Depth=3
	s_or_b32 exec_lo, exec_lo, s72
	v_mul_f32_e32 v0, s23, v0
	v_mov_b32_e32 v75, 0x8000
	s_mov_b32 s72, exec_lo
	v_and_b32_e32 v1, 0x7f800000, v0
	v_cmpx_ne_u32_e32 0x7f800000, v1
	s_cbranch_execz .LBB6_12725
; %bb.12718:                            ;   in Loop: Header=BB6_12577 Depth=3
	v_mov_b32_e32 v75, 0
	s_mov_b32 s73, exec_lo
	v_cmpx_ne_u32_e32 0, v0
	s_cbranch_execz .LBB6_12724
; %bb.12719:                            ;   in Loop: Header=BB6_12577 Depth=3
	v_bfe_u32 v1, v0, 23, 8
	v_and_b32_e32 v4, 0x7fffff, v0
	v_sub_nc_u32_e32 v5, 0x70, v1
	v_cmp_gt_u32_e32 vcc_lo, 0x71, v1
	v_or_b32_e32 v6, 0x800000, v4
	v_cndmask_b32_e32 v5, 0, v5, vcc_lo
	v_cmp_eq_u32_e32 vcc_lo, 0, v1
	v_add_nc_u32_e32 v1, 0xffffff91, v1
	v_cndmask_b32_e64 v5, v5, 0x6f, vcc_lo
	v_cndmask_b32_e32 v4, v6, v4, vcc_lo
	v_cndmask_b32_e64 v1, v1, 0xffffff92, vcc_lo
	v_lshl_add_u32 v6, 0x200000, v5, -1
	v_lshrrev_b32_e32 v7, v5, v4
	v_lshlrev_b32_e64 v9, v5, 0x100000
	v_add_nc_u32_e32 v5, v5, v1
	v_and_b32_e32 v4, v6, v4
	v_bfe_u32 v8, v7, 21, 1
	v_cmp_eq_u32_e64 s16, v4, v9
	v_add_nc_u32_e32 v6, -1, v8
	v_cndmask_b32_e64 v4, 0, v6, s16
	v_lshrrev_b32_e32 v6, 23, v7
	s_mov_b32 s16, exec_lo
	v_add_nc_u32_e32 v4, v4, v7
	v_xor_b32_e32 v6, 1, v6
	v_and_b32_e32 v1, 0x1fffff, v4
	v_add_nc_u32_e32 v4, v1, v7
                                        ; implicit-def: $vgpr1
	v_cmpx_ne_u32_e64 v5, v6
	s_xor_b32 s16, exec_lo, s16
; %bb.12720:                            ;   in Loop: Header=BB6_12577 Depth=3
	v_cmp_lt_u32_e32 vcc_lo, 0xffffff, v4
	v_sub_nc_u32_e32 v1, v5, v6
	v_cndmask_b32_e64 v5, 0, 1, vcc_lo
	v_add_co_ci_u32_e64 v1, null, 0, v1, vcc_lo
	v_lshrrev_b32_e32 v4, v5, v4
; %bb.12721:                            ;   in Loop: Header=BB6_12577 Depth=3
	s_andn2_saveexec_b32 s16, s16
; %bb.12722:                            ;   in Loop: Header=BB6_12577 Depth=3
	v_bfe_u32 v1, v4, 23, 1
; %bb.12723:                            ;   in Loop: Header=BB6_12577 Depth=3
	s_or_b32 exec_lo, exec_lo, s16
	v_lshrrev_b32_e32 v4, 21, v4
	v_min_i32_e32 v5, 31, v1
	v_cmp_gt_i32_e32 vcc_lo, 32, v1
	v_and_b32_sdwa v0, v0, v117 dst_sel:DWORD dst_unused:UNUSED_PAD src0_sel:BYTE_3 src1_sel:DWORD
	v_lshlrev_b32_e32 v5, 2, v5
	v_cndmask_b32_e32 v4, 3, v4, vcc_lo
	v_and_b32_e32 v5, 0xfc, v5
	v_and_b32_e32 v6, 3, v4
	v_or_b32_e32 v1, v1, v4
	v_or3_b32 v0, v0, v5, v6
	v_cmp_ne_u32_e32 vcc_lo, 0, v1
	v_lshlrev_b32_e32 v0, 8, v0
	v_cndmask_b32_e32 v75, 0, v0, vcc_lo
.LBB6_12724:                            ;   in Loop: Header=BB6_12577 Depth=3
	s_or_b32 exec_lo, exec_lo, s73
.LBB6_12725:                            ;   in Loop: Header=BB6_12577 Depth=3
	s_or_b32 exec_lo, exec_lo, s72
	v_and_b32_sdwa v1, v10, v40 dst_sel:DWORD dst_unused:UNUSED_PAD src0_sel:WORD_1 src1_sel:DWORD
	s_mov_b32 s16, 0
	s_mov_b32 s72, exec_lo
	v_cmpx_lt_i16_e32 0x7f, v1
	s_xor_b32 s72, exec_lo, s72
	s_cbranch_execz .LBB6_14779
; %bb.12726:                            ;   in Loop: Header=BB6_12577 Depth=3
	s_mov_b32 s16, -1
	s_mov_b32 s73, exec_lo
	v_cmpx_eq_u16_e32 0x80, v1
; %bb.12727:                            ;   in Loop: Header=BB6_12577 Depth=3
	s_xor_b32 s16, exec_lo, -1
; %bb.12728:                            ;   in Loop: Header=BB6_12577 Depth=3
	s_or_b32 exec_lo, exec_lo, s73
	s_and_b32 s16, s16, exec_lo
                                        ; implicit-def: $vgpr1
	s_or_saveexec_b32 s72, s72
	v_mov_b32_e32 v0, 0x7f800001
	s_xor_b32 exec_lo, exec_lo, s72
	s_cbranch_execnz .LBB6_14780
.LBB6_12729:                            ;   in Loop: Header=BB6_12577 Depth=3
	s_or_b32 exec_lo, exec_lo, s72
	s_and_saveexec_b32 s72, s16
	s_cbranch_execz .LBB6_12731
.LBB6_12730:                            ;   in Loop: Header=BB6_12577 Depth=3
	v_bfe_u32 v0, v10, 16, 2
	v_bfe_u32 v5, v10, 18, 5
	v_lshlrev_b32_e32 v6, 8, v10
	v_ffbh_u32_e32 v1, v0
	v_cmp_eq_u32_e32 vcc_lo, 0, v5
	v_min_u32_e32 v1, 32, v1
	v_subrev_nc_u32_e32 v4, 29, v1
	v_sub_nc_u32_e32 v1, 30, v1
	v_lshlrev_b32_sdwa v4, v4, v10 dst_sel:DWORD dst_unused:UNUSED_PAD src0_sel:DWORD src1_sel:WORD_1
	v_cndmask_b32_e32 v1, v5, v1, vcc_lo
	v_and_b32_e32 v4, 3, v4
	v_lshl_add_u32 v1, v1, 23, 0x37800000
	v_cndmask_b32_e32 v0, v0, v4, vcc_lo
	v_and_b32_e32 v4, 0x80000000, v6
	v_lshlrev_b32_e32 v0, 21, v0
	v_or3_b32 v0, v4, v1, v0
.LBB6_12731:                            ;   in Loop: Header=BB6_12577 Depth=3
	s_or_b32 exec_lo, exec_lo, s72
	v_mul_f32_e32 v0, s23, v0
	v_mov_b32_e32 v66, 0x80
	s_mov_b32 s72, exec_lo
	v_and_b32_e32 v1, 0x7f800000, v0
	v_cmpx_ne_u32_e32 0x7f800000, v1
	s_cbranch_execz .LBB6_12739
; %bb.12732:                            ;   in Loop: Header=BB6_12577 Depth=3
	v_mov_b32_e32 v66, 0
	s_mov_b32 s73, exec_lo
	v_cmpx_ne_u32_e32 0, v0
	s_cbranch_execz .LBB6_12738
; %bb.12733:                            ;   in Loop: Header=BB6_12577 Depth=3
	v_bfe_u32 v1, v0, 23, 8
	v_and_b32_e32 v4, 0x7fffff, v0
	v_sub_nc_u32_e32 v5, 0x70, v1
	v_cmp_gt_u32_e32 vcc_lo, 0x71, v1
	v_or_b32_e32 v6, 0x800000, v4
	v_cndmask_b32_e32 v5, 0, v5, vcc_lo
	v_cmp_eq_u32_e32 vcc_lo, 0, v1
	v_add_nc_u32_e32 v1, 0xffffff91, v1
	v_cndmask_b32_e64 v5, v5, 0x6f, vcc_lo
	v_cndmask_b32_e32 v4, v6, v4, vcc_lo
	v_cndmask_b32_e64 v1, v1, 0xffffff92, vcc_lo
	v_lshl_add_u32 v6, 0x200000, v5, -1
	v_lshrrev_b32_e32 v7, v5, v4
	v_lshlrev_b32_e64 v9, v5, 0x100000
	v_add_nc_u32_e32 v5, v5, v1
	v_and_b32_e32 v4, v6, v4
	v_bfe_u32 v8, v7, 21, 1
	v_cmp_eq_u32_e64 s16, v4, v9
	v_add_nc_u32_e32 v6, -1, v8
	v_cndmask_b32_e64 v4, 0, v6, s16
	v_lshrrev_b32_e32 v6, 23, v7
	s_mov_b32 s16, exec_lo
	v_add_nc_u32_e32 v4, v4, v7
	v_xor_b32_e32 v6, 1, v6
	v_and_b32_e32 v1, 0x1fffff, v4
	v_add_nc_u32_e32 v4, v1, v7
                                        ; implicit-def: $vgpr1
	v_cmpx_ne_u32_e64 v5, v6
	s_xor_b32 s16, exec_lo, s16
; %bb.12734:                            ;   in Loop: Header=BB6_12577 Depth=3
	v_cmp_lt_u32_e32 vcc_lo, 0xffffff, v4
	v_sub_nc_u32_e32 v1, v5, v6
	v_cndmask_b32_e64 v5, 0, 1, vcc_lo
	v_add_co_ci_u32_e64 v1, null, 0, v1, vcc_lo
	v_lshrrev_b32_e32 v4, v5, v4
; %bb.12735:                            ;   in Loop: Header=BB6_12577 Depth=3
	s_andn2_saveexec_b32 s16, s16
; %bb.12736:                            ;   in Loop: Header=BB6_12577 Depth=3
	v_bfe_u32 v1, v4, 23, 1
; %bb.12737:                            ;   in Loop: Header=BB6_12577 Depth=3
	s_or_b32 exec_lo, exec_lo, s16
	v_lshrrev_b32_e32 v4, 21, v4
	v_min_i32_e32 v5, 31, v1
	v_cmp_gt_i32_e32 vcc_lo, 32, v1
	v_and_b32_sdwa v0, v0, v117 dst_sel:DWORD dst_unused:UNUSED_PAD src0_sel:BYTE_3 src1_sel:DWORD
	v_lshlrev_b32_e32 v5, 2, v5
	v_cndmask_b32_e32 v4, 3, v4, vcc_lo
	v_and_b32_e32 v5, 0xfc, v5
	v_and_b32_e32 v6, 3, v4
	v_or_b32_e32 v1, v1, v4
	v_or3_b32 v0, v5, v0, v6
	v_cmp_ne_u32_e32 vcc_lo, 0, v1
	v_cndmask_b32_e32 v66, 0, v0, vcc_lo
.LBB6_12738:                            ;   in Loop: Header=BB6_12577 Depth=3
	s_or_b32 exec_lo, exec_lo, s73
.LBB6_12739:                            ;   in Loop: Header=BB6_12577 Depth=3
	s_or_b32 exec_lo, exec_lo, s72
	v_cmp_gt_i16_sdwa s72, v10, v116 src0_sel:BYTE_3 src1_sel:DWORD
	s_mov_b32 s16, 0
	s_and_saveexec_b32 s73, s72
	s_xor_b32 s72, exec_lo, s73
	s_cbranch_execz .LBB6_14781
; %bb.12740:                            ;   in Loop: Header=BB6_12577 Depth=3
	v_cmp_eq_u16_sdwa s74, v10, v117 src0_sel:BYTE_3 src1_sel:DWORD
	s_mov_b32 s16, -1
	s_and_saveexec_b32 s73, s74
; %bb.12741:                            ;   in Loop: Header=BB6_12577 Depth=3
	s_xor_b32 s16, exec_lo, -1
; %bb.12742:                            ;   in Loop: Header=BB6_12577 Depth=3
	s_or_b32 exec_lo, exec_lo, s73
	s_and_b32 s16, s16, exec_lo
	s_or_saveexec_b32 s72, s72
	v_mov_b32_e32 v0, 0x7f800001
	s_xor_b32 exec_lo, exec_lo, s72
	s_cbranch_execnz .LBB6_14782
.LBB6_12743:                            ;   in Loop: Header=BB6_12577 Depth=3
	s_or_b32 exec_lo, exec_lo, s72
	s_and_saveexec_b32 s72, s16
	s_cbranch_execz .LBB6_12745
.LBB6_12744:                            ;   in Loop: Header=BB6_12577 Depth=3
	v_bfe_u32 v0, v10, 24, 2
	v_bfe_u32 v5, v10, 26, 5
	v_ffbh_u32_e32 v1, v0
	v_cmp_eq_u32_e32 vcc_lo, 0, v5
	v_min_u32_e32 v1, 32, v1
	v_subrev_nc_u32_e32 v4, 29, v1
	v_sub_nc_u32_e32 v1, 30, v1
	v_lshlrev_b32_sdwa v4, v4, v10 dst_sel:DWORD dst_unused:UNUSED_PAD src0_sel:DWORD src1_sel:BYTE_3
	v_cndmask_b32_e32 v1, v5, v1, vcc_lo
	v_and_b32_e32 v4, 3, v4
	v_lshl_add_u32 v1, v1, 23, 0x37800000
	v_cndmask_b32_e32 v0, v0, v4, vcc_lo
	v_and_b32_e32 v4, 0x80000000, v10
	v_lshlrev_b32_e32 v0, 21, v0
	v_or3_b32 v0, v4, v1, v0
.LBB6_12745:                            ;   in Loop: Header=BB6_12577 Depth=3
	s_or_b32 exec_lo, exec_lo, s72
	v_mul_f32_e32 v0, s23, v0
	v_mov_b32_e32 v74, 0x8000
	s_mov_b32 s72, exec_lo
	v_and_b32_e32 v1, 0x7f800000, v0
	v_cmpx_ne_u32_e32 0x7f800000, v1
	s_cbranch_execz .LBB6_12753
; %bb.12746:                            ;   in Loop: Header=BB6_12577 Depth=3
	v_mov_b32_e32 v74, 0
	s_mov_b32 s73, exec_lo
	v_cmpx_ne_u32_e32 0, v0
	s_cbranch_execz .LBB6_12752
; %bb.12747:                            ;   in Loop: Header=BB6_12577 Depth=3
	v_bfe_u32 v1, v0, 23, 8
	v_and_b32_e32 v4, 0x7fffff, v0
	v_sub_nc_u32_e32 v5, 0x70, v1
	v_cmp_gt_u32_e32 vcc_lo, 0x71, v1
	v_or_b32_e32 v6, 0x800000, v4
	v_cndmask_b32_e32 v5, 0, v5, vcc_lo
	v_cmp_eq_u32_e32 vcc_lo, 0, v1
	v_add_nc_u32_e32 v1, 0xffffff91, v1
	v_cndmask_b32_e64 v5, v5, 0x6f, vcc_lo
	v_cndmask_b32_e32 v4, v6, v4, vcc_lo
	v_cndmask_b32_e64 v1, v1, 0xffffff92, vcc_lo
	v_lshl_add_u32 v6, 0x200000, v5, -1
	v_lshrrev_b32_e32 v7, v5, v4
	v_lshlrev_b32_e64 v9, v5, 0x100000
	v_add_nc_u32_e32 v5, v5, v1
	v_and_b32_e32 v4, v6, v4
	v_bfe_u32 v8, v7, 21, 1
	v_cmp_eq_u32_e64 s16, v4, v9
	v_add_nc_u32_e32 v6, -1, v8
	v_cndmask_b32_e64 v4, 0, v6, s16
	v_lshrrev_b32_e32 v6, 23, v7
	s_mov_b32 s16, exec_lo
	v_add_nc_u32_e32 v4, v4, v7
	v_xor_b32_e32 v6, 1, v6
	v_and_b32_e32 v1, 0x1fffff, v4
	v_add_nc_u32_e32 v4, v1, v7
                                        ; implicit-def: $vgpr1
	v_cmpx_ne_u32_e64 v5, v6
	s_xor_b32 s16, exec_lo, s16
; %bb.12748:                            ;   in Loop: Header=BB6_12577 Depth=3
	v_cmp_lt_u32_e32 vcc_lo, 0xffffff, v4
	v_sub_nc_u32_e32 v1, v5, v6
	v_cndmask_b32_e64 v5, 0, 1, vcc_lo
	v_add_co_ci_u32_e64 v1, null, 0, v1, vcc_lo
	v_lshrrev_b32_e32 v4, v5, v4
; %bb.12749:                            ;   in Loop: Header=BB6_12577 Depth=3
	s_andn2_saveexec_b32 s16, s16
; %bb.12750:                            ;   in Loop: Header=BB6_12577 Depth=3
	v_bfe_u32 v1, v4, 23, 1
; %bb.12751:                            ;   in Loop: Header=BB6_12577 Depth=3
	s_or_b32 exec_lo, exec_lo, s16
	v_lshrrev_b32_e32 v4, 21, v4
	v_min_i32_e32 v5, 31, v1
	v_cmp_gt_i32_e32 vcc_lo, 32, v1
	v_and_b32_sdwa v0, v0, v117 dst_sel:DWORD dst_unused:UNUSED_PAD src0_sel:BYTE_3 src1_sel:DWORD
	v_lshlrev_b32_e32 v5, 2, v5
	v_cndmask_b32_e32 v4, 3, v4, vcc_lo
	v_and_b32_e32 v5, 0xfc, v5
	v_and_b32_e32 v6, 3, v4
	v_or_b32_e32 v1, v1, v4
	v_or3_b32 v0, v0, v5, v6
	v_cmp_ne_u32_e32 vcc_lo, 0, v1
	v_lshlrev_b32_e32 v0, 8, v0
	v_cndmask_b32_e32 v74, 0, v0, vcc_lo
.LBB6_12752:                            ;   in Loop: Header=BB6_12577 Depth=3
	s_or_b32 exec_lo, exec_lo, s73
.LBB6_12753:                            ;   in Loop: Header=BB6_12577 Depth=3
	s_or_b32 exec_lo, exec_lo, s72
	v_cmp_gt_i16_sdwa s72, v11, v116 src0_sel:BYTE_0 src1_sel:DWORD
	s_mov_b32 s16, 0
	s_and_saveexec_b32 s73, s72
	s_xor_b32 s72, exec_lo, s73
	s_cbranch_execz .LBB6_14783
; %bb.12754:                            ;   in Loop: Header=BB6_12577 Depth=3
	v_cmp_eq_u16_sdwa s74, v11, v117 src0_sel:BYTE_0 src1_sel:DWORD
	s_mov_b32 s16, -1
	s_and_saveexec_b32 s73, s74
; %bb.12755:                            ;   in Loop: Header=BB6_12577 Depth=3
	s_xor_b32 s16, exec_lo, -1
; %bb.12756:                            ;   in Loop: Header=BB6_12577 Depth=3
	s_or_b32 exec_lo, exec_lo, s73
	s_and_b32 s16, s16, exec_lo
	s_or_saveexec_b32 s72, s72
	v_mov_b32_e32 v0, 0x7f800001
	s_xor_b32 exec_lo, exec_lo, s72
	s_cbranch_execnz .LBB6_14784
.LBB6_12757:                            ;   in Loop: Header=BB6_12577 Depth=3
	s_or_b32 exec_lo, exec_lo, s72
	s_and_saveexec_b32 s72, s16
	s_cbranch_execz .LBB6_12759
.LBB6_12758:                            ;   in Loop: Header=BB6_12577 Depth=3
	v_and_b32_e32 v0, 3, v11
	v_bfe_u32 v5, v11, 2, 5
	v_lshlrev_b32_e32 v6, 24, v11
	v_ffbh_u32_e32 v1, v0
	v_cmp_eq_u32_e32 vcc_lo, 0, v5
	v_min_u32_e32 v1, 32, v1
	v_subrev_nc_u32_e32 v4, 29, v1
	v_sub_nc_u32_e32 v1, 30, v1
	v_lshlrev_b32_e32 v4, v4, v11
	v_cndmask_b32_e32 v1, v5, v1, vcc_lo
	v_and_b32_e32 v4, 3, v4
	v_lshl_add_u32 v1, v1, 23, 0x37800000
	v_cndmask_b32_e32 v0, v0, v4, vcc_lo
	v_and_b32_e32 v4, 0x80000000, v6
	v_lshlrev_b32_e32 v0, 21, v0
	v_or3_b32 v0, v4, v1, v0
.LBB6_12759:                            ;   in Loop: Header=BB6_12577 Depth=3
	s_or_b32 exec_lo, exec_lo, s72
	v_mul_f32_e32 v0, s23, v0
	v_mov_b32_e32 v102, 0x80
	s_mov_b32 s72, exec_lo
	v_and_b32_e32 v1, 0x7f800000, v0
	v_cmpx_ne_u32_e32 0x7f800000, v1
	s_cbranch_execz .LBB6_12767
; %bb.12760:                            ;   in Loop: Header=BB6_12577 Depth=3
	v_mov_b32_e32 v102, 0
	s_mov_b32 s73, exec_lo
	v_cmpx_ne_u32_e32 0, v0
	s_cbranch_execz .LBB6_12766
; %bb.12761:                            ;   in Loop: Header=BB6_12577 Depth=3
	v_bfe_u32 v1, v0, 23, 8
	v_and_b32_e32 v4, 0x7fffff, v0
	v_sub_nc_u32_e32 v5, 0x70, v1
	v_cmp_gt_u32_e32 vcc_lo, 0x71, v1
	v_or_b32_e32 v6, 0x800000, v4
	v_cndmask_b32_e32 v5, 0, v5, vcc_lo
	v_cmp_eq_u32_e32 vcc_lo, 0, v1
	v_add_nc_u32_e32 v1, 0xffffff91, v1
	v_cndmask_b32_e64 v5, v5, 0x6f, vcc_lo
	v_cndmask_b32_e32 v4, v6, v4, vcc_lo
	v_cndmask_b32_e64 v1, v1, 0xffffff92, vcc_lo
	v_lshl_add_u32 v6, 0x200000, v5, -1
	v_lshrrev_b32_e32 v7, v5, v4
	v_lshlrev_b32_e64 v9, v5, 0x100000
	v_add_nc_u32_e32 v5, v5, v1
	v_and_b32_e32 v4, v6, v4
	v_bfe_u32 v8, v7, 21, 1
	v_cmp_eq_u32_e64 s16, v4, v9
	v_add_nc_u32_e32 v6, -1, v8
	v_cndmask_b32_e64 v4, 0, v6, s16
	v_lshrrev_b32_e32 v6, 23, v7
	s_mov_b32 s16, exec_lo
	v_add_nc_u32_e32 v4, v4, v7
	v_xor_b32_e32 v6, 1, v6
	v_and_b32_e32 v1, 0x1fffff, v4
	v_add_nc_u32_e32 v4, v1, v7
                                        ; implicit-def: $vgpr1
	v_cmpx_ne_u32_e64 v5, v6
	s_xor_b32 s16, exec_lo, s16
; %bb.12762:                            ;   in Loop: Header=BB6_12577 Depth=3
	v_cmp_lt_u32_e32 vcc_lo, 0xffffff, v4
	v_sub_nc_u32_e32 v1, v5, v6
	v_cndmask_b32_e64 v5, 0, 1, vcc_lo
	v_add_co_ci_u32_e64 v1, null, 0, v1, vcc_lo
	v_lshrrev_b32_e32 v4, v5, v4
; %bb.12763:                            ;   in Loop: Header=BB6_12577 Depth=3
	s_andn2_saveexec_b32 s16, s16
; %bb.12764:                            ;   in Loop: Header=BB6_12577 Depth=3
	v_bfe_u32 v1, v4, 23, 1
; %bb.12765:                            ;   in Loop: Header=BB6_12577 Depth=3
	s_or_b32 exec_lo, exec_lo, s16
	v_lshrrev_b32_e32 v4, 21, v4
	v_min_i32_e32 v5, 31, v1
	v_cmp_gt_i32_e32 vcc_lo, 32, v1
	v_and_b32_sdwa v0, v0, v117 dst_sel:DWORD dst_unused:UNUSED_PAD src0_sel:BYTE_3 src1_sel:DWORD
	v_lshlrev_b32_e32 v5, 2, v5
	v_cndmask_b32_e32 v4, 3, v4, vcc_lo
	v_and_b32_e32 v5, 0xfc, v5
	v_and_b32_e32 v6, 3, v4
	v_or_b32_e32 v1, v1, v4
	v_or3_b32 v0, v5, v0, v6
	v_cmp_ne_u32_e32 vcc_lo, 0, v1
	v_cndmask_b32_e32 v102, 0, v0, vcc_lo
.LBB6_12766:                            ;   in Loop: Header=BB6_12577 Depth=3
	s_or_b32 exec_lo, exec_lo, s73
.LBB6_12767:                            ;   in Loop: Header=BB6_12577 Depth=3
	s_or_b32 exec_lo, exec_lo, s72
	v_cmp_gt_i16_sdwa s72, v11, v116 src0_sel:BYTE_1 src1_sel:DWORD
	s_mov_b32 s16, 0
	s_and_saveexec_b32 s73, s72
	s_xor_b32 s72, exec_lo, s73
	s_cbranch_execz .LBB6_14785
; %bb.12768:                            ;   in Loop: Header=BB6_12577 Depth=3
	v_cmp_eq_u16_sdwa s74, v11, v117 src0_sel:BYTE_1 src1_sel:DWORD
	s_mov_b32 s16, -1
	s_and_saveexec_b32 s73, s74
; %bb.12769:                            ;   in Loop: Header=BB6_12577 Depth=3
	s_xor_b32 s16, exec_lo, -1
; %bb.12770:                            ;   in Loop: Header=BB6_12577 Depth=3
	s_or_b32 exec_lo, exec_lo, s73
	s_and_b32 s16, s16, exec_lo
	s_or_saveexec_b32 s72, s72
	v_mov_b32_e32 v0, 0x7f800001
	s_xor_b32 exec_lo, exec_lo, s72
	s_cbranch_execnz .LBB6_14786
.LBB6_12771:                            ;   in Loop: Header=BB6_12577 Depth=3
	s_or_b32 exec_lo, exec_lo, s72
	s_and_saveexec_b32 s72, s16
	s_cbranch_execz .LBB6_12773
.LBB6_12772:                            ;   in Loop: Header=BB6_12577 Depth=3
	v_and_b32_sdwa v0, v118, v11 dst_sel:DWORD dst_unused:UNUSED_PAD src0_sel:DWORD src1_sel:BYTE_1
	v_and_b32_e32 v1, 3, v0
	v_bfe_u32 v6, v0, 2, 5
	v_ffbh_u32_e32 v4, v1
	v_cmp_eq_u32_e32 vcc_lo, 0, v6
	v_min_u32_e32 v4, 32, v4
	v_subrev_nc_u32_e32 v5, 29, v4
	v_sub_nc_u32_e32 v4, 30, v4
	v_lshlrev_b32_e32 v0, v5, v0
	v_lshlrev_b32_sdwa v5, v119, v11 dst_sel:DWORD dst_unused:UNUSED_PAD src0_sel:DWORD src1_sel:BYTE_1
	v_cndmask_b32_e32 v4, v6, v4, vcc_lo
	v_and_b32_e32 v0, 3, v0
	v_lshl_add_u32 v4, v4, 23, 0x37800000
	v_cndmask_b32_e32 v0, v1, v0, vcc_lo
	v_and_b32_e32 v1, 0x80000000, v5
	v_lshlrev_b32_e32 v0, 21, v0
	v_or3_b32 v0, v1, v4, v0
.LBB6_12773:                            ;   in Loop: Header=BB6_12577 Depth=3
	s_or_b32 exec_lo, exec_lo, s72
	v_mul_f32_e32 v0, s23, v0
	v_mov_b32_e32 v62, 0x8000
	s_mov_b32 s72, exec_lo
	v_and_b32_e32 v1, 0x7f800000, v0
	v_cmpx_ne_u32_e32 0x7f800000, v1
	s_cbranch_execz .LBB6_12781
; %bb.12774:                            ;   in Loop: Header=BB6_12577 Depth=3
	v_mov_b32_e32 v62, 0
	s_mov_b32 s73, exec_lo
	v_cmpx_ne_u32_e32 0, v0
	s_cbranch_execz .LBB6_12780
; %bb.12775:                            ;   in Loop: Header=BB6_12577 Depth=3
	v_bfe_u32 v1, v0, 23, 8
	v_and_b32_e32 v4, 0x7fffff, v0
	v_sub_nc_u32_e32 v5, 0x70, v1
	v_cmp_gt_u32_e32 vcc_lo, 0x71, v1
	v_or_b32_e32 v6, 0x800000, v4
	v_cndmask_b32_e32 v5, 0, v5, vcc_lo
	v_cmp_eq_u32_e32 vcc_lo, 0, v1
	v_add_nc_u32_e32 v1, 0xffffff91, v1
	v_cndmask_b32_e64 v5, v5, 0x6f, vcc_lo
	v_cndmask_b32_e32 v4, v6, v4, vcc_lo
	v_cndmask_b32_e64 v1, v1, 0xffffff92, vcc_lo
	v_lshl_add_u32 v6, 0x200000, v5, -1
	v_lshrrev_b32_e32 v7, v5, v4
	v_lshlrev_b32_e64 v9, v5, 0x100000
	v_add_nc_u32_e32 v5, v5, v1
	v_and_b32_e32 v4, v6, v4
	v_bfe_u32 v8, v7, 21, 1
	v_cmp_eq_u32_e64 s16, v4, v9
	v_add_nc_u32_e32 v6, -1, v8
	v_cndmask_b32_e64 v4, 0, v6, s16
	v_lshrrev_b32_e32 v6, 23, v7
	s_mov_b32 s16, exec_lo
	v_add_nc_u32_e32 v4, v4, v7
	v_xor_b32_e32 v6, 1, v6
	v_and_b32_e32 v1, 0x1fffff, v4
	v_add_nc_u32_e32 v4, v1, v7
                                        ; implicit-def: $vgpr1
	v_cmpx_ne_u32_e64 v5, v6
	s_xor_b32 s16, exec_lo, s16
; %bb.12776:                            ;   in Loop: Header=BB6_12577 Depth=3
	v_cmp_lt_u32_e32 vcc_lo, 0xffffff, v4
	v_sub_nc_u32_e32 v1, v5, v6
	v_cndmask_b32_e64 v5, 0, 1, vcc_lo
	v_add_co_ci_u32_e64 v1, null, 0, v1, vcc_lo
	v_lshrrev_b32_e32 v4, v5, v4
; %bb.12777:                            ;   in Loop: Header=BB6_12577 Depth=3
	s_andn2_saveexec_b32 s16, s16
; %bb.12778:                            ;   in Loop: Header=BB6_12577 Depth=3
	v_bfe_u32 v1, v4, 23, 1
; %bb.12779:                            ;   in Loop: Header=BB6_12577 Depth=3
	s_or_b32 exec_lo, exec_lo, s16
	v_lshrrev_b32_e32 v4, 21, v4
	v_min_i32_e32 v5, 31, v1
	v_cmp_gt_i32_e32 vcc_lo, 32, v1
	v_and_b32_sdwa v0, v0, v117 dst_sel:DWORD dst_unused:UNUSED_PAD src0_sel:BYTE_3 src1_sel:DWORD
	v_lshlrev_b32_e32 v5, 2, v5
	v_cndmask_b32_e32 v4, 3, v4, vcc_lo
	v_and_b32_e32 v5, 0xfc, v5
	v_and_b32_e32 v6, 3, v4
	v_or_b32_e32 v1, v1, v4
	v_or3_b32 v0, v0, v5, v6
	v_cmp_ne_u32_e32 vcc_lo, 0, v1
	v_lshlrev_b32_e32 v0, 8, v0
	v_cndmask_b32_e32 v62, 0, v0, vcc_lo
.LBB6_12780:                            ;   in Loop: Header=BB6_12577 Depth=3
	s_or_b32 exec_lo, exec_lo, s73
.LBB6_12781:                            ;   in Loop: Header=BB6_12577 Depth=3
	s_or_b32 exec_lo, exec_lo, s72
	v_and_b32_sdwa v1, v11, v40 dst_sel:DWORD dst_unused:UNUSED_PAD src0_sel:WORD_1 src1_sel:DWORD
	s_mov_b32 s16, 0
	s_mov_b32 s72, exec_lo
	v_cmpx_lt_i16_e32 0x7f, v1
	s_xor_b32 s72, exec_lo, s72
	s_cbranch_execz .LBB6_14787
; %bb.12782:                            ;   in Loop: Header=BB6_12577 Depth=3
	s_mov_b32 s16, -1
	s_mov_b32 s73, exec_lo
	v_cmpx_eq_u16_e32 0x80, v1
; %bb.12783:                            ;   in Loop: Header=BB6_12577 Depth=3
	s_xor_b32 s16, exec_lo, -1
; %bb.12784:                            ;   in Loop: Header=BB6_12577 Depth=3
	s_or_b32 exec_lo, exec_lo, s73
	s_and_b32 s16, s16, exec_lo
                                        ; implicit-def: $vgpr1
	s_or_saveexec_b32 s72, s72
	v_mov_b32_e32 v0, 0x7f800001
	s_xor_b32 exec_lo, exec_lo, s72
	s_cbranch_execnz .LBB6_14788
.LBB6_12785:                            ;   in Loop: Header=BB6_12577 Depth=3
	s_or_b32 exec_lo, exec_lo, s72
	s_and_saveexec_b32 s72, s16
	s_cbranch_execz .LBB6_12787
.LBB6_12786:                            ;   in Loop: Header=BB6_12577 Depth=3
	v_bfe_u32 v0, v11, 16, 2
	v_bfe_u32 v5, v11, 18, 5
	v_lshlrev_b32_e32 v6, 8, v11
	v_ffbh_u32_e32 v1, v0
	v_cmp_eq_u32_e32 vcc_lo, 0, v5
	v_min_u32_e32 v1, 32, v1
	v_subrev_nc_u32_e32 v4, 29, v1
	v_sub_nc_u32_e32 v1, 30, v1
	v_lshlrev_b32_sdwa v4, v4, v11 dst_sel:DWORD dst_unused:UNUSED_PAD src0_sel:DWORD src1_sel:WORD_1
	v_cndmask_b32_e32 v1, v5, v1, vcc_lo
	v_and_b32_e32 v4, 3, v4
	v_lshl_add_u32 v1, v1, 23, 0x37800000
	v_cndmask_b32_e32 v0, v0, v4, vcc_lo
	v_and_b32_e32 v4, 0x80000000, v6
	v_lshlrev_b32_e32 v0, 21, v0
	v_or3_b32 v0, v4, v1, v0
.LBB6_12787:                            ;   in Loop: Header=BB6_12577 Depth=3
	s_or_b32 exec_lo, exec_lo, s72
	v_mul_f32_e32 v0, s23, v0
	v_mov_b32_e32 v56, 0x80
	s_mov_b32 s72, exec_lo
	v_and_b32_e32 v1, 0x7f800000, v0
	v_cmpx_ne_u32_e32 0x7f800000, v1
	s_cbranch_execz .LBB6_12795
; %bb.12788:                            ;   in Loop: Header=BB6_12577 Depth=3
	v_mov_b32_e32 v56, 0
	s_mov_b32 s73, exec_lo
	v_cmpx_ne_u32_e32 0, v0
	s_cbranch_execz .LBB6_12794
; %bb.12789:                            ;   in Loop: Header=BB6_12577 Depth=3
	v_bfe_u32 v1, v0, 23, 8
	v_and_b32_e32 v4, 0x7fffff, v0
	v_sub_nc_u32_e32 v5, 0x70, v1
	v_cmp_gt_u32_e32 vcc_lo, 0x71, v1
	v_or_b32_e32 v6, 0x800000, v4
	v_cndmask_b32_e32 v5, 0, v5, vcc_lo
	v_cmp_eq_u32_e32 vcc_lo, 0, v1
	v_add_nc_u32_e32 v1, 0xffffff91, v1
	v_cndmask_b32_e64 v5, v5, 0x6f, vcc_lo
	v_cndmask_b32_e32 v4, v6, v4, vcc_lo
	v_cndmask_b32_e64 v1, v1, 0xffffff92, vcc_lo
	v_lshl_add_u32 v6, 0x200000, v5, -1
	v_lshrrev_b32_e32 v7, v5, v4
	v_lshlrev_b32_e64 v9, v5, 0x100000
	v_add_nc_u32_e32 v5, v5, v1
	v_and_b32_e32 v4, v6, v4
	v_bfe_u32 v8, v7, 21, 1
	v_cmp_eq_u32_e64 s16, v4, v9
	v_add_nc_u32_e32 v6, -1, v8
	v_cndmask_b32_e64 v4, 0, v6, s16
	v_lshrrev_b32_e32 v6, 23, v7
	s_mov_b32 s16, exec_lo
	v_add_nc_u32_e32 v4, v4, v7
	v_xor_b32_e32 v6, 1, v6
	v_and_b32_e32 v1, 0x1fffff, v4
	v_add_nc_u32_e32 v4, v1, v7
                                        ; implicit-def: $vgpr1
	v_cmpx_ne_u32_e64 v5, v6
	s_xor_b32 s16, exec_lo, s16
; %bb.12790:                            ;   in Loop: Header=BB6_12577 Depth=3
	v_cmp_lt_u32_e32 vcc_lo, 0xffffff, v4
	v_sub_nc_u32_e32 v1, v5, v6
	v_cndmask_b32_e64 v5, 0, 1, vcc_lo
	v_add_co_ci_u32_e64 v1, null, 0, v1, vcc_lo
	v_lshrrev_b32_e32 v4, v5, v4
; %bb.12791:                            ;   in Loop: Header=BB6_12577 Depth=3
	s_andn2_saveexec_b32 s16, s16
; %bb.12792:                            ;   in Loop: Header=BB6_12577 Depth=3
	v_bfe_u32 v1, v4, 23, 1
; %bb.12793:                            ;   in Loop: Header=BB6_12577 Depth=3
	s_or_b32 exec_lo, exec_lo, s16
	v_lshrrev_b32_e32 v4, 21, v4
	v_min_i32_e32 v5, 31, v1
	v_cmp_gt_i32_e32 vcc_lo, 32, v1
	v_and_b32_sdwa v0, v0, v117 dst_sel:DWORD dst_unused:UNUSED_PAD src0_sel:BYTE_3 src1_sel:DWORD
	v_lshlrev_b32_e32 v5, 2, v5
	v_cndmask_b32_e32 v4, 3, v4, vcc_lo
	v_and_b32_e32 v5, 0xfc, v5
	v_and_b32_e32 v6, 3, v4
	v_or_b32_e32 v1, v1, v4
	v_or3_b32 v0, v5, v0, v6
	v_cmp_ne_u32_e32 vcc_lo, 0, v1
	v_cndmask_b32_e32 v56, 0, v0, vcc_lo
.LBB6_12794:                            ;   in Loop: Header=BB6_12577 Depth=3
	s_or_b32 exec_lo, exec_lo, s73
.LBB6_12795:                            ;   in Loop: Header=BB6_12577 Depth=3
	s_or_b32 exec_lo, exec_lo, s72
	v_cmp_gt_i16_sdwa s72, v11, v116 src0_sel:BYTE_3 src1_sel:DWORD
	s_mov_b32 s16, 0
	s_and_saveexec_b32 s73, s72
	s_xor_b32 s72, exec_lo, s73
	s_cbranch_execz .LBB6_14789
; %bb.12796:                            ;   in Loop: Header=BB6_12577 Depth=3
	v_cmp_eq_u16_sdwa s74, v11, v117 src0_sel:BYTE_3 src1_sel:DWORD
	s_mov_b32 s16, -1
	s_and_saveexec_b32 s73, s74
; %bb.12797:                            ;   in Loop: Header=BB6_12577 Depth=3
	s_xor_b32 s16, exec_lo, -1
; %bb.12798:                            ;   in Loop: Header=BB6_12577 Depth=3
	s_or_b32 exec_lo, exec_lo, s73
	s_and_b32 s16, s16, exec_lo
	s_or_saveexec_b32 s72, s72
	v_mov_b32_e32 v0, 0x7f800001
	s_xor_b32 exec_lo, exec_lo, s72
	s_cbranch_execnz .LBB6_14790
.LBB6_12799:                            ;   in Loop: Header=BB6_12577 Depth=3
	s_or_b32 exec_lo, exec_lo, s72
	s_and_saveexec_b32 s72, s16
	s_cbranch_execz .LBB6_12801
.LBB6_12800:                            ;   in Loop: Header=BB6_12577 Depth=3
	v_bfe_u32 v0, v11, 24, 2
	v_bfe_u32 v5, v11, 26, 5
	v_ffbh_u32_e32 v1, v0
	v_cmp_eq_u32_e32 vcc_lo, 0, v5
	v_min_u32_e32 v1, 32, v1
	v_subrev_nc_u32_e32 v4, 29, v1
	v_sub_nc_u32_e32 v1, 30, v1
	v_lshlrev_b32_sdwa v4, v4, v11 dst_sel:DWORD dst_unused:UNUSED_PAD src0_sel:DWORD src1_sel:BYTE_3
	v_cndmask_b32_e32 v1, v5, v1, vcc_lo
	v_and_b32_e32 v4, 3, v4
	v_lshl_add_u32 v1, v1, 23, 0x37800000
	v_cndmask_b32_e32 v0, v0, v4, vcc_lo
	v_and_b32_e32 v4, 0x80000000, v11
	v_lshlrev_b32_e32 v0, 21, v0
	v_or3_b32 v0, v4, v1, v0
.LBB6_12801:                            ;   in Loop: Header=BB6_12577 Depth=3
	s_or_b32 exec_lo, exec_lo, s72
	v_mul_f32_e32 v0, s23, v0
	v_mov_b32_e32 v61, 0x8000
	s_mov_b32 s72, exec_lo
	v_and_b32_e32 v1, 0x7f800000, v0
	v_cmpx_ne_u32_e32 0x7f800000, v1
	s_cbranch_execz .LBB6_12809
; %bb.12802:                            ;   in Loop: Header=BB6_12577 Depth=3
	v_mov_b32_e32 v61, 0
	s_mov_b32 s73, exec_lo
	v_cmpx_ne_u32_e32 0, v0
	s_cbranch_execz .LBB6_12808
; %bb.12803:                            ;   in Loop: Header=BB6_12577 Depth=3
	v_bfe_u32 v1, v0, 23, 8
	v_and_b32_e32 v4, 0x7fffff, v0
	v_sub_nc_u32_e32 v5, 0x70, v1
	v_cmp_gt_u32_e32 vcc_lo, 0x71, v1
	v_or_b32_e32 v6, 0x800000, v4
	v_cndmask_b32_e32 v5, 0, v5, vcc_lo
	v_cmp_eq_u32_e32 vcc_lo, 0, v1
	v_add_nc_u32_e32 v1, 0xffffff91, v1
	v_cndmask_b32_e64 v5, v5, 0x6f, vcc_lo
	v_cndmask_b32_e32 v4, v6, v4, vcc_lo
	v_cndmask_b32_e64 v1, v1, 0xffffff92, vcc_lo
	v_lshl_add_u32 v6, 0x200000, v5, -1
	v_lshrrev_b32_e32 v7, v5, v4
	v_lshlrev_b32_e64 v9, v5, 0x100000
	v_add_nc_u32_e32 v5, v5, v1
	v_and_b32_e32 v4, v6, v4
	v_bfe_u32 v8, v7, 21, 1
	v_cmp_eq_u32_e64 s16, v4, v9
	v_add_nc_u32_e32 v6, -1, v8
	v_cndmask_b32_e64 v4, 0, v6, s16
	v_lshrrev_b32_e32 v6, 23, v7
	s_mov_b32 s16, exec_lo
	v_add_nc_u32_e32 v4, v4, v7
	v_xor_b32_e32 v6, 1, v6
	v_and_b32_e32 v1, 0x1fffff, v4
	v_add_nc_u32_e32 v4, v1, v7
                                        ; implicit-def: $vgpr1
	v_cmpx_ne_u32_e64 v5, v6
	s_xor_b32 s16, exec_lo, s16
; %bb.12804:                            ;   in Loop: Header=BB6_12577 Depth=3
	v_cmp_lt_u32_e32 vcc_lo, 0xffffff, v4
	v_sub_nc_u32_e32 v1, v5, v6
	v_cndmask_b32_e64 v5, 0, 1, vcc_lo
	v_add_co_ci_u32_e64 v1, null, 0, v1, vcc_lo
	v_lshrrev_b32_e32 v4, v5, v4
; %bb.12805:                            ;   in Loop: Header=BB6_12577 Depth=3
	s_andn2_saveexec_b32 s16, s16
; %bb.12806:                            ;   in Loop: Header=BB6_12577 Depth=3
	v_bfe_u32 v1, v4, 23, 1
; %bb.12807:                            ;   in Loop: Header=BB6_12577 Depth=3
	s_or_b32 exec_lo, exec_lo, s16
	v_lshrrev_b32_e32 v4, 21, v4
	v_min_i32_e32 v5, 31, v1
	v_cmp_gt_i32_e32 vcc_lo, 32, v1
	v_and_b32_sdwa v0, v0, v117 dst_sel:DWORD dst_unused:UNUSED_PAD src0_sel:BYTE_3 src1_sel:DWORD
	v_lshlrev_b32_e32 v5, 2, v5
	v_cndmask_b32_e32 v4, 3, v4, vcc_lo
	v_and_b32_e32 v5, 0xfc, v5
	v_and_b32_e32 v6, 3, v4
	v_or_b32_e32 v1, v1, v4
	v_or3_b32 v0, v0, v5, v6
	v_cmp_ne_u32_e32 vcc_lo, 0, v1
	v_lshlrev_b32_e32 v0, 8, v0
	v_cndmask_b32_e32 v61, 0, v0, vcc_lo
.LBB6_12808:                            ;   in Loop: Header=BB6_12577 Depth=3
	s_or_b32 exec_lo, exec_lo, s73
.LBB6_12809:                            ;   in Loop: Header=BB6_12577 Depth=3
	s_or_b32 exec_lo, exec_lo, s72
	global_load_dwordx4 v[8:11], v[82:83], off offset:512 slc
	s_mov_b32 s16, 0
	s_waitcnt vmcnt(0)
	v_cmp_gt_i16_sdwa s72, v8, v116 src0_sel:BYTE_0 src1_sel:DWORD
	s_and_saveexec_b32 s73, s72
	s_xor_b32 s72, exec_lo, s73
	s_cbranch_execz .LBB6_14791
; %bb.12810:                            ;   in Loop: Header=BB6_12577 Depth=3
	v_cmp_eq_u16_sdwa s74, v8, v117 src0_sel:BYTE_0 src1_sel:DWORD
	s_mov_b32 s16, -1
	s_and_saveexec_b32 s73, s74
; %bb.12811:                            ;   in Loop: Header=BB6_12577 Depth=3
	s_xor_b32 s16, exec_lo, -1
; %bb.12812:                            ;   in Loop: Header=BB6_12577 Depth=3
	s_or_b32 exec_lo, exec_lo, s73
	s_and_b32 s16, s16, exec_lo
	s_or_saveexec_b32 s72, s72
	v_mov_b32_e32 v0, 0x7f800001
	s_xor_b32 exec_lo, exec_lo, s72
	s_cbranch_execnz .LBB6_14792
.LBB6_12813:                            ;   in Loop: Header=BB6_12577 Depth=3
	s_or_b32 exec_lo, exec_lo, s72
	s_and_saveexec_b32 s72, s16
	s_cbranch_execz .LBB6_12815
.LBB6_12814:                            ;   in Loop: Header=BB6_12577 Depth=3
	v_and_b32_e32 v0, 3, v8
	v_bfe_u32 v5, v8, 2, 5
	v_lshlrev_b32_e32 v6, 24, v8
	v_ffbh_u32_e32 v1, v0
	v_cmp_eq_u32_e32 vcc_lo, 0, v5
	v_min_u32_e32 v1, 32, v1
	v_subrev_nc_u32_e32 v4, 29, v1
	v_sub_nc_u32_e32 v1, 30, v1
	v_lshlrev_b32_e32 v4, v4, v8
	v_cndmask_b32_e32 v1, v5, v1, vcc_lo
	v_and_b32_e32 v4, 3, v4
	v_lshl_add_u32 v1, v1, 23, 0x37800000
	v_cndmask_b32_e32 v0, v0, v4, vcc_lo
	v_and_b32_e32 v4, 0x80000000, v6
	v_lshlrev_b32_e32 v0, 21, v0
	v_or3_b32 v0, v4, v1, v0
.LBB6_12815:                            ;   in Loop: Header=BB6_12577 Depth=3
	s_or_b32 exec_lo, exec_lo, s72
	v_mul_f32_e32 v0, s23, v0
	v_mov_b32_e32 v59, 0x80
	s_mov_b32 s72, exec_lo
	v_and_b32_e32 v1, 0x7f800000, v0
	v_cmpx_ne_u32_e32 0x7f800000, v1
	s_cbranch_execz .LBB6_12823
; %bb.12816:                            ;   in Loop: Header=BB6_12577 Depth=3
	v_mov_b32_e32 v59, 0
	s_mov_b32 s73, exec_lo
	v_cmpx_ne_u32_e32 0, v0
	s_cbranch_execz .LBB6_12822
; %bb.12817:                            ;   in Loop: Header=BB6_12577 Depth=3
	v_bfe_u32 v1, v0, 23, 8
	v_and_b32_e32 v4, 0x7fffff, v0
	v_sub_nc_u32_e32 v5, 0x70, v1
	v_cmp_gt_u32_e32 vcc_lo, 0x71, v1
	v_or_b32_e32 v6, 0x800000, v4
	v_cndmask_b32_e32 v5, 0, v5, vcc_lo
	v_cmp_eq_u32_e32 vcc_lo, 0, v1
	v_add_nc_u32_e32 v1, 0xffffff91, v1
	v_cndmask_b32_e64 v5, v5, 0x6f, vcc_lo
	v_cndmask_b32_e32 v4, v6, v4, vcc_lo
	v_cndmask_b32_e64 v1, v1, 0xffffff92, vcc_lo
	v_lshl_add_u32 v6, 0x200000, v5, -1
	v_lshrrev_b32_e32 v7, v5, v4
	v_lshlrev_b32_e64 v15, v5, 0x100000
	v_add_nc_u32_e32 v5, v5, v1
	v_and_b32_e32 v4, v6, v4
	v_bfe_u32 v14, v7, 21, 1
	v_cmp_eq_u32_e64 s16, v4, v15
	v_add_nc_u32_e32 v6, -1, v14
	v_cndmask_b32_e64 v4, 0, v6, s16
	v_lshrrev_b32_e32 v6, 23, v7
	s_mov_b32 s16, exec_lo
	v_add_nc_u32_e32 v4, v4, v7
	v_xor_b32_e32 v6, 1, v6
	v_and_b32_e32 v1, 0x1fffff, v4
	v_add_nc_u32_e32 v4, v1, v7
                                        ; implicit-def: $vgpr1
	v_cmpx_ne_u32_e64 v5, v6
	s_xor_b32 s16, exec_lo, s16
; %bb.12818:                            ;   in Loop: Header=BB6_12577 Depth=3
	v_cmp_lt_u32_e32 vcc_lo, 0xffffff, v4
	v_sub_nc_u32_e32 v1, v5, v6
	v_cndmask_b32_e64 v5, 0, 1, vcc_lo
	v_add_co_ci_u32_e64 v1, null, 0, v1, vcc_lo
	v_lshrrev_b32_e32 v4, v5, v4
; %bb.12819:                            ;   in Loop: Header=BB6_12577 Depth=3
	s_andn2_saveexec_b32 s16, s16
; %bb.12820:                            ;   in Loop: Header=BB6_12577 Depth=3
	v_bfe_u32 v1, v4, 23, 1
; %bb.12821:                            ;   in Loop: Header=BB6_12577 Depth=3
	s_or_b32 exec_lo, exec_lo, s16
	v_lshrrev_b32_e32 v4, 21, v4
	v_min_i32_e32 v5, 31, v1
	v_cmp_gt_i32_e32 vcc_lo, 32, v1
	v_and_b32_sdwa v0, v0, v117 dst_sel:DWORD dst_unused:UNUSED_PAD src0_sel:BYTE_3 src1_sel:DWORD
	v_lshlrev_b32_e32 v5, 2, v5
	v_cndmask_b32_e32 v4, 3, v4, vcc_lo
	v_and_b32_e32 v5, 0xfc, v5
	v_and_b32_e32 v6, 3, v4
	v_or_b32_e32 v1, v1, v4
	v_or3_b32 v0, v5, v0, v6
	v_cmp_ne_u32_e32 vcc_lo, 0, v1
	v_cndmask_b32_e32 v59, 0, v0, vcc_lo
.LBB6_12822:                            ;   in Loop: Header=BB6_12577 Depth=3
	s_or_b32 exec_lo, exec_lo, s73
.LBB6_12823:                            ;   in Loop: Header=BB6_12577 Depth=3
	s_or_b32 exec_lo, exec_lo, s72
	v_cmp_gt_i16_sdwa s72, v8, v116 src0_sel:BYTE_1 src1_sel:DWORD
	s_mov_b32 s16, 0
	s_and_saveexec_b32 s73, s72
	s_xor_b32 s72, exec_lo, s73
	s_cbranch_execz .LBB6_14793
; %bb.12824:                            ;   in Loop: Header=BB6_12577 Depth=3
	v_cmp_eq_u16_sdwa s74, v8, v117 src0_sel:BYTE_1 src1_sel:DWORD
	s_mov_b32 s16, -1
	s_and_saveexec_b32 s73, s74
; %bb.12825:                            ;   in Loop: Header=BB6_12577 Depth=3
	s_xor_b32 s16, exec_lo, -1
; %bb.12826:                            ;   in Loop: Header=BB6_12577 Depth=3
	s_or_b32 exec_lo, exec_lo, s73
	s_and_b32 s16, s16, exec_lo
	s_or_saveexec_b32 s72, s72
	v_mov_b32_e32 v0, 0x7f800001
	s_xor_b32 exec_lo, exec_lo, s72
	s_cbranch_execnz .LBB6_14794
.LBB6_12827:                            ;   in Loop: Header=BB6_12577 Depth=3
	s_or_b32 exec_lo, exec_lo, s72
	s_and_saveexec_b32 s72, s16
	s_cbranch_execz .LBB6_12829
.LBB6_12828:                            ;   in Loop: Header=BB6_12577 Depth=3
	v_and_b32_sdwa v0, v118, v8 dst_sel:DWORD dst_unused:UNUSED_PAD src0_sel:DWORD src1_sel:BYTE_1
	v_and_b32_e32 v1, 3, v0
	v_bfe_u32 v6, v0, 2, 5
	v_ffbh_u32_e32 v4, v1
	v_cmp_eq_u32_e32 vcc_lo, 0, v6
	v_min_u32_e32 v4, 32, v4
	v_subrev_nc_u32_e32 v5, 29, v4
	v_sub_nc_u32_e32 v4, 30, v4
	v_lshlrev_b32_e32 v0, v5, v0
	v_lshlrev_b32_sdwa v5, v119, v8 dst_sel:DWORD dst_unused:UNUSED_PAD src0_sel:DWORD src1_sel:BYTE_1
	v_cndmask_b32_e32 v4, v6, v4, vcc_lo
	v_and_b32_e32 v0, 3, v0
	v_lshl_add_u32 v4, v4, 23, 0x37800000
	v_cndmask_b32_e32 v0, v1, v0, vcc_lo
	v_and_b32_e32 v1, 0x80000000, v5
	v_lshlrev_b32_e32 v0, 21, v0
	v_or3_b32 v0, v1, v4, v0
.LBB6_12829:                            ;   in Loop: Header=BB6_12577 Depth=3
	s_or_b32 exec_lo, exec_lo, s72
	v_mul_f32_e32 v1, s23, v0
	v_and_b32_e32 v0, 0x7f800000, v1
	v_cmp_ne_u32_e32 vcc_lo, 0x7f800000, v0
	v_mov_b32_e32 v0, 0x8000
	s_and_saveexec_b32 s72, vcc_lo
	s_cbranch_execz .LBB6_12837
; %bb.12830:                            ;   in Loop: Header=BB6_12577 Depth=3
	v_mov_b32_e32 v0, 0
	s_mov_b32 s73, exec_lo
	v_cmpx_ne_u32_e32 0, v1
	s_cbranch_execz .LBB6_12836
; %bb.12831:                            ;   in Loop: Header=BB6_12577 Depth=3
	v_bfe_u32 v0, v1, 23, 8
	v_and_b32_e32 v4, 0x7fffff, v1
	v_sub_nc_u32_e32 v5, 0x70, v0
	v_cmp_gt_u32_e32 vcc_lo, 0x71, v0
	v_or_b32_e32 v6, 0x800000, v4
	v_cndmask_b32_e32 v5, 0, v5, vcc_lo
	v_cmp_eq_u32_e32 vcc_lo, 0, v0
	v_add_nc_u32_e32 v0, 0xffffff91, v0
	v_cndmask_b32_e64 v5, v5, 0x6f, vcc_lo
	v_cndmask_b32_e32 v4, v6, v4, vcc_lo
	v_cndmask_b32_e64 v0, v0, 0xffffff92, vcc_lo
	v_lshl_add_u32 v6, 0x200000, v5, -1
	v_lshrrev_b32_e32 v7, v5, v4
	v_lshlrev_b32_e64 v15, v5, 0x100000
	v_add_nc_u32_e32 v5, v5, v0
	v_and_b32_e32 v4, v6, v4
	v_bfe_u32 v14, v7, 21, 1
	v_cmp_eq_u32_e64 s16, v4, v15
	v_add_nc_u32_e32 v6, -1, v14
	v_cndmask_b32_e64 v4, 0, v6, s16
	v_lshrrev_b32_e32 v6, 23, v7
	s_mov_b32 s16, exec_lo
	v_add_nc_u32_e32 v4, v4, v7
	v_xor_b32_e32 v6, 1, v6
	v_and_b32_e32 v0, 0x1fffff, v4
	v_add_nc_u32_e32 v4, v0, v7
                                        ; implicit-def: $vgpr0
	v_cmpx_ne_u32_e64 v5, v6
	s_xor_b32 s16, exec_lo, s16
; %bb.12832:                            ;   in Loop: Header=BB6_12577 Depth=3
	v_cmp_lt_u32_e32 vcc_lo, 0xffffff, v4
	v_sub_nc_u32_e32 v0, v5, v6
	v_cndmask_b32_e64 v5, 0, 1, vcc_lo
	v_add_co_ci_u32_e64 v0, null, 0, v0, vcc_lo
	v_lshrrev_b32_e32 v4, v5, v4
; %bb.12833:                            ;   in Loop: Header=BB6_12577 Depth=3
	s_andn2_saveexec_b32 s16, s16
; %bb.12834:                            ;   in Loop: Header=BB6_12577 Depth=3
	v_bfe_u32 v0, v4, 23, 1
; %bb.12835:                            ;   in Loop: Header=BB6_12577 Depth=3
	s_or_b32 exec_lo, exec_lo, s16
	v_lshrrev_b32_e32 v4, 21, v4
	v_min_i32_e32 v5, 31, v0
	v_cmp_gt_i32_e32 vcc_lo, 32, v0
	v_and_b32_sdwa v1, v1, v117 dst_sel:DWORD dst_unused:UNUSED_PAD src0_sel:BYTE_3 src1_sel:DWORD
	v_lshlrev_b32_e32 v5, 2, v5
	v_cndmask_b32_e32 v4, 3, v4, vcc_lo
	v_and_b32_e32 v5, 0xfc, v5
	v_and_b32_e32 v6, 3, v4
	v_or_b32_e32 v0, v0, v4
	v_or3_b32 v1, v1, v5, v6
	v_cmp_ne_u32_e32 vcc_lo, 0, v0
	v_lshlrev_b32_e32 v1, 8, v1
	v_cndmask_b32_e32 v0, 0, v1, vcc_lo
.LBB6_12836:                            ;   in Loop: Header=BB6_12577 Depth=3
	s_or_b32 exec_lo, exec_lo, s73
.LBB6_12837:                            ;   in Loop: Header=BB6_12577 Depth=3
	s_or_b32 exec_lo, exec_lo, s72
	v_and_b32_sdwa v4, v8, v40 dst_sel:DWORD dst_unused:UNUSED_PAD src0_sel:WORD_1 src1_sel:DWORD
	s_mov_b32 s16, 0
	s_mov_b32 s72, exec_lo
	v_cmpx_lt_i16_e32 0x7f, v4
	s_xor_b32 s72, exec_lo, s72
	s_cbranch_execz .LBB6_14795
; %bb.12838:                            ;   in Loop: Header=BB6_12577 Depth=3
	s_mov_b32 s16, -1
	s_mov_b32 s73, exec_lo
	v_cmpx_eq_u16_e32 0x80, v4
; %bb.12839:                            ;   in Loop: Header=BB6_12577 Depth=3
	s_xor_b32 s16, exec_lo, -1
; %bb.12840:                            ;   in Loop: Header=BB6_12577 Depth=3
	s_or_b32 exec_lo, exec_lo, s73
	s_and_b32 s16, s16, exec_lo
                                        ; implicit-def: $vgpr4
	s_or_saveexec_b32 s72, s72
	v_mov_b32_e32 v1, 0x7f800001
	s_xor_b32 exec_lo, exec_lo, s72
	s_cbranch_execnz .LBB6_14796
.LBB6_12841:                            ;   in Loop: Header=BB6_12577 Depth=3
	s_or_b32 exec_lo, exec_lo, s72
	s_and_saveexec_b32 s72, s16
	s_cbranch_execz .LBB6_12843
.LBB6_12842:                            ;   in Loop: Header=BB6_12577 Depth=3
	v_bfe_u32 v1, v8, 16, 2
	v_bfe_u32 v6, v8, 18, 5
	v_lshlrev_b32_e32 v7, 8, v8
	v_ffbh_u32_e32 v4, v1
	v_cmp_eq_u32_e32 vcc_lo, 0, v6
	v_min_u32_e32 v4, 32, v4
	v_subrev_nc_u32_e32 v5, 29, v4
	v_sub_nc_u32_e32 v4, 30, v4
	v_lshlrev_b32_sdwa v5, v5, v8 dst_sel:DWORD dst_unused:UNUSED_PAD src0_sel:DWORD src1_sel:WORD_1
	v_cndmask_b32_e32 v4, v6, v4, vcc_lo
	v_and_b32_e32 v5, 3, v5
	v_lshl_add_u32 v4, v4, 23, 0x37800000
	v_cndmask_b32_e32 v1, v1, v5, vcc_lo
	v_and_b32_e32 v5, 0x80000000, v7
	v_lshlrev_b32_e32 v1, 21, v1
	v_or3_b32 v1, v5, v4, v1
.LBB6_12843:                            ;   in Loop: Header=BB6_12577 Depth=3
	s_or_b32 exec_lo, exec_lo, s72
	v_mul_f32_e32 v1, s23, v1
	v_mov_b32_e32 v72, 0x80
	s_mov_b32 s72, exec_lo
	v_and_b32_e32 v4, 0x7f800000, v1
	v_cmpx_ne_u32_e32 0x7f800000, v4
	s_cbranch_execz .LBB6_12851
; %bb.12844:                            ;   in Loop: Header=BB6_12577 Depth=3
	v_mov_b32_e32 v72, 0
	s_mov_b32 s73, exec_lo
	v_cmpx_ne_u32_e32 0, v1
	s_cbranch_execz .LBB6_12850
; %bb.12845:                            ;   in Loop: Header=BB6_12577 Depth=3
	v_bfe_u32 v4, v1, 23, 8
	v_and_b32_e32 v5, 0x7fffff, v1
	v_sub_nc_u32_e32 v6, 0x70, v4
	v_cmp_gt_u32_e32 vcc_lo, 0x71, v4
	v_or_b32_e32 v7, 0x800000, v5
	v_cndmask_b32_e32 v6, 0, v6, vcc_lo
	v_cmp_eq_u32_e32 vcc_lo, 0, v4
	v_add_nc_u32_e32 v4, 0xffffff91, v4
	v_cndmask_b32_e64 v6, v6, 0x6f, vcc_lo
	v_cndmask_b32_e32 v5, v7, v5, vcc_lo
	v_cndmask_b32_e64 v4, v4, 0xffffff92, vcc_lo
	v_lshl_add_u32 v7, 0x200000, v6, -1
	v_lshrrev_b32_e32 v14, v6, v5
	v_lshlrev_b32_e64 v16, v6, 0x100000
	v_add_nc_u32_e32 v6, v6, v4
	v_and_b32_e32 v5, v7, v5
	v_bfe_u32 v15, v14, 21, 1
	v_cmp_eq_u32_e64 s16, v5, v16
	v_add_nc_u32_e32 v7, -1, v15
	v_cndmask_b32_e64 v5, 0, v7, s16
	v_lshrrev_b32_e32 v7, 23, v14
	s_mov_b32 s16, exec_lo
	v_add_nc_u32_e32 v5, v5, v14
	v_xor_b32_e32 v7, 1, v7
	v_and_b32_e32 v4, 0x1fffff, v5
	v_add_nc_u32_e32 v5, v4, v14
                                        ; implicit-def: $vgpr4
	v_cmpx_ne_u32_e64 v6, v7
	s_xor_b32 s16, exec_lo, s16
; %bb.12846:                            ;   in Loop: Header=BB6_12577 Depth=3
	v_cmp_lt_u32_e32 vcc_lo, 0xffffff, v5
	v_sub_nc_u32_e32 v4, v6, v7
	v_cndmask_b32_e64 v6, 0, 1, vcc_lo
	v_add_co_ci_u32_e64 v4, null, 0, v4, vcc_lo
	v_lshrrev_b32_e32 v5, v6, v5
; %bb.12847:                            ;   in Loop: Header=BB6_12577 Depth=3
	s_andn2_saveexec_b32 s16, s16
; %bb.12848:                            ;   in Loop: Header=BB6_12577 Depth=3
	v_bfe_u32 v4, v5, 23, 1
; %bb.12849:                            ;   in Loop: Header=BB6_12577 Depth=3
	s_or_b32 exec_lo, exec_lo, s16
	v_lshrrev_b32_e32 v5, 21, v5
	v_min_i32_e32 v6, 31, v4
	v_cmp_gt_i32_e32 vcc_lo, 32, v4
	v_and_b32_sdwa v1, v1, v117 dst_sel:DWORD dst_unused:UNUSED_PAD src0_sel:BYTE_3 src1_sel:DWORD
	v_lshlrev_b32_e32 v6, 2, v6
	v_cndmask_b32_e32 v5, 3, v5, vcc_lo
	v_and_b32_e32 v6, 0xfc, v6
	v_and_b32_e32 v7, 3, v5
	v_or_b32_e32 v4, v4, v5
	v_or3_b32 v1, v6, v1, v7
	v_cmp_ne_u32_e32 vcc_lo, 0, v4
	v_cndmask_b32_e32 v72, 0, v1, vcc_lo
.LBB6_12850:                            ;   in Loop: Header=BB6_12577 Depth=3
	s_or_b32 exec_lo, exec_lo, s73
.LBB6_12851:                            ;   in Loop: Header=BB6_12577 Depth=3
	s_or_b32 exec_lo, exec_lo, s72
	v_cmp_gt_i16_sdwa s72, v8, v116 src0_sel:BYTE_3 src1_sel:DWORD
	s_mov_b32 s16, 0
	s_and_saveexec_b32 s73, s72
	s_xor_b32 s72, exec_lo, s73
	s_cbranch_execz .LBB6_14797
; %bb.12852:                            ;   in Loop: Header=BB6_12577 Depth=3
	v_cmp_eq_u16_sdwa s74, v8, v117 src0_sel:BYTE_3 src1_sel:DWORD
	s_mov_b32 s16, -1
	s_and_saveexec_b32 s73, s74
; %bb.12853:                            ;   in Loop: Header=BB6_12577 Depth=3
	s_xor_b32 s16, exec_lo, -1
; %bb.12854:                            ;   in Loop: Header=BB6_12577 Depth=3
	s_or_b32 exec_lo, exec_lo, s73
	s_and_b32 s16, s16, exec_lo
	s_or_saveexec_b32 s72, s72
	v_mov_b32_e32 v1, 0x7f800001
	s_xor_b32 exec_lo, exec_lo, s72
	s_cbranch_execnz .LBB6_14798
.LBB6_12855:                            ;   in Loop: Header=BB6_12577 Depth=3
	s_or_b32 exec_lo, exec_lo, s72
	s_and_saveexec_b32 s72, s16
	s_cbranch_execz .LBB6_12857
.LBB6_12856:                            ;   in Loop: Header=BB6_12577 Depth=3
	v_bfe_u32 v1, v8, 24, 2
	v_bfe_u32 v6, v8, 26, 5
	v_ffbh_u32_e32 v4, v1
	v_cmp_eq_u32_e32 vcc_lo, 0, v6
	v_min_u32_e32 v4, 32, v4
	v_subrev_nc_u32_e32 v5, 29, v4
	v_sub_nc_u32_e32 v4, 30, v4
	v_lshlrev_b32_sdwa v5, v5, v8 dst_sel:DWORD dst_unused:UNUSED_PAD src0_sel:DWORD src1_sel:BYTE_3
	v_cndmask_b32_e32 v4, v6, v4, vcc_lo
	v_and_b32_e32 v5, 3, v5
	v_lshl_add_u32 v4, v4, 23, 0x37800000
	v_cndmask_b32_e32 v1, v1, v5, vcc_lo
	v_and_b32_e32 v5, 0x80000000, v8
	v_lshlrev_b32_e32 v1, 21, v1
	v_or3_b32 v1, v5, v4, v1
.LBB6_12857:                            ;   in Loop: Header=BB6_12577 Depth=3
	s_or_b32 exec_lo, exec_lo, s72
	v_mul_f32_e32 v1, s23, v1
	v_mov_b32_e32 v73, 0x8000
	s_mov_b32 s72, exec_lo
	v_and_b32_e32 v4, 0x7f800000, v1
	v_cmpx_ne_u32_e32 0x7f800000, v4
	s_cbranch_execz .LBB6_12865
; %bb.12858:                            ;   in Loop: Header=BB6_12577 Depth=3
	v_mov_b32_e32 v73, 0
	s_mov_b32 s73, exec_lo
	v_cmpx_ne_u32_e32 0, v1
	s_cbranch_execz .LBB6_12864
; %bb.12859:                            ;   in Loop: Header=BB6_12577 Depth=3
	v_bfe_u32 v4, v1, 23, 8
	v_and_b32_e32 v5, 0x7fffff, v1
	v_sub_nc_u32_e32 v6, 0x70, v4
	v_cmp_gt_u32_e32 vcc_lo, 0x71, v4
	v_or_b32_e32 v7, 0x800000, v5
	v_cndmask_b32_e32 v6, 0, v6, vcc_lo
	v_cmp_eq_u32_e32 vcc_lo, 0, v4
	v_add_nc_u32_e32 v4, 0xffffff91, v4
	v_cndmask_b32_e64 v6, v6, 0x6f, vcc_lo
	v_cndmask_b32_e32 v5, v7, v5, vcc_lo
	v_cndmask_b32_e64 v4, v4, 0xffffff92, vcc_lo
	v_lshl_add_u32 v7, 0x200000, v6, -1
	v_lshrrev_b32_e32 v8, v6, v5
	v_lshlrev_b32_e64 v15, v6, 0x100000
	v_add_nc_u32_e32 v6, v6, v4
	v_and_b32_e32 v5, v7, v5
	v_bfe_u32 v14, v8, 21, 1
	v_cmp_eq_u32_e64 s16, v5, v15
	v_add_nc_u32_e32 v7, -1, v14
	v_cndmask_b32_e64 v5, 0, v7, s16
	v_lshrrev_b32_e32 v7, 23, v8
	s_mov_b32 s16, exec_lo
	v_add_nc_u32_e32 v5, v5, v8
	v_xor_b32_e32 v7, 1, v7
	v_and_b32_e32 v4, 0x1fffff, v5
	v_add_nc_u32_e32 v5, v4, v8
                                        ; implicit-def: $vgpr4
	v_cmpx_ne_u32_e64 v6, v7
	s_xor_b32 s16, exec_lo, s16
; %bb.12860:                            ;   in Loop: Header=BB6_12577 Depth=3
	v_cmp_lt_u32_e32 vcc_lo, 0xffffff, v5
	v_sub_nc_u32_e32 v4, v6, v7
	v_cndmask_b32_e64 v6, 0, 1, vcc_lo
	v_add_co_ci_u32_e64 v4, null, 0, v4, vcc_lo
	v_lshrrev_b32_e32 v5, v6, v5
; %bb.12861:                            ;   in Loop: Header=BB6_12577 Depth=3
	s_andn2_saveexec_b32 s16, s16
; %bb.12862:                            ;   in Loop: Header=BB6_12577 Depth=3
	v_bfe_u32 v4, v5, 23, 1
; %bb.12863:                            ;   in Loop: Header=BB6_12577 Depth=3
	s_or_b32 exec_lo, exec_lo, s16
	v_lshrrev_b32_e32 v5, 21, v5
	v_min_i32_e32 v6, 31, v4
	v_cmp_gt_i32_e32 vcc_lo, 32, v4
	v_and_b32_sdwa v1, v1, v117 dst_sel:DWORD dst_unused:UNUSED_PAD src0_sel:BYTE_3 src1_sel:DWORD
	v_lshlrev_b32_e32 v6, 2, v6
	v_cndmask_b32_e32 v5, 3, v5, vcc_lo
	v_and_b32_e32 v6, 0xfc, v6
	v_and_b32_e32 v7, 3, v5
	v_or_b32_e32 v4, v4, v5
	v_or3_b32 v1, v1, v6, v7
	v_cmp_ne_u32_e32 vcc_lo, 0, v4
	v_lshlrev_b32_e32 v1, 8, v1
	v_cndmask_b32_e32 v73, 0, v1, vcc_lo
.LBB6_12864:                            ;   in Loop: Header=BB6_12577 Depth=3
	s_or_b32 exec_lo, exec_lo, s73
.LBB6_12865:                            ;   in Loop: Header=BB6_12577 Depth=3
	s_or_b32 exec_lo, exec_lo, s72
	v_cmp_gt_i16_sdwa s72, v9, v116 src0_sel:BYTE_0 src1_sel:DWORD
	s_mov_b32 s16, 0
	s_and_saveexec_b32 s73, s72
	s_xor_b32 s72, exec_lo, s73
	s_cbranch_execz .LBB6_14799
; %bb.12866:                            ;   in Loop: Header=BB6_12577 Depth=3
	v_cmp_eq_u16_sdwa s74, v9, v117 src0_sel:BYTE_0 src1_sel:DWORD
	s_mov_b32 s16, -1
	s_and_saveexec_b32 s73, s74
; %bb.12867:                            ;   in Loop: Header=BB6_12577 Depth=3
	s_xor_b32 s16, exec_lo, -1
; %bb.12868:                            ;   in Loop: Header=BB6_12577 Depth=3
	s_or_b32 exec_lo, exec_lo, s73
	s_and_b32 s16, s16, exec_lo
	s_or_saveexec_b32 s72, s72
	v_mov_b32_e32 v1, 0x7f800001
	s_xor_b32 exec_lo, exec_lo, s72
	s_cbranch_execnz .LBB6_14800
.LBB6_12869:                            ;   in Loop: Header=BB6_12577 Depth=3
	s_or_b32 exec_lo, exec_lo, s72
	s_and_saveexec_b32 s72, s16
	s_cbranch_execz .LBB6_12871
.LBB6_12870:                            ;   in Loop: Header=BB6_12577 Depth=3
	v_and_b32_e32 v1, 3, v9
	v_bfe_u32 v6, v9, 2, 5
	v_lshlrev_b32_e32 v7, 24, v9
	v_ffbh_u32_e32 v4, v1
	v_cmp_eq_u32_e32 vcc_lo, 0, v6
	v_min_u32_e32 v4, 32, v4
	v_subrev_nc_u32_e32 v5, 29, v4
	v_sub_nc_u32_e32 v4, 30, v4
	v_lshlrev_b32_e32 v5, v5, v9
	v_cndmask_b32_e32 v4, v6, v4, vcc_lo
	v_and_b32_e32 v5, 3, v5
	v_lshl_add_u32 v4, v4, 23, 0x37800000
	v_cndmask_b32_e32 v1, v1, v5, vcc_lo
	v_and_b32_e32 v5, 0x80000000, v7
	v_lshlrev_b32_e32 v1, 21, v1
	v_or3_b32 v1, v5, v4, v1
.LBB6_12871:                            ;   in Loop: Header=BB6_12577 Depth=3
	s_or_b32 exec_lo, exec_lo, s72
	v_mul_f32_e32 v1, s23, v1
	v_mov_b32_e32 v55, 0x80
	s_mov_b32 s72, exec_lo
	v_and_b32_e32 v4, 0x7f800000, v1
	v_cmpx_ne_u32_e32 0x7f800000, v4
	s_cbranch_execz .LBB6_12879
; %bb.12872:                            ;   in Loop: Header=BB6_12577 Depth=3
	v_mov_b32_e32 v55, 0
	s_mov_b32 s73, exec_lo
	v_cmpx_ne_u32_e32 0, v1
	s_cbranch_execz .LBB6_12878
; %bb.12873:                            ;   in Loop: Header=BB6_12577 Depth=3
	v_bfe_u32 v4, v1, 23, 8
	v_and_b32_e32 v5, 0x7fffff, v1
	v_sub_nc_u32_e32 v6, 0x70, v4
	v_cmp_gt_u32_e32 vcc_lo, 0x71, v4
	v_or_b32_e32 v7, 0x800000, v5
	v_cndmask_b32_e32 v6, 0, v6, vcc_lo
	v_cmp_eq_u32_e32 vcc_lo, 0, v4
	v_add_nc_u32_e32 v4, 0xffffff91, v4
	v_cndmask_b32_e64 v6, v6, 0x6f, vcc_lo
	v_cndmask_b32_e32 v5, v7, v5, vcc_lo
	v_cndmask_b32_e64 v4, v4, 0xffffff92, vcc_lo
	v_lshl_add_u32 v7, 0x200000, v6, -1
	v_lshrrev_b32_e32 v8, v6, v5
	v_lshlrev_b32_e64 v15, v6, 0x100000
	v_add_nc_u32_e32 v6, v6, v4
	v_and_b32_e32 v5, v7, v5
	v_bfe_u32 v14, v8, 21, 1
	v_cmp_eq_u32_e64 s16, v5, v15
	v_add_nc_u32_e32 v7, -1, v14
	v_cndmask_b32_e64 v5, 0, v7, s16
	v_lshrrev_b32_e32 v7, 23, v8
	s_mov_b32 s16, exec_lo
	v_add_nc_u32_e32 v5, v5, v8
	v_xor_b32_e32 v7, 1, v7
	v_and_b32_e32 v4, 0x1fffff, v5
	v_add_nc_u32_e32 v5, v4, v8
                                        ; implicit-def: $vgpr4
	v_cmpx_ne_u32_e64 v6, v7
	s_xor_b32 s16, exec_lo, s16
; %bb.12874:                            ;   in Loop: Header=BB6_12577 Depth=3
	v_cmp_lt_u32_e32 vcc_lo, 0xffffff, v5
	v_sub_nc_u32_e32 v4, v6, v7
	v_cndmask_b32_e64 v6, 0, 1, vcc_lo
	v_add_co_ci_u32_e64 v4, null, 0, v4, vcc_lo
	v_lshrrev_b32_e32 v5, v6, v5
; %bb.12875:                            ;   in Loop: Header=BB6_12577 Depth=3
	s_andn2_saveexec_b32 s16, s16
; %bb.12876:                            ;   in Loop: Header=BB6_12577 Depth=3
	v_bfe_u32 v4, v5, 23, 1
; %bb.12877:                            ;   in Loop: Header=BB6_12577 Depth=3
	s_or_b32 exec_lo, exec_lo, s16
	v_lshrrev_b32_e32 v5, 21, v5
	v_min_i32_e32 v6, 31, v4
	v_cmp_gt_i32_e32 vcc_lo, 32, v4
	v_and_b32_sdwa v1, v1, v117 dst_sel:DWORD dst_unused:UNUSED_PAD src0_sel:BYTE_3 src1_sel:DWORD
	v_lshlrev_b32_e32 v6, 2, v6
	v_cndmask_b32_e32 v5, 3, v5, vcc_lo
	v_and_b32_e32 v6, 0xfc, v6
	v_and_b32_e32 v7, 3, v5
	v_or_b32_e32 v4, v4, v5
	v_or3_b32 v1, v6, v1, v7
	v_cmp_ne_u32_e32 vcc_lo, 0, v4
	v_cndmask_b32_e32 v55, 0, v1, vcc_lo
.LBB6_12878:                            ;   in Loop: Header=BB6_12577 Depth=3
	s_or_b32 exec_lo, exec_lo, s73
.LBB6_12879:                            ;   in Loop: Header=BB6_12577 Depth=3
	s_or_b32 exec_lo, exec_lo, s72
	v_cmp_gt_i16_sdwa s72, v9, v116 src0_sel:BYTE_1 src1_sel:DWORD
	s_mov_b32 s16, 0
	s_and_saveexec_b32 s73, s72
	s_xor_b32 s72, exec_lo, s73
	s_cbranch_execz .LBB6_14801
; %bb.12880:                            ;   in Loop: Header=BB6_12577 Depth=3
	v_cmp_eq_u16_sdwa s74, v9, v117 src0_sel:BYTE_1 src1_sel:DWORD
	s_mov_b32 s16, -1
	s_and_saveexec_b32 s73, s74
; %bb.12881:                            ;   in Loop: Header=BB6_12577 Depth=3
	s_xor_b32 s16, exec_lo, -1
; %bb.12882:                            ;   in Loop: Header=BB6_12577 Depth=3
	s_or_b32 exec_lo, exec_lo, s73
	s_and_b32 s16, s16, exec_lo
	s_or_saveexec_b32 s72, s72
	v_mov_b32_e32 v1, 0x7f800001
	s_xor_b32 exec_lo, exec_lo, s72
	s_cbranch_execnz .LBB6_14802
.LBB6_12883:                            ;   in Loop: Header=BB6_12577 Depth=3
	s_or_b32 exec_lo, exec_lo, s72
	s_and_saveexec_b32 s72, s16
	s_cbranch_execz .LBB6_12885
.LBB6_12884:                            ;   in Loop: Header=BB6_12577 Depth=3
	v_and_b32_sdwa v1, v118, v9 dst_sel:DWORD dst_unused:UNUSED_PAD src0_sel:DWORD src1_sel:BYTE_1
	v_and_b32_e32 v4, 3, v1
	v_bfe_u32 v7, v1, 2, 5
	v_ffbh_u32_e32 v5, v4
	v_cmp_eq_u32_e32 vcc_lo, 0, v7
	v_min_u32_e32 v5, 32, v5
	v_subrev_nc_u32_e32 v6, 29, v5
	v_sub_nc_u32_e32 v5, 30, v5
	v_lshlrev_b32_e32 v1, v6, v1
	v_lshlrev_b32_sdwa v6, v119, v9 dst_sel:DWORD dst_unused:UNUSED_PAD src0_sel:DWORD src1_sel:BYTE_1
	v_cndmask_b32_e32 v5, v7, v5, vcc_lo
	v_and_b32_e32 v1, 3, v1
	v_lshl_add_u32 v5, v5, 23, 0x37800000
	v_cndmask_b32_e32 v1, v4, v1, vcc_lo
	v_and_b32_e32 v4, 0x80000000, v6
	v_lshlrev_b32_e32 v1, 21, v1
	v_or3_b32 v1, v4, v5, v1
.LBB6_12885:                            ;   in Loop: Header=BB6_12577 Depth=3
	s_or_b32 exec_lo, exec_lo, s72
	v_mul_f32_e32 v1, s23, v1
	v_mov_b32_e32 v58, 0x8000
	s_mov_b32 s72, exec_lo
	v_and_b32_e32 v4, 0x7f800000, v1
	v_cmpx_ne_u32_e32 0x7f800000, v4
	s_cbranch_execz .LBB6_12893
; %bb.12886:                            ;   in Loop: Header=BB6_12577 Depth=3
	v_mov_b32_e32 v58, 0
	s_mov_b32 s73, exec_lo
	v_cmpx_ne_u32_e32 0, v1
	s_cbranch_execz .LBB6_12892
; %bb.12887:                            ;   in Loop: Header=BB6_12577 Depth=3
	v_bfe_u32 v4, v1, 23, 8
	v_and_b32_e32 v5, 0x7fffff, v1
	v_sub_nc_u32_e32 v6, 0x70, v4
	v_cmp_gt_u32_e32 vcc_lo, 0x71, v4
	v_or_b32_e32 v7, 0x800000, v5
	v_cndmask_b32_e32 v6, 0, v6, vcc_lo
	v_cmp_eq_u32_e32 vcc_lo, 0, v4
	v_add_nc_u32_e32 v4, 0xffffff91, v4
	v_cndmask_b32_e64 v6, v6, 0x6f, vcc_lo
	v_cndmask_b32_e32 v5, v7, v5, vcc_lo
	v_cndmask_b32_e64 v4, v4, 0xffffff92, vcc_lo
	v_lshl_add_u32 v7, 0x200000, v6, -1
	v_lshrrev_b32_e32 v8, v6, v5
	v_lshlrev_b32_e64 v15, v6, 0x100000
	v_add_nc_u32_e32 v6, v6, v4
	v_and_b32_e32 v5, v7, v5
	v_bfe_u32 v14, v8, 21, 1
	v_cmp_eq_u32_e64 s16, v5, v15
	v_add_nc_u32_e32 v7, -1, v14
	v_cndmask_b32_e64 v5, 0, v7, s16
	v_lshrrev_b32_e32 v7, 23, v8
	s_mov_b32 s16, exec_lo
	v_add_nc_u32_e32 v5, v5, v8
	v_xor_b32_e32 v7, 1, v7
	v_and_b32_e32 v4, 0x1fffff, v5
	v_add_nc_u32_e32 v5, v4, v8
                                        ; implicit-def: $vgpr4
	v_cmpx_ne_u32_e64 v6, v7
	s_xor_b32 s16, exec_lo, s16
; %bb.12888:                            ;   in Loop: Header=BB6_12577 Depth=3
	v_cmp_lt_u32_e32 vcc_lo, 0xffffff, v5
	v_sub_nc_u32_e32 v4, v6, v7
	v_cndmask_b32_e64 v6, 0, 1, vcc_lo
	v_add_co_ci_u32_e64 v4, null, 0, v4, vcc_lo
	v_lshrrev_b32_e32 v5, v6, v5
; %bb.12889:                            ;   in Loop: Header=BB6_12577 Depth=3
	s_andn2_saveexec_b32 s16, s16
; %bb.12890:                            ;   in Loop: Header=BB6_12577 Depth=3
	v_bfe_u32 v4, v5, 23, 1
; %bb.12891:                            ;   in Loop: Header=BB6_12577 Depth=3
	s_or_b32 exec_lo, exec_lo, s16
	v_lshrrev_b32_e32 v5, 21, v5
	v_min_i32_e32 v6, 31, v4
	v_cmp_gt_i32_e32 vcc_lo, 32, v4
	v_and_b32_sdwa v1, v1, v117 dst_sel:DWORD dst_unused:UNUSED_PAD src0_sel:BYTE_3 src1_sel:DWORD
	v_lshlrev_b32_e32 v6, 2, v6
	v_cndmask_b32_e32 v5, 3, v5, vcc_lo
	v_and_b32_e32 v6, 0xfc, v6
	v_and_b32_e32 v7, 3, v5
	v_or_b32_e32 v4, v4, v5
	v_or3_b32 v1, v1, v6, v7
	v_cmp_ne_u32_e32 vcc_lo, 0, v4
	v_lshlrev_b32_e32 v1, 8, v1
	v_cndmask_b32_e32 v58, 0, v1, vcc_lo
.LBB6_12892:                            ;   in Loop: Header=BB6_12577 Depth=3
	s_or_b32 exec_lo, exec_lo, s73
.LBB6_12893:                            ;   in Loop: Header=BB6_12577 Depth=3
	s_or_b32 exec_lo, exec_lo, s72
	v_and_b32_sdwa v4, v9, v40 dst_sel:DWORD dst_unused:UNUSED_PAD src0_sel:WORD_1 src1_sel:DWORD
	s_mov_b32 s16, 0
	s_mov_b32 s72, exec_lo
	v_cmpx_lt_i16_e32 0x7f, v4
	s_xor_b32 s72, exec_lo, s72
	s_cbranch_execz .LBB6_14803
; %bb.12894:                            ;   in Loop: Header=BB6_12577 Depth=3
	s_mov_b32 s16, -1
	s_mov_b32 s73, exec_lo
	v_cmpx_eq_u16_e32 0x80, v4
; %bb.12895:                            ;   in Loop: Header=BB6_12577 Depth=3
	s_xor_b32 s16, exec_lo, -1
; %bb.12896:                            ;   in Loop: Header=BB6_12577 Depth=3
	s_or_b32 exec_lo, exec_lo, s73
	s_and_b32 s16, s16, exec_lo
                                        ; implicit-def: $vgpr4
	s_or_saveexec_b32 s72, s72
	v_mov_b32_e32 v1, 0x7f800001
	s_xor_b32 exec_lo, exec_lo, s72
	s_cbranch_execnz .LBB6_14804
.LBB6_12897:                            ;   in Loop: Header=BB6_12577 Depth=3
	s_or_b32 exec_lo, exec_lo, s72
	s_and_saveexec_b32 s72, s16
	s_cbranch_execz .LBB6_12899
.LBB6_12898:                            ;   in Loop: Header=BB6_12577 Depth=3
	v_bfe_u32 v1, v9, 16, 2
	v_bfe_u32 v6, v9, 18, 5
	v_lshlrev_b32_e32 v7, 8, v9
	v_ffbh_u32_e32 v4, v1
	v_cmp_eq_u32_e32 vcc_lo, 0, v6
	v_min_u32_e32 v4, 32, v4
	v_subrev_nc_u32_e32 v5, 29, v4
	v_sub_nc_u32_e32 v4, 30, v4
	v_lshlrev_b32_sdwa v5, v5, v9 dst_sel:DWORD dst_unused:UNUSED_PAD src0_sel:DWORD src1_sel:WORD_1
	v_cndmask_b32_e32 v4, v6, v4, vcc_lo
	v_and_b32_e32 v5, 3, v5
	v_lshl_add_u32 v4, v4, 23, 0x37800000
	v_cndmask_b32_e32 v1, v1, v5, vcc_lo
	v_and_b32_e32 v5, 0x80000000, v7
	v_lshlrev_b32_e32 v1, 21, v1
	v_or3_b32 v1, v5, v4, v1
.LBB6_12899:                            ;   in Loop: Header=BB6_12577 Depth=3
	s_or_b32 exec_lo, exec_lo, s72
	v_mul_f32_e32 v1, s23, v1
	v_mov_b32_e32 v57, 0x80
	s_mov_b32 s72, exec_lo
	v_and_b32_e32 v4, 0x7f800000, v1
	v_cmpx_ne_u32_e32 0x7f800000, v4
	s_cbranch_execz .LBB6_12907
; %bb.12900:                            ;   in Loop: Header=BB6_12577 Depth=3
	v_mov_b32_e32 v57, 0
	s_mov_b32 s73, exec_lo
	v_cmpx_ne_u32_e32 0, v1
	s_cbranch_execz .LBB6_12906
; %bb.12901:                            ;   in Loop: Header=BB6_12577 Depth=3
	v_bfe_u32 v4, v1, 23, 8
	v_and_b32_e32 v5, 0x7fffff, v1
	v_sub_nc_u32_e32 v6, 0x70, v4
	v_cmp_gt_u32_e32 vcc_lo, 0x71, v4
	v_or_b32_e32 v7, 0x800000, v5
	v_cndmask_b32_e32 v6, 0, v6, vcc_lo
	v_cmp_eq_u32_e32 vcc_lo, 0, v4
	v_add_nc_u32_e32 v4, 0xffffff91, v4
	v_cndmask_b32_e64 v6, v6, 0x6f, vcc_lo
	v_cndmask_b32_e32 v5, v7, v5, vcc_lo
	v_cndmask_b32_e64 v4, v4, 0xffffff92, vcc_lo
	v_lshl_add_u32 v7, 0x200000, v6, -1
	v_lshrrev_b32_e32 v8, v6, v5
	v_lshlrev_b32_e64 v15, v6, 0x100000
	v_add_nc_u32_e32 v6, v6, v4
	v_and_b32_e32 v5, v7, v5
	v_bfe_u32 v14, v8, 21, 1
	v_cmp_eq_u32_e64 s16, v5, v15
	v_add_nc_u32_e32 v7, -1, v14
	v_cndmask_b32_e64 v5, 0, v7, s16
	v_lshrrev_b32_e32 v7, 23, v8
	s_mov_b32 s16, exec_lo
	v_add_nc_u32_e32 v5, v5, v8
	v_xor_b32_e32 v7, 1, v7
	v_and_b32_e32 v4, 0x1fffff, v5
	v_add_nc_u32_e32 v5, v4, v8
                                        ; implicit-def: $vgpr4
	v_cmpx_ne_u32_e64 v6, v7
	s_xor_b32 s16, exec_lo, s16
; %bb.12902:                            ;   in Loop: Header=BB6_12577 Depth=3
	v_cmp_lt_u32_e32 vcc_lo, 0xffffff, v5
	v_sub_nc_u32_e32 v4, v6, v7
	v_cndmask_b32_e64 v6, 0, 1, vcc_lo
	v_add_co_ci_u32_e64 v4, null, 0, v4, vcc_lo
	v_lshrrev_b32_e32 v5, v6, v5
; %bb.12903:                            ;   in Loop: Header=BB6_12577 Depth=3
	s_andn2_saveexec_b32 s16, s16
; %bb.12904:                            ;   in Loop: Header=BB6_12577 Depth=3
	v_bfe_u32 v4, v5, 23, 1
; %bb.12905:                            ;   in Loop: Header=BB6_12577 Depth=3
	s_or_b32 exec_lo, exec_lo, s16
	v_lshrrev_b32_e32 v5, 21, v5
	v_min_i32_e32 v6, 31, v4
	v_cmp_gt_i32_e32 vcc_lo, 32, v4
	v_and_b32_sdwa v1, v1, v117 dst_sel:DWORD dst_unused:UNUSED_PAD src0_sel:BYTE_3 src1_sel:DWORD
	v_lshlrev_b32_e32 v6, 2, v6
	v_cndmask_b32_e32 v5, 3, v5, vcc_lo
	v_and_b32_e32 v6, 0xfc, v6
	v_and_b32_e32 v7, 3, v5
	v_or_b32_e32 v4, v4, v5
	v_or3_b32 v1, v6, v1, v7
	v_cmp_ne_u32_e32 vcc_lo, 0, v4
	v_cndmask_b32_e32 v57, 0, v1, vcc_lo
.LBB6_12906:                            ;   in Loop: Header=BB6_12577 Depth=3
	s_or_b32 exec_lo, exec_lo, s73
.LBB6_12907:                            ;   in Loop: Header=BB6_12577 Depth=3
	s_or_b32 exec_lo, exec_lo, s72
	v_cmp_gt_i16_sdwa s72, v9, v116 src0_sel:BYTE_3 src1_sel:DWORD
	s_mov_b32 s16, 0
	s_and_saveexec_b32 s73, s72
	s_xor_b32 s72, exec_lo, s73
	s_cbranch_execz .LBB6_14805
; %bb.12908:                            ;   in Loop: Header=BB6_12577 Depth=3
	v_cmp_eq_u16_sdwa s74, v9, v117 src0_sel:BYTE_3 src1_sel:DWORD
	s_mov_b32 s16, -1
	s_and_saveexec_b32 s73, s74
; %bb.12909:                            ;   in Loop: Header=BB6_12577 Depth=3
	s_xor_b32 s16, exec_lo, -1
; %bb.12910:                            ;   in Loop: Header=BB6_12577 Depth=3
	s_or_b32 exec_lo, exec_lo, s73
	s_and_b32 s16, s16, exec_lo
	s_or_saveexec_b32 s72, s72
	v_mov_b32_e32 v1, 0x7f800001
	s_xor_b32 exec_lo, exec_lo, s72
	s_cbranch_execnz .LBB6_14806
.LBB6_12911:                            ;   in Loop: Header=BB6_12577 Depth=3
	s_or_b32 exec_lo, exec_lo, s72
	s_and_saveexec_b32 s72, s16
	s_cbranch_execz .LBB6_12913
.LBB6_12912:                            ;   in Loop: Header=BB6_12577 Depth=3
	v_bfe_u32 v1, v9, 24, 2
	v_bfe_u32 v6, v9, 26, 5
	v_ffbh_u32_e32 v4, v1
	v_cmp_eq_u32_e32 vcc_lo, 0, v6
	v_min_u32_e32 v4, 32, v4
	v_subrev_nc_u32_e32 v5, 29, v4
	v_sub_nc_u32_e32 v4, 30, v4
	v_lshlrev_b32_sdwa v5, v5, v9 dst_sel:DWORD dst_unused:UNUSED_PAD src0_sel:DWORD src1_sel:BYTE_3
	v_cndmask_b32_e32 v4, v6, v4, vcc_lo
	v_and_b32_e32 v5, 3, v5
	v_lshl_add_u32 v4, v4, 23, 0x37800000
	v_cndmask_b32_e32 v1, v1, v5, vcc_lo
	v_and_b32_e32 v5, 0x80000000, v9
	v_lshlrev_b32_e32 v1, 21, v1
	v_or3_b32 v1, v5, v4, v1
.LBB6_12913:                            ;   in Loop: Header=BB6_12577 Depth=3
	s_or_b32 exec_lo, exec_lo, s72
	v_mul_f32_e32 v1, s23, v1
	v_mov_b32_e32 v54, 0x8000
	s_mov_b32 s72, exec_lo
	v_and_b32_e32 v4, 0x7f800000, v1
	v_cmpx_ne_u32_e32 0x7f800000, v4
	s_cbranch_execz .LBB6_12921
; %bb.12914:                            ;   in Loop: Header=BB6_12577 Depth=3
	v_mov_b32_e32 v54, 0
	s_mov_b32 s73, exec_lo
	v_cmpx_ne_u32_e32 0, v1
	s_cbranch_execz .LBB6_12920
; %bb.12915:                            ;   in Loop: Header=BB6_12577 Depth=3
	v_bfe_u32 v4, v1, 23, 8
	v_and_b32_e32 v5, 0x7fffff, v1
	v_sub_nc_u32_e32 v6, 0x70, v4
	v_cmp_gt_u32_e32 vcc_lo, 0x71, v4
	v_or_b32_e32 v7, 0x800000, v5
	v_cndmask_b32_e32 v6, 0, v6, vcc_lo
	v_cmp_eq_u32_e32 vcc_lo, 0, v4
	v_add_nc_u32_e32 v4, 0xffffff91, v4
	v_cndmask_b32_e64 v6, v6, 0x6f, vcc_lo
	v_cndmask_b32_e32 v5, v7, v5, vcc_lo
	v_cndmask_b32_e64 v4, v4, 0xffffff92, vcc_lo
	v_lshl_add_u32 v7, 0x200000, v6, -1
	v_lshrrev_b32_e32 v8, v6, v5
	v_lshlrev_b32_e64 v14, v6, 0x100000
	v_add_nc_u32_e32 v6, v6, v4
	v_and_b32_e32 v5, v7, v5
	v_bfe_u32 v9, v8, 21, 1
	v_cmp_eq_u32_e64 s16, v5, v14
	v_add_nc_u32_e32 v7, -1, v9
	v_cndmask_b32_e64 v5, 0, v7, s16
	v_lshrrev_b32_e32 v7, 23, v8
	s_mov_b32 s16, exec_lo
	v_add_nc_u32_e32 v5, v5, v8
	v_xor_b32_e32 v7, 1, v7
	v_and_b32_e32 v4, 0x1fffff, v5
	v_add_nc_u32_e32 v5, v4, v8
                                        ; implicit-def: $vgpr4
	v_cmpx_ne_u32_e64 v6, v7
	s_xor_b32 s16, exec_lo, s16
; %bb.12916:                            ;   in Loop: Header=BB6_12577 Depth=3
	v_cmp_lt_u32_e32 vcc_lo, 0xffffff, v5
	v_sub_nc_u32_e32 v4, v6, v7
	v_cndmask_b32_e64 v6, 0, 1, vcc_lo
	v_add_co_ci_u32_e64 v4, null, 0, v4, vcc_lo
	v_lshrrev_b32_e32 v5, v6, v5
; %bb.12917:                            ;   in Loop: Header=BB6_12577 Depth=3
	s_andn2_saveexec_b32 s16, s16
; %bb.12918:                            ;   in Loop: Header=BB6_12577 Depth=3
	v_bfe_u32 v4, v5, 23, 1
; %bb.12919:                            ;   in Loop: Header=BB6_12577 Depth=3
	s_or_b32 exec_lo, exec_lo, s16
	v_lshrrev_b32_e32 v5, 21, v5
	v_min_i32_e32 v6, 31, v4
	v_cmp_gt_i32_e32 vcc_lo, 32, v4
	v_and_b32_sdwa v1, v1, v117 dst_sel:DWORD dst_unused:UNUSED_PAD src0_sel:BYTE_3 src1_sel:DWORD
	v_lshlrev_b32_e32 v6, 2, v6
	v_cndmask_b32_e32 v5, 3, v5, vcc_lo
	v_and_b32_e32 v6, 0xfc, v6
	v_and_b32_e32 v7, 3, v5
	v_or_b32_e32 v4, v4, v5
	v_or3_b32 v1, v1, v6, v7
	v_cmp_ne_u32_e32 vcc_lo, 0, v4
	v_lshlrev_b32_e32 v1, 8, v1
	v_cndmask_b32_e32 v54, 0, v1, vcc_lo
.LBB6_12920:                            ;   in Loop: Header=BB6_12577 Depth=3
	s_or_b32 exec_lo, exec_lo, s73
.LBB6_12921:                            ;   in Loop: Header=BB6_12577 Depth=3
	s_or_b32 exec_lo, exec_lo, s72
	v_cmp_gt_i16_sdwa s72, v10, v116 src0_sel:BYTE_0 src1_sel:DWORD
	s_mov_b32 s16, 0
	s_and_saveexec_b32 s73, s72
	s_xor_b32 s72, exec_lo, s73
	s_cbranch_execz .LBB6_14807
; %bb.12922:                            ;   in Loop: Header=BB6_12577 Depth=3
	v_cmp_eq_u16_sdwa s74, v10, v117 src0_sel:BYTE_0 src1_sel:DWORD
	s_mov_b32 s16, -1
	s_and_saveexec_b32 s73, s74
; %bb.12923:                            ;   in Loop: Header=BB6_12577 Depth=3
	s_xor_b32 s16, exec_lo, -1
; %bb.12924:                            ;   in Loop: Header=BB6_12577 Depth=3
	s_or_b32 exec_lo, exec_lo, s73
	s_and_b32 s16, s16, exec_lo
	s_or_saveexec_b32 s72, s72
	v_mov_b32_e32 v1, 0x7f800001
	s_xor_b32 exec_lo, exec_lo, s72
	s_cbranch_execnz .LBB6_14808
.LBB6_12925:                            ;   in Loop: Header=BB6_12577 Depth=3
	s_or_b32 exec_lo, exec_lo, s72
	s_and_saveexec_b32 s72, s16
	s_cbranch_execz .LBB6_12927
.LBB6_12926:                            ;   in Loop: Header=BB6_12577 Depth=3
	v_and_b32_e32 v1, 3, v10
	v_bfe_u32 v6, v10, 2, 5
	v_lshlrev_b32_e32 v7, 24, v10
	v_ffbh_u32_e32 v4, v1
	v_cmp_eq_u32_e32 vcc_lo, 0, v6
	v_min_u32_e32 v4, 32, v4
	v_subrev_nc_u32_e32 v5, 29, v4
	v_sub_nc_u32_e32 v4, 30, v4
	v_lshlrev_b32_e32 v5, v5, v10
	v_cndmask_b32_e32 v4, v6, v4, vcc_lo
	v_and_b32_e32 v5, 3, v5
	v_lshl_add_u32 v4, v4, 23, 0x37800000
	v_cndmask_b32_e32 v1, v1, v5, vcc_lo
	v_and_b32_e32 v5, 0x80000000, v7
	v_lshlrev_b32_e32 v1, 21, v1
	v_or3_b32 v1, v5, v4, v1
.LBB6_12927:                            ;   in Loop: Header=BB6_12577 Depth=3
	s_or_b32 exec_lo, exec_lo, s72
	v_mul_f32_e32 v1, s23, v1
	v_mov_b32_e32 v43, 0x80
	s_mov_b32 s72, exec_lo
	v_and_b32_e32 v4, 0x7f800000, v1
	v_cmpx_ne_u32_e32 0x7f800000, v4
	s_cbranch_execz .LBB6_12935
; %bb.12928:                            ;   in Loop: Header=BB6_12577 Depth=3
	v_mov_b32_e32 v43, 0
	s_mov_b32 s73, exec_lo
	v_cmpx_ne_u32_e32 0, v1
	s_cbranch_execz .LBB6_12934
; %bb.12929:                            ;   in Loop: Header=BB6_12577 Depth=3
	v_bfe_u32 v4, v1, 23, 8
	v_and_b32_e32 v5, 0x7fffff, v1
	v_sub_nc_u32_e32 v6, 0x70, v4
	v_cmp_gt_u32_e32 vcc_lo, 0x71, v4
	v_or_b32_e32 v7, 0x800000, v5
	v_cndmask_b32_e32 v6, 0, v6, vcc_lo
	v_cmp_eq_u32_e32 vcc_lo, 0, v4
	v_add_nc_u32_e32 v4, 0xffffff91, v4
	v_cndmask_b32_e64 v6, v6, 0x6f, vcc_lo
	v_cndmask_b32_e32 v5, v7, v5, vcc_lo
	v_cndmask_b32_e64 v4, v4, 0xffffff92, vcc_lo
	v_lshl_add_u32 v7, 0x200000, v6, -1
	v_lshrrev_b32_e32 v8, v6, v5
	v_lshlrev_b32_e64 v14, v6, 0x100000
	v_add_nc_u32_e32 v6, v6, v4
	v_and_b32_e32 v5, v7, v5
	v_bfe_u32 v9, v8, 21, 1
	v_cmp_eq_u32_e64 s16, v5, v14
	v_add_nc_u32_e32 v7, -1, v9
	v_cndmask_b32_e64 v5, 0, v7, s16
	v_lshrrev_b32_e32 v7, 23, v8
	s_mov_b32 s16, exec_lo
	v_add_nc_u32_e32 v5, v5, v8
	v_xor_b32_e32 v7, 1, v7
	v_and_b32_e32 v4, 0x1fffff, v5
	v_add_nc_u32_e32 v5, v4, v8
                                        ; implicit-def: $vgpr4
	v_cmpx_ne_u32_e64 v6, v7
	s_xor_b32 s16, exec_lo, s16
; %bb.12930:                            ;   in Loop: Header=BB6_12577 Depth=3
	v_cmp_lt_u32_e32 vcc_lo, 0xffffff, v5
	v_sub_nc_u32_e32 v4, v6, v7
	v_cndmask_b32_e64 v6, 0, 1, vcc_lo
	v_add_co_ci_u32_e64 v4, null, 0, v4, vcc_lo
	v_lshrrev_b32_e32 v5, v6, v5
; %bb.12931:                            ;   in Loop: Header=BB6_12577 Depth=3
	s_andn2_saveexec_b32 s16, s16
; %bb.12932:                            ;   in Loop: Header=BB6_12577 Depth=3
	v_bfe_u32 v4, v5, 23, 1
; %bb.12933:                            ;   in Loop: Header=BB6_12577 Depth=3
	s_or_b32 exec_lo, exec_lo, s16
	v_lshrrev_b32_e32 v5, 21, v5
	v_min_i32_e32 v6, 31, v4
	v_cmp_gt_i32_e32 vcc_lo, 32, v4
	v_and_b32_sdwa v1, v1, v117 dst_sel:DWORD dst_unused:UNUSED_PAD src0_sel:BYTE_3 src1_sel:DWORD
	v_lshlrev_b32_e32 v6, 2, v6
	v_cndmask_b32_e32 v5, 3, v5, vcc_lo
	v_and_b32_e32 v6, 0xfc, v6
	v_and_b32_e32 v7, 3, v5
	v_or_b32_e32 v4, v4, v5
	v_or3_b32 v1, v6, v1, v7
	v_cmp_ne_u32_e32 vcc_lo, 0, v4
	v_cndmask_b32_e32 v43, 0, v1, vcc_lo
.LBB6_12934:                            ;   in Loop: Header=BB6_12577 Depth=3
	s_or_b32 exec_lo, exec_lo, s73
.LBB6_12935:                            ;   in Loop: Header=BB6_12577 Depth=3
	s_or_b32 exec_lo, exec_lo, s72
	v_cmp_gt_i16_sdwa s72, v10, v116 src0_sel:BYTE_1 src1_sel:DWORD
	s_mov_b32 s16, 0
	s_and_saveexec_b32 s73, s72
	s_xor_b32 s72, exec_lo, s73
	s_cbranch_execz .LBB6_14809
; %bb.12936:                            ;   in Loop: Header=BB6_12577 Depth=3
	v_cmp_eq_u16_sdwa s74, v10, v117 src0_sel:BYTE_1 src1_sel:DWORD
	s_mov_b32 s16, -1
	s_and_saveexec_b32 s73, s74
; %bb.12937:                            ;   in Loop: Header=BB6_12577 Depth=3
	s_xor_b32 s16, exec_lo, -1
; %bb.12938:                            ;   in Loop: Header=BB6_12577 Depth=3
	s_or_b32 exec_lo, exec_lo, s73
	s_and_b32 s16, s16, exec_lo
	s_or_saveexec_b32 s72, s72
	v_mov_b32_e32 v1, 0x7f800001
	s_xor_b32 exec_lo, exec_lo, s72
	s_cbranch_execnz .LBB6_14810
.LBB6_12939:                            ;   in Loop: Header=BB6_12577 Depth=3
	s_or_b32 exec_lo, exec_lo, s72
	s_and_saveexec_b32 s72, s16
	s_cbranch_execz .LBB6_12941
.LBB6_12940:                            ;   in Loop: Header=BB6_12577 Depth=3
	v_and_b32_sdwa v1, v118, v10 dst_sel:DWORD dst_unused:UNUSED_PAD src0_sel:DWORD src1_sel:BYTE_1
	v_and_b32_e32 v4, 3, v1
	v_bfe_u32 v7, v1, 2, 5
	v_ffbh_u32_e32 v5, v4
	v_cmp_eq_u32_e32 vcc_lo, 0, v7
	v_min_u32_e32 v5, 32, v5
	v_subrev_nc_u32_e32 v6, 29, v5
	v_sub_nc_u32_e32 v5, 30, v5
	v_lshlrev_b32_e32 v1, v6, v1
	v_lshlrev_b32_sdwa v6, v119, v10 dst_sel:DWORD dst_unused:UNUSED_PAD src0_sel:DWORD src1_sel:BYTE_1
	v_cndmask_b32_e32 v5, v7, v5, vcc_lo
	v_and_b32_e32 v1, 3, v1
	v_lshl_add_u32 v5, v5, 23, 0x37800000
	v_cndmask_b32_e32 v1, v4, v1, vcc_lo
	v_and_b32_e32 v4, 0x80000000, v6
	v_lshlrev_b32_e32 v1, 21, v1
	v_or3_b32 v1, v4, v5, v1
.LBB6_12941:                            ;   in Loop: Header=BB6_12577 Depth=3
	s_or_b32 exec_lo, exec_lo, s72
	v_mul_f32_e32 v1, s23, v1
	v_mov_b32_e32 v41, 0x8000
	s_mov_b32 s72, exec_lo
	v_and_b32_e32 v4, 0x7f800000, v1
	v_cmpx_ne_u32_e32 0x7f800000, v4
	s_cbranch_execz .LBB6_12949
; %bb.12942:                            ;   in Loop: Header=BB6_12577 Depth=3
	v_mov_b32_e32 v41, 0
	s_mov_b32 s73, exec_lo
	v_cmpx_ne_u32_e32 0, v1
	s_cbranch_execz .LBB6_12948
; %bb.12943:                            ;   in Loop: Header=BB6_12577 Depth=3
	v_bfe_u32 v4, v1, 23, 8
	v_and_b32_e32 v5, 0x7fffff, v1
	v_sub_nc_u32_e32 v6, 0x70, v4
	v_cmp_gt_u32_e32 vcc_lo, 0x71, v4
	v_or_b32_e32 v7, 0x800000, v5
	v_cndmask_b32_e32 v6, 0, v6, vcc_lo
	v_cmp_eq_u32_e32 vcc_lo, 0, v4
	v_add_nc_u32_e32 v4, 0xffffff91, v4
	v_cndmask_b32_e64 v6, v6, 0x6f, vcc_lo
	v_cndmask_b32_e32 v5, v7, v5, vcc_lo
	v_cndmask_b32_e64 v4, v4, 0xffffff92, vcc_lo
	v_lshl_add_u32 v7, 0x200000, v6, -1
	v_lshrrev_b32_e32 v8, v6, v5
	v_lshlrev_b32_e64 v14, v6, 0x100000
	v_add_nc_u32_e32 v6, v6, v4
	v_and_b32_e32 v5, v7, v5
	v_bfe_u32 v9, v8, 21, 1
	v_cmp_eq_u32_e64 s16, v5, v14
	v_add_nc_u32_e32 v7, -1, v9
	v_cndmask_b32_e64 v5, 0, v7, s16
	v_lshrrev_b32_e32 v7, 23, v8
	s_mov_b32 s16, exec_lo
	v_add_nc_u32_e32 v5, v5, v8
	v_xor_b32_e32 v7, 1, v7
	v_and_b32_e32 v4, 0x1fffff, v5
	v_add_nc_u32_e32 v5, v4, v8
                                        ; implicit-def: $vgpr4
	v_cmpx_ne_u32_e64 v6, v7
	s_xor_b32 s16, exec_lo, s16
; %bb.12944:                            ;   in Loop: Header=BB6_12577 Depth=3
	v_cmp_lt_u32_e32 vcc_lo, 0xffffff, v5
	v_sub_nc_u32_e32 v4, v6, v7
	v_cndmask_b32_e64 v6, 0, 1, vcc_lo
	v_add_co_ci_u32_e64 v4, null, 0, v4, vcc_lo
	v_lshrrev_b32_e32 v5, v6, v5
; %bb.12945:                            ;   in Loop: Header=BB6_12577 Depth=3
	s_andn2_saveexec_b32 s16, s16
; %bb.12946:                            ;   in Loop: Header=BB6_12577 Depth=3
	v_bfe_u32 v4, v5, 23, 1
; %bb.12947:                            ;   in Loop: Header=BB6_12577 Depth=3
	s_or_b32 exec_lo, exec_lo, s16
	v_lshrrev_b32_e32 v5, 21, v5
	v_min_i32_e32 v6, 31, v4
	v_cmp_gt_i32_e32 vcc_lo, 32, v4
	v_and_b32_sdwa v1, v1, v117 dst_sel:DWORD dst_unused:UNUSED_PAD src0_sel:BYTE_3 src1_sel:DWORD
	v_lshlrev_b32_e32 v6, 2, v6
	v_cndmask_b32_e32 v5, 3, v5, vcc_lo
	v_and_b32_e32 v6, 0xfc, v6
	v_and_b32_e32 v7, 3, v5
	v_or_b32_e32 v4, v4, v5
	v_or3_b32 v1, v1, v6, v7
	v_cmp_ne_u32_e32 vcc_lo, 0, v4
	v_lshlrev_b32_e32 v1, 8, v1
	v_cndmask_b32_e32 v41, 0, v1, vcc_lo
.LBB6_12948:                            ;   in Loop: Header=BB6_12577 Depth=3
	s_or_b32 exec_lo, exec_lo, s73
.LBB6_12949:                            ;   in Loop: Header=BB6_12577 Depth=3
	s_or_b32 exec_lo, exec_lo, s72
	v_and_b32_sdwa v4, v10, v40 dst_sel:DWORD dst_unused:UNUSED_PAD src0_sel:WORD_1 src1_sel:DWORD
	s_mov_b32 s16, 0
	s_mov_b32 s72, exec_lo
	v_cmpx_lt_i16_e32 0x7f, v4
	s_xor_b32 s72, exec_lo, s72
	s_cbranch_execz .LBB6_14811
; %bb.12950:                            ;   in Loop: Header=BB6_12577 Depth=3
	s_mov_b32 s16, -1
	s_mov_b32 s73, exec_lo
	v_cmpx_eq_u16_e32 0x80, v4
; %bb.12951:                            ;   in Loop: Header=BB6_12577 Depth=3
	s_xor_b32 s16, exec_lo, -1
; %bb.12952:                            ;   in Loop: Header=BB6_12577 Depth=3
	s_or_b32 exec_lo, exec_lo, s73
	s_and_b32 s16, s16, exec_lo
                                        ; implicit-def: $vgpr4
	s_or_saveexec_b32 s72, s72
	v_mov_b32_e32 v1, 0x7f800001
	s_xor_b32 exec_lo, exec_lo, s72
	s_cbranch_execnz .LBB6_14812
.LBB6_12953:                            ;   in Loop: Header=BB6_12577 Depth=3
	s_or_b32 exec_lo, exec_lo, s72
	s_and_saveexec_b32 s72, s16
	s_cbranch_execz .LBB6_12955
.LBB6_12954:                            ;   in Loop: Header=BB6_12577 Depth=3
	v_bfe_u32 v1, v10, 16, 2
	v_bfe_u32 v6, v10, 18, 5
	v_lshlrev_b32_e32 v7, 8, v10
	v_ffbh_u32_e32 v4, v1
	v_cmp_eq_u32_e32 vcc_lo, 0, v6
	v_min_u32_e32 v4, 32, v4
	v_subrev_nc_u32_e32 v5, 29, v4
	v_sub_nc_u32_e32 v4, 30, v4
	v_lshlrev_b32_sdwa v5, v5, v10 dst_sel:DWORD dst_unused:UNUSED_PAD src0_sel:DWORD src1_sel:WORD_1
	v_cndmask_b32_e32 v4, v6, v4, vcc_lo
	v_and_b32_e32 v5, 3, v5
	v_lshl_add_u32 v4, v4, 23, 0x37800000
	v_cndmask_b32_e32 v1, v1, v5, vcc_lo
	v_and_b32_e32 v5, 0x80000000, v7
	v_lshlrev_b32_e32 v1, 21, v1
	v_or3_b32 v1, v5, v4, v1
.LBB6_12955:                            ;   in Loop: Header=BB6_12577 Depth=3
	s_or_b32 exec_lo, exec_lo, s72
	v_mul_f32_e32 v1, s23, v1
	v_mov_b32_e32 v80, 0x80
	s_mov_b32 s72, exec_lo
	v_and_b32_e32 v4, 0x7f800000, v1
	v_cmpx_ne_u32_e32 0x7f800000, v4
	s_cbranch_execz .LBB6_12963
; %bb.12956:                            ;   in Loop: Header=BB6_12577 Depth=3
	v_mov_b32_e32 v80, 0
	s_mov_b32 s73, exec_lo
	v_cmpx_ne_u32_e32 0, v1
	s_cbranch_execz .LBB6_12962
; %bb.12957:                            ;   in Loop: Header=BB6_12577 Depth=3
	v_bfe_u32 v4, v1, 23, 8
	v_and_b32_e32 v5, 0x7fffff, v1
	v_sub_nc_u32_e32 v6, 0x70, v4
	v_cmp_gt_u32_e32 vcc_lo, 0x71, v4
	v_or_b32_e32 v7, 0x800000, v5
	v_cndmask_b32_e32 v6, 0, v6, vcc_lo
	v_cmp_eq_u32_e32 vcc_lo, 0, v4
	v_add_nc_u32_e32 v4, 0xffffff91, v4
	v_cndmask_b32_e64 v6, v6, 0x6f, vcc_lo
	v_cndmask_b32_e32 v5, v7, v5, vcc_lo
	v_cndmask_b32_e64 v4, v4, 0xffffff92, vcc_lo
	v_lshl_add_u32 v7, 0x200000, v6, -1
	v_lshrrev_b32_e32 v8, v6, v5
	v_lshlrev_b32_e64 v14, v6, 0x100000
	v_add_nc_u32_e32 v6, v6, v4
	v_and_b32_e32 v5, v7, v5
	v_bfe_u32 v9, v8, 21, 1
	v_cmp_eq_u32_e64 s16, v5, v14
	v_add_nc_u32_e32 v7, -1, v9
	v_cndmask_b32_e64 v5, 0, v7, s16
	v_lshrrev_b32_e32 v7, 23, v8
	s_mov_b32 s16, exec_lo
	v_add_nc_u32_e32 v5, v5, v8
	v_xor_b32_e32 v7, 1, v7
	v_and_b32_e32 v4, 0x1fffff, v5
	v_add_nc_u32_e32 v5, v4, v8
                                        ; implicit-def: $vgpr4
	v_cmpx_ne_u32_e64 v6, v7
	s_xor_b32 s16, exec_lo, s16
; %bb.12958:                            ;   in Loop: Header=BB6_12577 Depth=3
	v_cmp_lt_u32_e32 vcc_lo, 0xffffff, v5
	v_sub_nc_u32_e32 v4, v6, v7
	v_cndmask_b32_e64 v6, 0, 1, vcc_lo
	v_add_co_ci_u32_e64 v4, null, 0, v4, vcc_lo
	v_lshrrev_b32_e32 v5, v6, v5
; %bb.12959:                            ;   in Loop: Header=BB6_12577 Depth=3
	s_andn2_saveexec_b32 s16, s16
; %bb.12960:                            ;   in Loop: Header=BB6_12577 Depth=3
	v_bfe_u32 v4, v5, 23, 1
; %bb.12961:                            ;   in Loop: Header=BB6_12577 Depth=3
	s_or_b32 exec_lo, exec_lo, s16
	v_lshrrev_b32_e32 v5, 21, v5
	v_min_i32_e32 v6, 31, v4
	v_cmp_gt_i32_e32 vcc_lo, 32, v4
	v_and_b32_sdwa v1, v1, v117 dst_sel:DWORD dst_unused:UNUSED_PAD src0_sel:BYTE_3 src1_sel:DWORD
	v_lshlrev_b32_e32 v6, 2, v6
	v_cndmask_b32_e32 v5, 3, v5, vcc_lo
	v_and_b32_e32 v6, 0xfc, v6
	v_and_b32_e32 v7, 3, v5
	v_or_b32_e32 v4, v4, v5
	v_or3_b32 v1, v6, v1, v7
	v_cmp_ne_u32_e32 vcc_lo, 0, v4
	v_cndmask_b32_e32 v80, 0, v1, vcc_lo
.LBB6_12962:                            ;   in Loop: Header=BB6_12577 Depth=3
	s_or_b32 exec_lo, exec_lo, s73
.LBB6_12963:                            ;   in Loop: Header=BB6_12577 Depth=3
	s_or_b32 exec_lo, exec_lo, s72
	v_cmp_gt_i16_sdwa s72, v10, v116 src0_sel:BYTE_3 src1_sel:DWORD
	s_mov_b32 s16, 0
	s_and_saveexec_b32 s73, s72
	s_xor_b32 s72, exec_lo, s73
	s_cbranch_execz .LBB6_14813
; %bb.12964:                            ;   in Loop: Header=BB6_12577 Depth=3
	v_cmp_eq_u16_sdwa s74, v10, v117 src0_sel:BYTE_3 src1_sel:DWORD
	s_mov_b32 s16, -1
	s_and_saveexec_b32 s73, s74
; %bb.12965:                            ;   in Loop: Header=BB6_12577 Depth=3
	s_xor_b32 s16, exec_lo, -1
; %bb.12966:                            ;   in Loop: Header=BB6_12577 Depth=3
	s_or_b32 exec_lo, exec_lo, s73
	s_and_b32 s16, s16, exec_lo
	s_or_saveexec_b32 s72, s72
	v_mov_b32_e32 v1, 0x7f800001
	s_xor_b32 exec_lo, exec_lo, s72
	s_cbranch_execnz .LBB6_14814
.LBB6_12967:                            ;   in Loop: Header=BB6_12577 Depth=3
	s_or_b32 exec_lo, exec_lo, s72
	s_and_saveexec_b32 s72, s16
	s_cbranch_execz .LBB6_12969
.LBB6_12968:                            ;   in Loop: Header=BB6_12577 Depth=3
	v_bfe_u32 v1, v10, 24, 2
	v_bfe_u32 v6, v10, 26, 5
	v_ffbh_u32_e32 v4, v1
	v_cmp_eq_u32_e32 vcc_lo, 0, v6
	v_min_u32_e32 v4, 32, v4
	v_subrev_nc_u32_e32 v5, 29, v4
	v_sub_nc_u32_e32 v4, 30, v4
	v_lshlrev_b32_sdwa v5, v5, v10 dst_sel:DWORD dst_unused:UNUSED_PAD src0_sel:DWORD src1_sel:BYTE_3
	v_cndmask_b32_e32 v4, v6, v4, vcc_lo
	v_and_b32_e32 v5, 3, v5
	v_lshl_add_u32 v4, v4, 23, 0x37800000
	v_cndmask_b32_e32 v1, v1, v5, vcc_lo
	v_and_b32_e32 v5, 0x80000000, v10
	v_lshlrev_b32_e32 v1, 21, v1
	v_or3_b32 v1, v5, v4, v1
.LBB6_12969:                            ;   in Loop: Header=BB6_12577 Depth=3
	s_or_b32 exec_lo, exec_lo, s72
	v_mul_f32_e32 v1, s23, v1
	v_mov_b32_e32 v81, 0x8000
	s_mov_b32 s72, exec_lo
	v_and_b32_e32 v4, 0x7f800000, v1
	v_cmpx_ne_u32_e32 0x7f800000, v4
	s_cbranch_execz .LBB6_12977
; %bb.12970:                            ;   in Loop: Header=BB6_12577 Depth=3
	v_mov_b32_e32 v81, 0
	s_mov_b32 s73, exec_lo
	v_cmpx_ne_u32_e32 0, v1
	s_cbranch_execz .LBB6_12976
; %bb.12971:                            ;   in Loop: Header=BB6_12577 Depth=3
	v_bfe_u32 v4, v1, 23, 8
	v_and_b32_e32 v5, 0x7fffff, v1
	v_sub_nc_u32_e32 v6, 0x70, v4
	v_cmp_gt_u32_e32 vcc_lo, 0x71, v4
	v_or_b32_e32 v7, 0x800000, v5
	v_cndmask_b32_e32 v6, 0, v6, vcc_lo
	v_cmp_eq_u32_e32 vcc_lo, 0, v4
	v_add_nc_u32_e32 v4, 0xffffff91, v4
	v_cndmask_b32_e64 v6, v6, 0x6f, vcc_lo
	v_cndmask_b32_e32 v5, v7, v5, vcc_lo
	v_cndmask_b32_e64 v4, v4, 0xffffff92, vcc_lo
	v_lshl_add_u32 v7, 0x200000, v6, -1
	v_lshrrev_b32_e32 v8, v6, v5
	v_lshlrev_b32_e64 v10, v6, 0x100000
	v_add_nc_u32_e32 v6, v6, v4
	v_and_b32_e32 v5, v7, v5
	v_bfe_u32 v9, v8, 21, 1
	v_cmp_eq_u32_e64 s16, v5, v10
	v_add_nc_u32_e32 v7, -1, v9
	v_cndmask_b32_e64 v5, 0, v7, s16
	v_lshrrev_b32_e32 v7, 23, v8
	s_mov_b32 s16, exec_lo
	v_add_nc_u32_e32 v5, v5, v8
	v_xor_b32_e32 v7, 1, v7
	v_and_b32_e32 v4, 0x1fffff, v5
	v_add_nc_u32_e32 v5, v4, v8
                                        ; implicit-def: $vgpr4
	v_cmpx_ne_u32_e64 v6, v7
	s_xor_b32 s16, exec_lo, s16
; %bb.12972:                            ;   in Loop: Header=BB6_12577 Depth=3
	v_cmp_lt_u32_e32 vcc_lo, 0xffffff, v5
	v_sub_nc_u32_e32 v4, v6, v7
	v_cndmask_b32_e64 v6, 0, 1, vcc_lo
	v_add_co_ci_u32_e64 v4, null, 0, v4, vcc_lo
	v_lshrrev_b32_e32 v5, v6, v5
; %bb.12973:                            ;   in Loop: Header=BB6_12577 Depth=3
	s_andn2_saveexec_b32 s16, s16
; %bb.12974:                            ;   in Loop: Header=BB6_12577 Depth=3
	v_bfe_u32 v4, v5, 23, 1
; %bb.12975:                            ;   in Loop: Header=BB6_12577 Depth=3
	s_or_b32 exec_lo, exec_lo, s16
	v_lshrrev_b32_e32 v5, 21, v5
	v_min_i32_e32 v6, 31, v4
	v_cmp_gt_i32_e32 vcc_lo, 32, v4
	v_and_b32_sdwa v1, v1, v117 dst_sel:DWORD dst_unused:UNUSED_PAD src0_sel:BYTE_3 src1_sel:DWORD
	v_lshlrev_b32_e32 v6, 2, v6
	v_cndmask_b32_e32 v5, 3, v5, vcc_lo
	v_and_b32_e32 v6, 0xfc, v6
	v_and_b32_e32 v7, 3, v5
	v_or_b32_e32 v4, v4, v5
	v_or3_b32 v1, v1, v6, v7
	v_cmp_ne_u32_e32 vcc_lo, 0, v4
	v_lshlrev_b32_e32 v1, 8, v1
	v_cndmask_b32_e32 v81, 0, v1, vcc_lo
.LBB6_12976:                            ;   in Loop: Header=BB6_12577 Depth=3
	s_or_b32 exec_lo, exec_lo, s73
.LBB6_12977:                            ;   in Loop: Header=BB6_12577 Depth=3
	s_or_b32 exec_lo, exec_lo, s72
	v_cmp_gt_i16_sdwa s72, v11, v116 src0_sel:BYTE_0 src1_sel:DWORD
	s_mov_b32 s16, 0
	s_and_saveexec_b32 s73, s72
	s_xor_b32 s72, exec_lo, s73
	s_cbranch_execz .LBB6_14815
; %bb.12978:                            ;   in Loop: Header=BB6_12577 Depth=3
	v_cmp_eq_u16_sdwa s74, v11, v117 src0_sel:BYTE_0 src1_sel:DWORD
	s_mov_b32 s16, -1
	s_and_saveexec_b32 s73, s74
; %bb.12979:                            ;   in Loop: Header=BB6_12577 Depth=3
	s_xor_b32 s16, exec_lo, -1
; %bb.12980:                            ;   in Loop: Header=BB6_12577 Depth=3
	s_or_b32 exec_lo, exec_lo, s73
	s_and_b32 s16, s16, exec_lo
	s_or_saveexec_b32 s72, s72
	v_mov_b32_e32 v1, 0x7f800001
	s_xor_b32 exec_lo, exec_lo, s72
	s_cbranch_execnz .LBB6_14816
.LBB6_12981:                            ;   in Loop: Header=BB6_12577 Depth=3
	s_or_b32 exec_lo, exec_lo, s72
	s_and_saveexec_b32 s72, s16
	s_cbranch_execz .LBB6_12983
.LBB6_12982:                            ;   in Loop: Header=BB6_12577 Depth=3
	v_and_b32_e32 v1, 3, v11
	v_bfe_u32 v6, v11, 2, 5
	v_lshlrev_b32_e32 v7, 24, v11
	v_ffbh_u32_e32 v4, v1
	v_cmp_eq_u32_e32 vcc_lo, 0, v6
	v_min_u32_e32 v4, 32, v4
	v_subrev_nc_u32_e32 v5, 29, v4
	v_sub_nc_u32_e32 v4, 30, v4
	v_lshlrev_b32_e32 v5, v5, v11
	v_cndmask_b32_e32 v4, v6, v4, vcc_lo
	v_and_b32_e32 v5, 3, v5
	v_lshl_add_u32 v4, v4, 23, 0x37800000
	v_cndmask_b32_e32 v1, v1, v5, vcc_lo
	v_and_b32_e32 v5, 0x80000000, v7
	v_lshlrev_b32_e32 v1, 21, v1
	v_or3_b32 v1, v5, v4, v1
.LBB6_12983:                            ;   in Loop: Header=BB6_12577 Depth=3
	s_or_b32 exec_lo, exec_lo, s72
	v_mul_f32_e32 v1, s23, v1
	v_mov_b32_e32 v77, 0x80
	s_mov_b32 s72, exec_lo
	v_and_b32_e32 v4, 0x7f800000, v1
	v_cmpx_ne_u32_e32 0x7f800000, v4
	s_cbranch_execz .LBB6_12991
; %bb.12984:                            ;   in Loop: Header=BB6_12577 Depth=3
	v_mov_b32_e32 v77, 0
	s_mov_b32 s73, exec_lo
	v_cmpx_ne_u32_e32 0, v1
	s_cbranch_execz .LBB6_12990
; %bb.12985:                            ;   in Loop: Header=BB6_12577 Depth=3
	v_bfe_u32 v4, v1, 23, 8
	v_and_b32_e32 v5, 0x7fffff, v1
	v_sub_nc_u32_e32 v6, 0x70, v4
	v_cmp_gt_u32_e32 vcc_lo, 0x71, v4
	v_or_b32_e32 v7, 0x800000, v5
	v_cndmask_b32_e32 v6, 0, v6, vcc_lo
	v_cmp_eq_u32_e32 vcc_lo, 0, v4
	v_add_nc_u32_e32 v4, 0xffffff91, v4
	v_cndmask_b32_e64 v6, v6, 0x6f, vcc_lo
	v_cndmask_b32_e32 v5, v7, v5, vcc_lo
	v_cndmask_b32_e64 v4, v4, 0xffffff92, vcc_lo
	v_lshl_add_u32 v7, 0x200000, v6, -1
	v_lshrrev_b32_e32 v8, v6, v5
	v_lshlrev_b32_e64 v10, v6, 0x100000
	v_add_nc_u32_e32 v6, v6, v4
	v_and_b32_e32 v5, v7, v5
	v_bfe_u32 v9, v8, 21, 1
	v_cmp_eq_u32_e64 s16, v5, v10
	v_add_nc_u32_e32 v7, -1, v9
	v_cndmask_b32_e64 v5, 0, v7, s16
	v_lshrrev_b32_e32 v7, 23, v8
	s_mov_b32 s16, exec_lo
	v_add_nc_u32_e32 v5, v5, v8
	v_xor_b32_e32 v7, 1, v7
	v_and_b32_e32 v4, 0x1fffff, v5
	v_add_nc_u32_e32 v5, v4, v8
                                        ; implicit-def: $vgpr4
	v_cmpx_ne_u32_e64 v6, v7
	s_xor_b32 s16, exec_lo, s16
; %bb.12986:                            ;   in Loop: Header=BB6_12577 Depth=3
	v_cmp_lt_u32_e32 vcc_lo, 0xffffff, v5
	v_sub_nc_u32_e32 v4, v6, v7
	v_cndmask_b32_e64 v6, 0, 1, vcc_lo
	v_add_co_ci_u32_e64 v4, null, 0, v4, vcc_lo
	v_lshrrev_b32_e32 v5, v6, v5
; %bb.12987:                            ;   in Loop: Header=BB6_12577 Depth=3
	s_andn2_saveexec_b32 s16, s16
; %bb.12988:                            ;   in Loop: Header=BB6_12577 Depth=3
	v_bfe_u32 v4, v5, 23, 1
; %bb.12989:                            ;   in Loop: Header=BB6_12577 Depth=3
	s_or_b32 exec_lo, exec_lo, s16
	v_lshrrev_b32_e32 v5, 21, v5
	v_min_i32_e32 v6, 31, v4
	v_cmp_gt_i32_e32 vcc_lo, 32, v4
	v_and_b32_sdwa v1, v1, v117 dst_sel:DWORD dst_unused:UNUSED_PAD src0_sel:BYTE_3 src1_sel:DWORD
	v_lshlrev_b32_e32 v6, 2, v6
	v_cndmask_b32_e32 v5, 3, v5, vcc_lo
	v_and_b32_e32 v6, 0xfc, v6
	v_and_b32_e32 v7, 3, v5
	v_or_b32_e32 v4, v4, v5
	v_or3_b32 v1, v6, v1, v7
	v_cmp_ne_u32_e32 vcc_lo, 0, v4
	v_cndmask_b32_e32 v77, 0, v1, vcc_lo
.LBB6_12990:                            ;   in Loop: Header=BB6_12577 Depth=3
	s_or_b32 exec_lo, exec_lo, s73
.LBB6_12991:                            ;   in Loop: Header=BB6_12577 Depth=3
	s_or_b32 exec_lo, exec_lo, s72
	v_cmp_gt_i16_sdwa s72, v11, v116 src0_sel:BYTE_1 src1_sel:DWORD
	s_mov_b32 s16, 0
	s_and_saveexec_b32 s73, s72
	s_xor_b32 s72, exec_lo, s73
	s_cbranch_execz .LBB6_14817
; %bb.12992:                            ;   in Loop: Header=BB6_12577 Depth=3
	v_cmp_eq_u16_sdwa s74, v11, v117 src0_sel:BYTE_1 src1_sel:DWORD
	s_mov_b32 s16, -1
	s_and_saveexec_b32 s73, s74
; %bb.12993:                            ;   in Loop: Header=BB6_12577 Depth=3
	s_xor_b32 s16, exec_lo, -1
; %bb.12994:                            ;   in Loop: Header=BB6_12577 Depth=3
	s_or_b32 exec_lo, exec_lo, s73
	s_and_b32 s16, s16, exec_lo
	s_or_saveexec_b32 s72, s72
	v_mov_b32_e32 v1, 0x7f800001
	s_xor_b32 exec_lo, exec_lo, s72
	s_cbranch_execnz .LBB6_14818
.LBB6_12995:                            ;   in Loop: Header=BB6_12577 Depth=3
	s_or_b32 exec_lo, exec_lo, s72
	s_and_saveexec_b32 s72, s16
	s_cbranch_execz .LBB6_12997
.LBB6_12996:                            ;   in Loop: Header=BB6_12577 Depth=3
	v_and_b32_sdwa v1, v118, v11 dst_sel:DWORD dst_unused:UNUSED_PAD src0_sel:DWORD src1_sel:BYTE_1
	v_and_b32_e32 v4, 3, v1
	v_bfe_u32 v7, v1, 2, 5
	v_ffbh_u32_e32 v5, v4
	v_cmp_eq_u32_e32 vcc_lo, 0, v7
	v_min_u32_e32 v5, 32, v5
	v_subrev_nc_u32_e32 v6, 29, v5
	v_sub_nc_u32_e32 v5, 30, v5
	v_lshlrev_b32_e32 v1, v6, v1
	v_lshlrev_b32_sdwa v6, v119, v11 dst_sel:DWORD dst_unused:UNUSED_PAD src0_sel:DWORD src1_sel:BYTE_1
	v_cndmask_b32_e32 v5, v7, v5, vcc_lo
	v_and_b32_e32 v1, 3, v1
	v_lshl_add_u32 v5, v5, 23, 0x37800000
	v_cndmask_b32_e32 v1, v4, v1, vcc_lo
	v_and_b32_e32 v4, 0x80000000, v6
	v_lshlrev_b32_e32 v1, 21, v1
	v_or3_b32 v1, v4, v5, v1
.LBB6_12997:                            ;   in Loop: Header=BB6_12577 Depth=3
	s_or_b32 exec_lo, exec_lo, s72
	v_mul_f32_e32 v1, s23, v1
	v_mov_b32_e32 v67, 0x8000
	s_mov_b32 s72, exec_lo
	v_and_b32_e32 v4, 0x7f800000, v1
	v_cmpx_ne_u32_e32 0x7f800000, v4
	s_cbranch_execz .LBB6_13005
; %bb.12998:                            ;   in Loop: Header=BB6_12577 Depth=3
	v_mov_b32_e32 v67, 0
	s_mov_b32 s73, exec_lo
	v_cmpx_ne_u32_e32 0, v1
	s_cbranch_execz .LBB6_13004
; %bb.12999:                            ;   in Loop: Header=BB6_12577 Depth=3
	v_bfe_u32 v4, v1, 23, 8
	v_and_b32_e32 v5, 0x7fffff, v1
	v_sub_nc_u32_e32 v6, 0x70, v4
	v_cmp_gt_u32_e32 vcc_lo, 0x71, v4
	v_or_b32_e32 v7, 0x800000, v5
	v_cndmask_b32_e32 v6, 0, v6, vcc_lo
	v_cmp_eq_u32_e32 vcc_lo, 0, v4
	v_add_nc_u32_e32 v4, 0xffffff91, v4
	v_cndmask_b32_e64 v6, v6, 0x6f, vcc_lo
	v_cndmask_b32_e32 v5, v7, v5, vcc_lo
	v_cndmask_b32_e64 v4, v4, 0xffffff92, vcc_lo
	v_lshl_add_u32 v7, 0x200000, v6, -1
	v_lshrrev_b32_e32 v8, v6, v5
	v_lshlrev_b32_e64 v10, v6, 0x100000
	v_add_nc_u32_e32 v6, v6, v4
	v_and_b32_e32 v5, v7, v5
	v_bfe_u32 v9, v8, 21, 1
	v_cmp_eq_u32_e64 s16, v5, v10
	v_add_nc_u32_e32 v7, -1, v9
	v_cndmask_b32_e64 v5, 0, v7, s16
	v_lshrrev_b32_e32 v7, 23, v8
	s_mov_b32 s16, exec_lo
	v_add_nc_u32_e32 v5, v5, v8
	v_xor_b32_e32 v7, 1, v7
	v_and_b32_e32 v4, 0x1fffff, v5
	v_add_nc_u32_e32 v5, v4, v8
                                        ; implicit-def: $vgpr4
	v_cmpx_ne_u32_e64 v6, v7
	s_xor_b32 s16, exec_lo, s16
; %bb.13000:                            ;   in Loop: Header=BB6_12577 Depth=3
	v_cmp_lt_u32_e32 vcc_lo, 0xffffff, v5
	v_sub_nc_u32_e32 v4, v6, v7
	v_cndmask_b32_e64 v6, 0, 1, vcc_lo
	v_add_co_ci_u32_e64 v4, null, 0, v4, vcc_lo
	v_lshrrev_b32_e32 v5, v6, v5
; %bb.13001:                            ;   in Loop: Header=BB6_12577 Depth=3
	s_andn2_saveexec_b32 s16, s16
; %bb.13002:                            ;   in Loop: Header=BB6_12577 Depth=3
	v_bfe_u32 v4, v5, 23, 1
; %bb.13003:                            ;   in Loop: Header=BB6_12577 Depth=3
	s_or_b32 exec_lo, exec_lo, s16
	v_lshrrev_b32_e32 v5, 21, v5
	v_min_i32_e32 v6, 31, v4
	v_cmp_gt_i32_e32 vcc_lo, 32, v4
	v_and_b32_sdwa v1, v1, v117 dst_sel:DWORD dst_unused:UNUSED_PAD src0_sel:BYTE_3 src1_sel:DWORD
	v_lshlrev_b32_e32 v6, 2, v6
	v_cndmask_b32_e32 v5, 3, v5, vcc_lo
	v_and_b32_e32 v6, 0xfc, v6
	v_and_b32_e32 v7, 3, v5
	v_or_b32_e32 v4, v4, v5
	v_or3_b32 v1, v1, v6, v7
	v_cmp_ne_u32_e32 vcc_lo, 0, v4
	v_lshlrev_b32_e32 v1, 8, v1
	v_cndmask_b32_e32 v67, 0, v1, vcc_lo
.LBB6_13004:                            ;   in Loop: Header=BB6_12577 Depth=3
	s_or_b32 exec_lo, exec_lo, s73
.LBB6_13005:                            ;   in Loop: Header=BB6_12577 Depth=3
	s_or_b32 exec_lo, exec_lo, s72
	v_and_b32_sdwa v4, v11, v40 dst_sel:DWORD dst_unused:UNUSED_PAD src0_sel:WORD_1 src1_sel:DWORD
	s_mov_b32 s16, 0
	s_mov_b32 s72, exec_lo
	v_cmpx_lt_i16_e32 0x7f, v4
	s_xor_b32 s72, exec_lo, s72
	s_cbranch_execz .LBB6_14819
; %bb.13006:                            ;   in Loop: Header=BB6_12577 Depth=3
	s_mov_b32 s16, -1
	s_mov_b32 s73, exec_lo
	v_cmpx_eq_u16_e32 0x80, v4
; %bb.13007:                            ;   in Loop: Header=BB6_12577 Depth=3
	s_xor_b32 s16, exec_lo, -1
; %bb.13008:                            ;   in Loop: Header=BB6_12577 Depth=3
	s_or_b32 exec_lo, exec_lo, s73
	s_and_b32 s16, s16, exec_lo
                                        ; implicit-def: $vgpr4
	s_or_saveexec_b32 s72, s72
	v_mov_b32_e32 v1, 0x7f800001
	s_xor_b32 exec_lo, exec_lo, s72
	s_cbranch_execnz .LBB6_14820
.LBB6_13009:                            ;   in Loop: Header=BB6_12577 Depth=3
	s_or_b32 exec_lo, exec_lo, s72
	s_and_saveexec_b32 s72, s16
	s_cbranch_execz .LBB6_13011
.LBB6_13010:                            ;   in Loop: Header=BB6_12577 Depth=3
	v_bfe_u32 v1, v11, 16, 2
	v_bfe_u32 v6, v11, 18, 5
	v_lshlrev_b32_e32 v7, 8, v11
	v_ffbh_u32_e32 v4, v1
	v_cmp_eq_u32_e32 vcc_lo, 0, v6
	v_min_u32_e32 v4, 32, v4
	v_subrev_nc_u32_e32 v5, 29, v4
	v_sub_nc_u32_e32 v4, 30, v4
	v_lshlrev_b32_sdwa v5, v5, v11 dst_sel:DWORD dst_unused:UNUSED_PAD src0_sel:DWORD src1_sel:WORD_1
	v_cndmask_b32_e32 v4, v6, v4, vcc_lo
	v_and_b32_e32 v5, 3, v5
	v_lshl_add_u32 v4, v4, 23, 0x37800000
	v_cndmask_b32_e32 v1, v1, v5, vcc_lo
	v_and_b32_e32 v5, 0x80000000, v7
	v_lshlrev_b32_e32 v1, 21, v1
	v_or3_b32 v1, v5, v4, v1
.LBB6_13011:                            ;   in Loop: Header=BB6_12577 Depth=3
	s_or_b32 exec_lo, exec_lo, s72
	v_mul_f32_e32 v1, s23, v1
	v_mov_b32_e32 v123, 0x80
	s_mov_b32 s72, exec_lo
	v_and_b32_e32 v4, 0x7f800000, v1
	v_cmpx_ne_u32_e32 0x7f800000, v4
	s_cbranch_execz .LBB6_13019
; %bb.13012:                            ;   in Loop: Header=BB6_12577 Depth=3
	v_mov_b32_e32 v123, 0
	s_mov_b32 s73, exec_lo
	v_cmpx_ne_u32_e32 0, v1
	s_cbranch_execz .LBB6_13018
; %bb.13013:                            ;   in Loop: Header=BB6_12577 Depth=3
	v_bfe_u32 v4, v1, 23, 8
	v_and_b32_e32 v5, 0x7fffff, v1
	v_sub_nc_u32_e32 v6, 0x70, v4
	v_cmp_gt_u32_e32 vcc_lo, 0x71, v4
	v_or_b32_e32 v7, 0x800000, v5
	v_cndmask_b32_e32 v6, 0, v6, vcc_lo
	v_cmp_eq_u32_e32 vcc_lo, 0, v4
	v_add_nc_u32_e32 v4, 0xffffff91, v4
	v_cndmask_b32_e64 v6, v6, 0x6f, vcc_lo
	v_cndmask_b32_e32 v5, v7, v5, vcc_lo
	v_cndmask_b32_e64 v4, v4, 0xffffff92, vcc_lo
	v_lshl_add_u32 v7, 0x200000, v6, -1
	v_lshrrev_b32_e32 v8, v6, v5
	v_lshlrev_b32_e64 v10, v6, 0x100000
	v_add_nc_u32_e32 v6, v6, v4
	v_and_b32_e32 v5, v7, v5
	v_bfe_u32 v9, v8, 21, 1
	v_cmp_eq_u32_e64 s16, v5, v10
	v_add_nc_u32_e32 v7, -1, v9
	v_cndmask_b32_e64 v5, 0, v7, s16
	v_lshrrev_b32_e32 v7, 23, v8
	s_mov_b32 s16, exec_lo
	v_add_nc_u32_e32 v5, v5, v8
	v_xor_b32_e32 v7, 1, v7
	v_and_b32_e32 v4, 0x1fffff, v5
	v_add_nc_u32_e32 v5, v4, v8
                                        ; implicit-def: $vgpr4
	v_cmpx_ne_u32_e64 v6, v7
	s_xor_b32 s16, exec_lo, s16
; %bb.13014:                            ;   in Loop: Header=BB6_12577 Depth=3
	v_cmp_lt_u32_e32 vcc_lo, 0xffffff, v5
	v_sub_nc_u32_e32 v4, v6, v7
	v_cndmask_b32_e64 v6, 0, 1, vcc_lo
	v_add_co_ci_u32_e64 v4, null, 0, v4, vcc_lo
	v_lshrrev_b32_e32 v5, v6, v5
; %bb.13015:                            ;   in Loop: Header=BB6_12577 Depth=3
	s_andn2_saveexec_b32 s16, s16
; %bb.13016:                            ;   in Loop: Header=BB6_12577 Depth=3
	v_bfe_u32 v4, v5, 23, 1
; %bb.13017:                            ;   in Loop: Header=BB6_12577 Depth=3
	s_or_b32 exec_lo, exec_lo, s16
	v_lshrrev_b32_e32 v5, 21, v5
	v_min_i32_e32 v6, 31, v4
	v_cmp_gt_i32_e32 vcc_lo, 32, v4
	v_and_b32_sdwa v1, v1, v117 dst_sel:DWORD dst_unused:UNUSED_PAD src0_sel:BYTE_3 src1_sel:DWORD
	v_lshlrev_b32_e32 v6, 2, v6
	v_cndmask_b32_e32 v5, 3, v5, vcc_lo
	v_and_b32_e32 v6, 0xfc, v6
	v_and_b32_e32 v7, 3, v5
	v_or_b32_e32 v4, v4, v5
	v_or3_b32 v1, v6, v1, v7
	v_cmp_ne_u32_e32 vcc_lo, 0, v4
	v_cndmask_b32_e32 v123, 0, v1, vcc_lo
.LBB6_13018:                            ;   in Loop: Header=BB6_12577 Depth=3
	s_or_b32 exec_lo, exec_lo, s73
.LBB6_13019:                            ;   in Loop: Header=BB6_12577 Depth=3
	s_or_b32 exec_lo, exec_lo, s72
	v_cmp_gt_i16_sdwa s72, v11, v116 src0_sel:BYTE_3 src1_sel:DWORD
	s_mov_b32 s16, 0
	s_and_saveexec_b32 s73, s72
	s_xor_b32 s72, exec_lo, s73
	s_cbranch_execz .LBB6_14821
; %bb.13020:                            ;   in Loop: Header=BB6_12577 Depth=3
	v_cmp_eq_u16_sdwa s74, v11, v117 src0_sel:BYTE_3 src1_sel:DWORD
	s_mov_b32 s16, -1
	s_and_saveexec_b32 s73, s74
; %bb.13021:                            ;   in Loop: Header=BB6_12577 Depth=3
	s_xor_b32 s16, exec_lo, -1
; %bb.13022:                            ;   in Loop: Header=BB6_12577 Depth=3
	s_or_b32 exec_lo, exec_lo, s73
	s_and_b32 s16, s16, exec_lo
	s_or_saveexec_b32 s72, s72
	v_mov_b32_e32 v1, 0x7f800001
	s_xor_b32 exec_lo, exec_lo, s72
	s_cbranch_execnz .LBB6_14822
.LBB6_13023:                            ;   in Loop: Header=BB6_12577 Depth=3
	s_or_b32 exec_lo, exec_lo, s72
	s_and_saveexec_b32 s72, s16
	s_cbranch_execz .LBB6_13025
.LBB6_13024:                            ;   in Loop: Header=BB6_12577 Depth=3
	v_bfe_u32 v1, v11, 24, 2
	v_bfe_u32 v6, v11, 26, 5
	v_ffbh_u32_e32 v4, v1
	v_cmp_eq_u32_e32 vcc_lo, 0, v6
	v_min_u32_e32 v4, 32, v4
	v_subrev_nc_u32_e32 v5, 29, v4
	v_sub_nc_u32_e32 v4, 30, v4
	v_lshlrev_b32_sdwa v5, v5, v11 dst_sel:DWORD dst_unused:UNUSED_PAD src0_sel:DWORD src1_sel:BYTE_3
	v_cndmask_b32_e32 v4, v6, v4, vcc_lo
	v_and_b32_e32 v5, 3, v5
	v_lshl_add_u32 v4, v4, 23, 0x37800000
	v_cndmask_b32_e32 v1, v1, v5, vcc_lo
	v_and_b32_e32 v5, 0x80000000, v11
	v_lshlrev_b32_e32 v1, 21, v1
	v_or3_b32 v1, v5, v4, v1
.LBB6_13025:                            ;   in Loop: Header=BB6_12577 Depth=3
	s_or_b32 exec_lo, exec_lo, s72
	v_mul_f32_e32 v1, s23, v1
	v_mov_b32_e32 v76, 0x8000
	s_mov_b32 s72, exec_lo
	v_and_b32_e32 v4, 0x7f800000, v1
	v_cmpx_ne_u32_e32 0x7f800000, v4
	s_cbranch_execz .LBB6_13033
; %bb.13026:                            ;   in Loop: Header=BB6_12577 Depth=3
	v_mov_b32_e32 v76, 0
	s_mov_b32 s73, exec_lo
	v_cmpx_ne_u32_e32 0, v1
	s_cbranch_execz .LBB6_13032
; %bb.13027:                            ;   in Loop: Header=BB6_12577 Depth=3
	v_bfe_u32 v4, v1, 23, 8
	v_and_b32_e32 v5, 0x7fffff, v1
	v_sub_nc_u32_e32 v6, 0x70, v4
	v_cmp_gt_u32_e32 vcc_lo, 0x71, v4
	v_or_b32_e32 v7, 0x800000, v5
	v_cndmask_b32_e32 v6, 0, v6, vcc_lo
	v_cmp_eq_u32_e32 vcc_lo, 0, v4
	v_add_nc_u32_e32 v4, 0xffffff91, v4
	v_cndmask_b32_e64 v6, v6, 0x6f, vcc_lo
	v_cndmask_b32_e32 v5, v7, v5, vcc_lo
	v_cndmask_b32_e64 v4, v4, 0xffffff92, vcc_lo
	v_lshl_add_u32 v7, 0x200000, v6, -1
	v_lshrrev_b32_e32 v8, v6, v5
	v_lshlrev_b32_e64 v10, v6, 0x100000
	v_add_nc_u32_e32 v6, v6, v4
	v_and_b32_e32 v5, v7, v5
	v_bfe_u32 v9, v8, 21, 1
	v_cmp_eq_u32_e64 s16, v5, v10
	v_add_nc_u32_e32 v7, -1, v9
	v_cndmask_b32_e64 v5, 0, v7, s16
	v_lshrrev_b32_e32 v7, 23, v8
	s_mov_b32 s16, exec_lo
	v_add_nc_u32_e32 v5, v5, v8
	v_xor_b32_e32 v7, 1, v7
	v_and_b32_e32 v4, 0x1fffff, v5
	v_add_nc_u32_e32 v5, v4, v8
                                        ; implicit-def: $vgpr4
	v_cmpx_ne_u32_e64 v6, v7
	s_xor_b32 s16, exec_lo, s16
; %bb.13028:                            ;   in Loop: Header=BB6_12577 Depth=3
	v_cmp_lt_u32_e32 vcc_lo, 0xffffff, v5
	v_sub_nc_u32_e32 v4, v6, v7
	v_cndmask_b32_e64 v6, 0, 1, vcc_lo
	v_add_co_ci_u32_e64 v4, null, 0, v4, vcc_lo
	v_lshrrev_b32_e32 v5, v6, v5
; %bb.13029:                            ;   in Loop: Header=BB6_12577 Depth=3
	s_andn2_saveexec_b32 s16, s16
; %bb.13030:                            ;   in Loop: Header=BB6_12577 Depth=3
	v_bfe_u32 v4, v5, 23, 1
; %bb.13031:                            ;   in Loop: Header=BB6_12577 Depth=3
	s_or_b32 exec_lo, exec_lo, s16
	v_lshrrev_b32_e32 v5, 21, v5
	v_min_i32_e32 v6, 31, v4
	v_cmp_gt_i32_e32 vcc_lo, 32, v4
	v_and_b32_sdwa v1, v1, v117 dst_sel:DWORD dst_unused:UNUSED_PAD src0_sel:BYTE_3 src1_sel:DWORD
	v_lshlrev_b32_e32 v6, 2, v6
	v_cndmask_b32_e32 v5, 3, v5, vcc_lo
	v_and_b32_e32 v6, 0xfc, v6
	v_and_b32_e32 v7, 3, v5
	v_or_b32_e32 v4, v4, v5
	v_or3_b32 v1, v1, v6, v7
	v_cmp_ne_u32_e32 vcc_lo, 0, v4
	v_lshlrev_b32_e32 v1, 8, v1
	v_cndmask_b32_e32 v76, 0, v1, vcc_lo
.LBB6_13032:                            ;   in Loop: Header=BB6_12577 Depth=3
	s_or_b32 exec_lo, exec_lo, s73
.LBB6_13033:                            ;   in Loop: Header=BB6_12577 Depth=3
	s_or_b32 exec_lo, exec_lo, s72
	global_load_dwordx4 v[8:11], v[82:83], off offset:1024 slc
	s_mov_b32 s16, 0
	s_waitcnt vmcnt(0)
	v_cmp_gt_i16_sdwa s72, v8, v116 src0_sel:BYTE_0 src1_sel:DWORD
	s_and_saveexec_b32 s73, s72
	s_xor_b32 s72, exec_lo, s73
	s_cbranch_execz .LBB6_14823
; %bb.13034:                            ;   in Loop: Header=BB6_12577 Depth=3
	v_cmp_eq_u16_sdwa s74, v8, v117 src0_sel:BYTE_0 src1_sel:DWORD
	s_mov_b32 s16, -1
	s_and_saveexec_b32 s73, s74
; %bb.13035:                            ;   in Loop: Header=BB6_12577 Depth=3
	s_xor_b32 s16, exec_lo, -1
; %bb.13036:                            ;   in Loop: Header=BB6_12577 Depth=3
	s_or_b32 exec_lo, exec_lo, s73
	s_and_b32 s16, s16, exec_lo
	s_or_saveexec_b32 s72, s72
	v_mov_b32_e32 v1, 0x7f800001
	s_xor_b32 exec_lo, exec_lo, s72
	s_cbranch_execnz .LBB6_14824
.LBB6_13037:                            ;   in Loop: Header=BB6_12577 Depth=3
	s_or_b32 exec_lo, exec_lo, s72
	s_and_saveexec_b32 s72, s16
	s_cbranch_execz .LBB6_13039
.LBB6_13038:                            ;   in Loop: Header=BB6_12577 Depth=3
	v_and_b32_e32 v1, 3, v8
	v_bfe_u32 v6, v8, 2, 5
	v_lshlrev_b32_e32 v7, 24, v8
	v_ffbh_u32_e32 v4, v1
	v_cmp_eq_u32_e32 vcc_lo, 0, v6
	v_min_u32_e32 v4, 32, v4
	v_subrev_nc_u32_e32 v5, 29, v4
	v_sub_nc_u32_e32 v4, 30, v4
	v_lshlrev_b32_e32 v5, v5, v8
	v_cndmask_b32_e32 v4, v6, v4, vcc_lo
	v_and_b32_e32 v5, 3, v5
	v_lshl_add_u32 v4, v4, 23, 0x37800000
	v_cndmask_b32_e32 v1, v1, v5, vcc_lo
	v_and_b32_e32 v5, 0x80000000, v7
	v_lshlrev_b32_e32 v1, 21, v1
	v_or3_b32 v1, v5, v4, v1
.LBB6_13039:                            ;   in Loop: Header=BB6_12577 Depth=3
	s_or_b32 exec_lo, exec_lo, s72
	v_mul_f32_e32 v1, s23, v1
	v_mov_b32_e32 v120, 0x80
	s_mov_b32 s72, exec_lo
	v_and_b32_e32 v4, 0x7f800000, v1
	v_cmpx_ne_u32_e32 0x7f800000, v4
	s_cbranch_execz .LBB6_13047
; %bb.13040:                            ;   in Loop: Header=BB6_12577 Depth=3
	v_mov_b32_e32 v120, 0
	s_mov_b32 s73, exec_lo
	v_cmpx_ne_u32_e32 0, v1
	s_cbranch_execz .LBB6_13046
; %bb.13041:                            ;   in Loop: Header=BB6_12577 Depth=3
	v_bfe_u32 v5, v1, 23, 8
	v_and_b32_e32 v4, 0x7fffff, v1
	v_cmp_gt_u32_e64 s16, 0x71, v5
	v_sub_nc_u32_e32 v6, 0x70, v5
	v_cmp_eq_u32_e32 vcc_lo, 0, v5
	v_or_b32_e32 v7, 0x800000, v4
	v_cndmask_b32_e64 v6, 0, v6, s16
	v_cndmask_b32_e32 v4, v7, v4, vcc_lo
	v_cndmask_b32_e64 v6, v6, 0x6f, vcc_lo
	v_lshl_add_u32 v7, 0x200000, v6, -1
	v_lshlrev_b32_e64 v14, v6, 0x100000
	v_and_b32_e32 v7, v7, v4
	v_cmp_eq_u32_e64 s16, v7, v14
	v_lshrrev_b32_e32 v7, v6, v4
	v_add_nc_u32_e32 v4, 0xffffff91, v5
	v_lshrrev_b32_e32 v5, 23, v7
	v_cndmask_b32_e64 v4, v4, 0xffffff92, vcc_lo
	v_xor_b32_e32 v5, 1, v5
	v_add_nc_u32_e32 v4, v6, v4
	v_bfe_u32 v6, v7, 21, 1
	v_add_nc_u32_e32 v6, -1, v6
	v_cndmask_b32_e64 v6, 0, v6, s16
	s_mov_b32 s16, exec_lo
	v_add_nc_u32_e32 v6, v6, v7
	v_and_b32_e32 v6, 0x1fffff, v6
	v_add_nc_u32_e32 v7, v6, v7
                                        ; implicit-def: $vgpr6
	v_cmpx_ne_u32_e64 v4, v5
	s_xor_b32 s16, exec_lo, s16
; %bb.13042:                            ;   in Loop: Header=BB6_12577 Depth=3
	v_cmp_lt_u32_e32 vcc_lo, 0xffffff, v7
	v_sub_nc_u32_e32 v4, v4, v5
	v_cndmask_b32_e64 v5, 0, 1, vcc_lo
	v_add_co_ci_u32_e64 v6, null, 0, v4, vcc_lo
	v_lshrrev_b32_e32 v7, v5, v7
; %bb.13043:                            ;   in Loop: Header=BB6_12577 Depth=3
	s_andn2_saveexec_b32 s16, s16
; %bb.13044:                            ;   in Loop: Header=BB6_12577 Depth=3
	v_bfe_u32 v6, v7, 23, 1
; %bb.13045:                            ;   in Loop: Header=BB6_12577 Depth=3
	s_or_b32 exec_lo, exec_lo, s16
	v_lshrrev_b32_e32 v4, 21, v7
	v_min_i32_e32 v5, 31, v6
	v_cmp_gt_i32_e32 vcc_lo, 32, v6
	v_and_b32_sdwa v1, v1, v117 dst_sel:DWORD dst_unused:UNUSED_PAD src0_sel:BYTE_3 src1_sel:DWORD
	v_lshlrev_b32_e32 v5, 2, v5
	v_cndmask_b32_e32 v4, 3, v4, vcc_lo
	v_and_b32_e32 v5, 0xfc, v5
	v_and_b32_e32 v7, 3, v4
	v_or_b32_e32 v4, v6, v4
	v_or3_b32 v1, v5, v1, v7
	v_cmp_ne_u32_e32 vcc_lo, 0, v4
	v_cndmask_b32_e32 v120, 0, v1, vcc_lo
.LBB6_13046:                            ;   in Loop: Header=BB6_12577 Depth=3
	s_or_b32 exec_lo, exec_lo, s73
.LBB6_13047:                            ;   in Loop: Header=BB6_12577 Depth=3
	s_or_b32 exec_lo, exec_lo, s72
	v_cmp_gt_i16_sdwa s72, v8, v116 src0_sel:BYTE_1 src1_sel:DWORD
	s_mov_b32 s16, 0
	s_and_saveexec_b32 s73, s72
	s_xor_b32 s72, exec_lo, s73
	s_cbranch_execz .LBB6_14825
; %bb.13048:                            ;   in Loop: Header=BB6_12577 Depth=3
	v_cmp_eq_u16_sdwa s74, v8, v117 src0_sel:BYTE_1 src1_sel:DWORD
	s_mov_b32 s16, -1
	s_and_saveexec_b32 s73, s74
; %bb.13049:                            ;   in Loop: Header=BB6_12577 Depth=3
	s_xor_b32 s16, exec_lo, -1
; %bb.13050:                            ;   in Loop: Header=BB6_12577 Depth=3
	s_or_b32 exec_lo, exec_lo, s73
	s_and_b32 s16, s16, exec_lo
	s_or_saveexec_b32 s72, s72
	v_mov_b32_e32 v1, 0x7f800001
	s_xor_b32 exec_lo, exec_lo, s72
	s_cbranch_execnz .LBB6_14826
.LBB6_13051:                            ;   in Loop: Header=BB6_12577 Depth=3
	s_or_b32 exec_lo, exec_lo, s72
	s_and_saveexec_b32 s72, s16
	s_cbranch_execz .LBB6_13053
.LBB6_13052:                            ;   in Loop: Header=BB6_12577 Depth=3
	v_and_b32_sdwa v1, v118, v8 dst_sel:DWORD dst_unused:UNUSED_PAD src0_sel:DWORD src1_sel:BYTE_1
	v_and_b32_e32 v4, 3, v1
	v_bfe_u32 v7, v1, 2, 5
	v_ffbh_u32_e32 v5, v4
	v_cmp_eq_u32_e32 vcc_lo, 0, v7
	v_min_u32_e32 v5, 32, v5
	v_subrev_nc_u32_e32 v6, 29, v5
	v_sub_nc_u32_e32 v5, 30, v5
	v_lshlrev_b32_e32 v1, v6, v1
	v_lshlrev_b32_sdwa v6, v119, v8 dst_sel:DWORD dst_unused:UNUSED_PAD src0_sel:DWORD src1_sel:BYTE_1
	v_cndmask_b32_e32 v5, v7, v5, vcc_lo
	v_and_b32_e32 v1, 3, v1
	v_lshl_add_u32 v5, v5, 23, 0x37800000
	v_cndmask_b32_e32 v1, v4, v1, vcc_lo
	v_and_b32_e32 v4, 0x80000000, v6
	v_lshlrev_b32_e32 v1, 21, v1
	v_or3_b32 v1, v4, v5, v1
.LBB6_13053:                            ;   in Loop: Header=BB6_12577 Depth=3
	s_or_b32 exec_lo, exec_lo, s72
	v_mul_f32_e32 v1, s23, v1
	v_mov_b32_e32 v113, 0x8000
	s_mov_b32 s72, exec_lo
	v_and_b32_e32 v4, 0x7f800000, v1
	v_cmpx_ne_u32_e32 0x7f800000, v4
	s_cbranch_execz .LBB6_13061
; %bb.13054:                            ;   in Loop: Header=BB6_12577 Depth=3
	v_mov_b32_e32 v113, 0
	s_mov_b32 s73, exec_lo
	v_cmpx_ne_u32_e32 0, v1
	s_cbranch_execz .LBB6_13060
; %bb.13055:                            ;   in Loop: Header=BB6_12577 Depth=3
	v_bfe_u32 v5, v1, 23, 8
	v_and_b32_e32 v4, 0x7fffff, v1
	v_cmp_gt_u32_e64 s16, 0x71, v5
	v_sub_nc_u32_e32 v6, 0x70, v5
	v_cmp_eq_u32_e32 vcc_lo, 0, v5
	v_or_b32_e32 v7, 0x800000, v4
	v_cndmask_b32_e64 v6, 0, v6, s16
	v_cndmask_b32_e32 v4, v7, v4, vcc_lo
	v_cndmask_b32_e64 v6, v6, 0x6f, vcc_lo
	v_lshl_add_u32 v7, 0x200000, v6, -1
	v_lshlrev_b32_e64 v14, v6, 0x100000
	v_and_b32_e32 v7, v7, v4
	v_cmp_eq_u32_e64 s16, v7, v14
	v_lshrrev_b32_e32 v7, v6, v4
	v_add_nc_u32_e32 v4, 0xffffff91, v5
	v_lshrrev_b32_e32 v5, 23, v7
	v_cndmask_b32_e64 v4, v4, 0xffffff92, vcc_lo
	v_xor_b32_e32 v5, 1, v5
	v_add_nc_u32_e32 v4, v6, v4
	v_bfe_u32 v6, v7, 21, 1
	v_add_nc_u32_e32 v6, -1, v6
	v_cndmask_b32_e64 v6, 0, v6, s16
	s_mov_b32 s16, exec_lo
	v_add_nc_u32_e32 v6, v6, v7
	v_and_b32_e32 v6, 0x1fffff, v6
	v_add_nc_u32_e32 v6, v6, v7
                                        ; implicit-def: $vgpr7
	v_cmpx_ne_u32_e64 v4, v5
	s_xor_b32 s16, exec_lo, s16
; %bb.13056:                            ;   in Loop: Header=BB6_12577 Depth=3
	v_cmp_lt_u32_e32 vcc_lo, 0xffffff, v6
	v_sub_nc_u32_e32 v4, v4, v5
	v_cndmask_b32_e64 v5, 0, 1, vcc_lo
	v_add_co_ci_u32_e64 v7, null, 0, v4, vcc_lo
	v_lshrrev_b32_e32 v6, v5, v6
; %bb.13057:                            ;   in Loop: Header=BB6_12577 Depth=3
	s_andn2_saveexec_b32 s16, s16
; %bb.13058:                            ;   in Loop: Header=BB6_12577 Depth=3
	v_bfe_u32 v7, v6, 23, 1
; %bb.13059:                            ;   in Loop: Header=BB6_12577 Depth=3
	s_or_b32 exec_lo, exec_lo, s16
	v_lshrrev_b32_e32 v4, 21, v6
	v_min_i32_e32 v5, 31, v7
	v_cmp_gt_i32_e32 vcc_lo, 32, v7
	v_and_b32_sdwa v1, v1, v117 dst_sel:DWORD dst_unused:UNUSED_PAD src0_sel:BYTE_3 src1_sel:DWORD
	v_lshlrev_b32_e32 v5, 2, v5
	v_cndmask_b32_e32 v4, 3, v4, vcc_lo
	v_and_b32_e32 v5, 0xfc, v5
	v_or_b32_e32 v6, v7, v4
	v_and_b32_e32 v4, 3, v4
	v_cmp_ne_u32_e32 vcc_lo, 0, v6
	v_or3_b32 v1, v1, v5, v4
	v_lshlrev_b32_e32 v1, 8, v1
	v_cndmask_b32_e32 v113, 0, v1, vcc_lo
.LBB6_13060:                            ;   in Loop: Header=BB6_12577 Depth=3
	s_or_b32 exec_lo, exec_lo, s73
.LBB6_13061:                            ;   in Loop: Header=BB6_12577 Depth=3
	s_or_b32 exec_lo, exec_lo, s72
	v_and_b32_sdwa v4, v8, v40 dst_sel:DWORD dst_unused:UNUSED_PAD src0_sel:WORD_1 src1_sel:DWORD
	s_mov_b32 s72, 0
	s_mov_b32 s16, exec_lo
	v_cmpx_lt_i16_e32 0x7f, v4
	s_xor_b32 s16, exec_lo, s16
	s_cbranch_execz .LBB6_14827
; %bb.13062:                            ;   in Loop: Header=BB6_12577 Depth=3
	s_mov_b32 s72, -1
	s_mov_b32 s73, exec_lo
	v_cmpx_eq_u16_e32 0x80, v4
; %bb.13063:                            ;   in Loop: Header=BB6_12577 Depth=3
	s_xor_b32 s72, exec_lo, -1
; %bb.13064:                            ;   in Loop: Header=BB6_12577 Depth=3
	s_or_b32 exec_lo, exec_lo, s73
	s_and_b32 s72, s72, exec_lo
                                        ; implicit-def: $vgpr4
	s_or_saveexec_b32 s16, s16
	v_mov_b32_e32 v1, 0x7f800001
	s_xor_b32 exec_lo, exec_lo, s16
	s_cbranch_execnz .LBB6_14828
.LBB6_13065:                            ;   in Loop: Header=BB6_12577 Depth=3
	s_or_b32 exec_lo, exec_lo, s16
	s_and_saveexec_b32 s16, s72
	s_cbranch_execz .LBB6_13067
.LBB6_13066:                            ;   in Loop: Header=BB6_12577 Depth=3
	v_bfe_u32 v1, v8, 16, 2
	v_bfe_u32 v4, v8, 18, 5
	v_ffbh_u32_e32 v5, v1
	v_cmp_eq_u32_e32 vcc_lo, 0, v4
	v_min_u32_e32 v5, 32, v5
	v_subrev_nc_u32_e32 v6, 29, v5
	v_sub_nc_u32_e32 v5, 30, v5
	v_lshlrev_b32_sdwa v6, v6, v8 dst_sel:DWORD dst_unused:UNUSED_PAD src0_sel:DWORD src1_sel:WORD_1
	v_cndmask_b32_e32 v4, v4, v5, vcc_lo
	v_lshlrev_b32_e32 v5, 8, v8
	v_and_b32_e32 v6, 3, v6
	v_lshl_add_u32 v4, v4, 23, 0x37800000
	v_and_b32_e32 v5, 0x80000000, v5
	v_cndmask_b32_e32 v1, v1, v6, vcc_lo
	v_lshlrev_b32_e32 v1, 21, v1
	v_or3_b32 v1, v5, v4, v1
.LBB6_13067:                            ;   in Loop: Header=BB6_12577 Depth=3
	s_or_b32 exec_lo, exec_lo, s16
	v_mul_f32_e32 v1, s23, v1
	v_mov_b32_e32 v111, 0x80
	s_mov_b32 s72, exec_lo
	v_and_b32_e32 v4, 0x7f800000, v1
	v_cmpx_ne_u32_e32 0x7f800000, v4
	s_cbranch_execz .LBB6_13075
; %bb.13068:                            ;   in Loop: Header=BB6_12577 Depth=3
	v_mov_b32_e32 v111, 0
	s_mov_b32 s73, exec_lo
	v_cmpx_ne_u32_e32 0, v1
	s_cbranch_execz .LBB6_13074
; %bb.13069:                            ;   in Loop: Header=BB6_12577 Depth=3
	v_bfe_u32 v5, v1, 23, 8
	v_and_b32_e32 v4, 0x7fffff, v1
	v_cmp_gt_u32_e64 s16, 0x71, v5
	v_sub_nc_u32_e32 v6, 0x70, v5
	v_cmp_eq_u32_e32 vcc_lo, 0, v5
	v_or_b32_e32 v7, 0x800000, v4
	v_cndmask_b32_e64 v6, 0, v6, s16
	v_cndmask_b32_e32 v4, v7, v4, vcc_lo
	v_cndmask_b32_e64 v6, v6, 0x6f, vcc_lo
	v_lshl_add_u32 v7, 0x200000, v6, -1
	v_lshlrev_b32_e64 v14, v6, 0x100000
	v_and_b32_e32 v7, v7, v4
	v_cmp_eq_u32_e64 s16, v7, v14
	v_lshrrev_b32_e32 v7, v6, v4
	v_add_nc_u32_e32 v4, 0xffffff91, v5
	v_lshrrev_b32_e32 v5, 23, v7
	v_cndmask_b32_e64 v4, v4, 0xffffff92, vcc_lo
	v_xor_b32_e32 v5, 1, v5
	v_add_nc_u32_e32 v4, v6, v4
	v_bfe_u32 v6, v7, 21, 1
	v_add_nc_u32_e32 v6, -1, v6
	v_cndmask_b32_e64 v6, 0, v6, s16
	s_mov_b32 s16, exec_lo
	v_add_nc_u32_e32 v6, v6, v7
	v_and_b32_e32 v6, 0x1fffff, v6
	v_add_nc_u32_e32 v6, v6, v7
                                        ; implicit-def: $vgpr7
	v_cmpx_ne_u32_e64 v4, v5
	s_xor_b32 s16, exec_lo, s16
; %bb.13070:                            ;   in Loop: Header=BB6_12577 Depth=3
	v_cmp_lt_u32_e32 vcc_lo, 0xffffff, v6
	v_sub_nc_u32_e32 v4, v4, v5
	v_cndmask_b32_e64 v5, 0, 1, vcc_lo
	v_add_co_ci_u32_e64 v7, null, 0, v4, vcc_lo
	v_lshrrev_b32_e32 v6, v5, v6
; %bb.13071:                            ;   in Loop: Header=BB6_12577 Depth=3
	s_andn2_saveexec_b32 s16, s16
; %bb.13072:                            ;   in Loop: Header=BB6_12577 Depth=3
	v_bfe_u32 v7, v6, 23, 1
; %bb.13073:                            ;   in Loop: Header=BB6_12577 Depth=3
	s_or_b32 exec_lo, exec_lo, s16
	v_lshrrev_b32_e32 v4, 21, v6
	v_min_i32_e32 v5, 31, v7
	v_cmp_gt_i32_e32 vcc_lo, 32, v7
	v_and_b32_sdwa v1, v1, v117 dst_sel:DWORD dst_unused:UNUSED_PAD src0_sel:BYTE_3 src1_sel:DWORD
	v_lshlrev_b32_e32 v5, 2, v5
	v_cndmask_b32_e32 v4, 3, v4, vcc_lo
	v_and_b32_e32 v5, 0xfc, v5
	v_or_b32_e32 v6, v7, v4
	v_and_b32_e32 v4, 3, v4
	v_cmp_ne_u32_e32 vcc_lo, 0, v6
	v_or3_b32 v1, v5, v1, v4
	v_cndmask_b32_e32 v111, 0, v1, vcc_lo
.LBB6_13074:                            ;   in Loop: Header=BB6_12577 Depth=3
	s_or_b32 exec_lo, exec_lo, s73
.LBB6_13075:                            ;   in Loop: Header=BB6_12577 Depth=3
	s_or_b32 exec_lo, exec_lo, s72
	v_cmp_gt_i16_sdwa s72, v8, v116 src0_sel:BYTE_3 src1_sel:DWORD
	s_mov_b32 s16, 0
	s_and_saveexec_b32 s73, s72
	s_xor_b32 s72, exec_lo, s73
	s_cbranch_execz .LBB6_14829
; %bb.13076:                            ;   in Loop: Header=BB6_12577 Depth=3
	v_cmp_eq_u16_sdwa s74, v8, v117 src0_sel:BYTE_3 src1_sel:DWORD
	s_mov_b32 s16, -1
	s_and_saveexec_b32 s73, s74
; %bb.13077:                            ;   in Loop: Header=BB6_12577 Depth=3
	s_xor_b32 s16, exec_lo, -1
; %bb.13078:                            ;   in Loop: Header=BB6_12577 Depth=3
	s_or_b32 exec_lo, exec_lo, s73
	s_and_b32 s16, s16, exec_lo
	s_or_saveexec_b32 s72, s72
	v_mov_b32_e32 v1, 0x7f800001
	s_xor_b32 exec_lo, exec_lo, s72
	s_cbranch_execnz .LBB6_14830
.LBB6_13079:                            ;   in Loop: Header=BB6_12577 Depth=3
	s_or_b32 exec_lo, exec_lo, s72
	s_and_saveexec_b32 s72, s16
	s_cbranch_execz .LBB6_13081
.LBB6_13080:                            ;   in Loop: Header=BB6_12577 Depth=3
	v_bfe_u32 v1, v8, 24, 2
	v_bfe_u32 v6, v8, 26, 5
	v_ffbh_u32_e32 v4, v1
	v_cmp_eq_u32_e32 vcc_lo, 0, v6
	v_min_u32_e32 v4, 32, v4
	v_subrev_nc_u32_e32 v5, 29, v4
	v_sub_nc_u32_e32 v4, 30, v4
	v_lshlrev_b32_sdwa v5, v5, v8 dst_sel:DWORD dst_unused:UNUSED_PAD src0_sel:DWORD src1_sel:BYTE_3
	v_cndmask_b32_e32 v4, v6, v4, vcc_lo
	v_and_b32_e32 v5, 3, v5
	v_lshl_add_u32 v4, v4, 23, 0x37800000
	v_cndmask_b32_e32 v1, v1, v5, vcc_lo
	v_and_b32_e32 v5, 0x80000000, v8
	v_lshlrev_b32_e32 v1, 21, v1
	v_or3_b32 v1, v5, v4, v1
.LBB6_13081:                            ;   in Loop: Header=BB6_12577 Depth=3
	s_or_b32 exec_lo, exec_lo, s72
	v_mul_f32_e32 v1, s23, v1
	v_mov_b32_e32 v122, 0x8000
	s_mov_b32 s72, exec_lo
	v_and_b32_e32 v4, 0x7f800000, v1
	v_cmpx_ne_u32_e32 0x7f800000, v4
	s_cbranch_execz .LBB6_13089
; %bb.13082:                            ;   in Loop: Header=BB6_12577 Depth=3
	v_mov_b32_e32 v122, 0
	s_mov_b32 s73, exec_lo
	v_cmpx_ne_u32_e32 0, v1
	s_cbranch_execz .LBB6_13088
; %bb.13083:                            ;   in Loop: Header=BB6_12577 Depth=3
	v_bfe_u32 v5, v1, 23, 8
	v_and_b32_e32 v4, 0x7fffff, v1
	v_cmp_gt_u32_e64 s16, 0x71, v5
	v_sub_nc_u32_e32 v6, 0x70, v5
	v_cmp_eq_u32_e32 vcc_lo, 0, v5
	v_or_b32_e32 v7, 0x800000, v4
	v_cndmask_b32_e64 v6, 0, v6, s16
	v_cndmask_b32_e32 v4, v7, v4, vcc_lo
	v_cndmask_b32_e64 v6, v6, 0x6f, vcc_lo
	v_lshl_add_u32 v7, 0x200000, v6, -1
	v_lshlrev_b32_e64 v8, v6, 0x100000
	v_and_b32_e32 v7, v7, v4
	v_cmp_eq_u32_e64 s16, v7, v8
	v_lshrrev_b32_e32 v7, v6, v4
	v_add_nc_u32_e32 v4, 0xffffff91, v5
	v_lshrrev_b32_e32 v5, 23, v7
	v_cndmask_b32_e64 v4, v4, 0xffffff92, vcc_lo
	v_xor_b32_e32 v5, 1, v5
	v_add_nc_u32_e32 v4, v6, v4
	v_bfe_u32 v6, v7, 21, 1
	v_add_nc_u32_e32 v6, -1, v6
	v_cndmask_b32_e64 v6, 0, v6, s16
	s_mov_b32 s16, exec_lo
	v_add_nc_u32_e32 v6, v6, v7
	v_and_b32_e32 v6, 0x1fffff, v6
	v_add_nc_u32_e32 v6, v6, v7
                                        ; implicit-def: $vgpr7
	v_cmpx_ne_u32_e64 v4, v5
	s_xor_b32 s16, exec_lo, s16
; %bb.13084:                            ;   in Loop: Header=BB6_12577 Depth=3
	v_cmp_lt_u32_e32 vcc_lo, 0xffffff, v6
	v_sub_nc_u32_e32 v4, v4, v5
	v_cndmask_b32_e64 v5, 0, 1, vcc_lo
	v_add_co_ci_u32_e64 v7, null, 0, v4, vcc_lo
	v_lshrrev_b32_e32 v6, v5, v6
; %bb.13085:                            ;   in Loop: Header=BB6_12577 Depth=3
	s_andn2_saveexec_b32 s16, s16
; %bb.13086:                            ;   in Loop: Header=BB6_12577 Depth=3
	v_bfe_u32 v7, v6, 23, 1
; %bb.13087:                            ;   in Loop: Header=BB6_12577 Depth=3
	s_or_b32 exec_lo, exec_lo, s16
	v_lshrrev_b32_e32 v4, 21, v6
	v_min_i32_e32 v5, 31, v7
	v_cmp_gt_i32_e32 vcc_lo, 32, v7
	v_and_b32_sdwa v1, v1, v117 dst_sel:DWORD dst_unused:UNUSED_PAD src0_sel:BYTE_3 src1_sel:DWORD
	v_lshlrev_b32_e32 v5, 2, v5
	v_cndmask_b32_e32 v4, 3, v4, vcc_lo
	v_and_b32_e32 v5, 0xfc, v5
	v_or_b32_e32 v6, v7, v4
	v_and_b32_e32 v4, 3, v4
	v_cmp_ne_u32_e32 vcc_lo, 0, v6
	v_or3_b32 v1, v1, v5, v4
	v_lshlrev_b32_e32 v1, 8, v1
	v_cndmask_b32_e32 v122, 0, v1, vcc_lo
.LBB6_13088:                            ;   in Loop: Header=BB6_12577 Depth=3
	s_or_b32 exec_lo, exec_lo, s73
.LBB6_13089:                            ;   in Loop: Header=BB6_12577 Depth=3
	s_or_b32 exec_lo, exec_lo, s72
	v_cmp_gt_i16_sdwa s16, v9, v116 src0_sel:BYTE_0 src1_sel:DWORD
	s_mov_b32 s72, 0
	s_and_saveexec_b32 s73, s16
	s_xor_b32 s16, exec_lo, s73
	s_cbranch_execz .LBB6_14831
; %bb.13090:                            ;   in Loop: Header=BB6_12577 Depth=3
	v_cmp_eq_u16_sdwa s74, v9, v117 src0_sel:BYTE_0 src1_sel:DWORD
	s_mov_b32 s72, -1
	s_and_saveexec_b32 s73, s74
; %bb.13091:                            ;   in Loop: Header=BB6_12577 Depth=3
	s_xor_b32 s72, exec_lo, -1
; %bb.13092:                            ;   in Loop: Header=BB6_12577 Depth=3
	s_or_b32 exec_lo, exec_lo, s73
	s_and_b32 s72, s72, exec_lo
	s_or_saveexec_b32 s16, s16
	v_mov_b32_e32 v1, 0x7f800001
	s_xor_b32 exec_lo, exec_lo, s16
	s_cbranch_execnz .LBB6_14832
.LBB6_13093:                            ;   in Loop: Header=BB6_12577 Depth=3
	s_or_b32 exec_lo, exec_lo, s16
	s_and_saveexec_b32 s16, s72
	s_cbranch_execz .LBB6_13095
.LBB6_13094:                            ;   in Loop: Header=BB6_12577 Depth=3
	v_and_b32_e32 v1, 3, v9
	v_bfe_u32 v4, v9, 2, 5
	v_ffbh_u32_e32 v5, v1
	v_cmp_eq_u32_e32 vcc_lo, 0, v4
	v_min_u32_e32 v5, 32, v5
	v_subrev_nc_u32_e32 v6, 29, v5
	v_sub_nc_u32_e32 v5, 30, v5
	v_lshlrev_b32_e32 v6, v6, v9
	v_cndmask_b32_e32 v4, v4, v5, vcc_lo
	v_lshlrev_b32_e32 v5, 24, v9
	v_and_b32_e32 v6, 3, v6
	v_lshl_add_u32 v4, v4, 23, 0x37800000
	v_and_b32_e32 v5, 0x80000000, v5
	v_cndmask_b32_e32 v1, v1, v6, vcc_lo
	v_lshlrev_b32_e32 v1, 21, v1
	v_or3_b32 v1, v5, v4, v1
.LBB6_13095:                            ;   in Loop: Header=BB6_12577 Depth=3
	s_or_b32 exec_lo, exec_lo, s16
	v_mul_f32_e32 v1, s23, v1
	v_mov_b32_e32 v31, 0x80
	s_mov_b32 s72, exec_lo
	v_and_b32_e32 v4, 0x7f800000, v1
	v_cmpx_ne_u32_e32 0x7f800000, v4
	s_cbranch_execz .LBB6_13103
; %bb.13096:                            ;   in Loop: Header=BB6_12577 Depth=3
	v_mov_b32_e32 v31, 0
	s_mov_b32 s73, exec_lo
	v_cmpx_ne_u32_e32 0, v1
	s_cbranch_execz .LBB6_13102
; %bb.13097:                            ;   in Loop: Header=BB6_12577 Depth=3
	v_bfe_u32 v5, v1, 23, 8
	v_and_b32_e32 v4, 0x7fffff, v1
	v_cmp_gt_u32_e64 s16, 0x71, v5
	v_sub_nc_u32_e32 v6, 0x70, v5
	v_cmp_eq_u32_e32 vcc_lo, 0, v5
	v_or_b32_e32 v7, 0x800000, v4
	v_cndmask_b32_e64 v6, 0, v6, s16
	v_cndmask_b32_e32 v4, v7, v4, vcc_lo
	v_cndmask_b32_e64 v6, v6, 0x6f, vcc_lo
	v_lshl_add_u32 v7, 0x200000, v6, -1
	v_lshlrev_b32_e64 v8, v6, 0x100000
	v_and_b32_e32 v7, v7, v4
	v_cmp_eq_u32_e64 s16, v7, v8
	v_lshrrev_b32_e32 v7, v6, v4
	v_add_nc_u32_e32 v4, 0xffffff91, v5
	v_lshrrev_b32_e32 v5, 23, v7
	v_cndmask_b32_e64 v4, v4, 0xffffff92, vcc_lo
	v_xor_b32_e32 v5, 1, v5
	v_add_nc_u32_e32 v4, v6, v4
	v_bfe_u32 v6, v7, 21, 1
	v_add_nc_u32_e32 v6, -1, v6
	v_cndmask_b32_e64 v6, 0, v6, s16
	s_mov_b32 s16, exec_lo
	v_add_nc_u32_e32 v6, v6, v7
	v_and_b32_e32 v6, 0x1fffff, v6
	v_add_nc_u32_e32 v6, v6, v7
                                        ; implicit-def: $vgpr7
	v_cmpx_ne_u32_e64 v4, v5
	s_xor_b32 s16, exec_lo, s16
; %bb.13098:                            ;   in Loop: Header=BB6_12577 Depth=3
	v_cmp_lt_u32_e32 vcc_lo, 0xffffff, v6
	v_sub_nc_u32_e32 v4, v4, v5
	v_cndmask_b32_e64 v5, 0, 1, vcc_lo
	v_add_co_ci_u32_e64 v7, null, 0, v4, vcc_lo
	v_lshrrev_b32_e32 v6, v5, v6
; %bb.13099:                            ;   in Loop: Header=BB6_12577 Depth=3
	s_andn2_saveexec_b32 s16, s16
; %bb.13100:                            ;   in Loop: Header=BB6_12577 Depth=3
	v_bfe_u32 v7, v6, 23, 1
; %bb.13101:                            ;   in Loop: Header=BB6_12577 Depth=3
	s_or_b32 exec_lo, exec_lo, s16
	v_lshrrev_b32_e32 v4, 21, v6
	v_min_i32_e32 v5, 31, v7
	v_cmp_gt_i32_e32 vcc_lo, 32, v7
	v_and_b32_sdwa v1, v1, v117 dst_sel:DWORD dst_unused:UNUSED_PAD src0_sel:BYTE_3 src1_sel:DWORD
	v_lshlrev_b32_e32 v5, 2, v5
	v_cndmask_b32_e32 v4, 3, v4, vcc_lo
	v_and_b32_e32 v5, 0xfc, v5
	v_or_b32_e32 v6, v7, v4
	v_and_b32_e32 v4, 3, v4
	v_cmp_ne_u32_e32 vcc_lo, 0, v6
	v_or3_b32 v1, v5, v1, v4
	v_cndmask_b32_e32 v31, 0, v1, vcc_lo
.LBB6_13102:                            ;   in Loop: Header=BB6_12577 Depth=3
	s_or_b32 exec_lo, exec_lo, s73
.LBB6_13103:                            ;   in Loop: Header=BB6_12577 Depth=3
	s_or_b32 exec_lo, exec_lo, s72
	v_cmp_gt_i16_sdwa s72, v9, v116 src0_sel:BYTE_1 src1_sel:DWORD
	s_mov_b32 s16, 0
	s_and_saveexec_b32 s73, s72
	s_xor_b32 s72, exec_lo, s73
	s_cbranch_execz .LBB6_14833
; %bb.13104:                            ;   in Loop: Header=BB6_12577 Depth=3
	v_cmp_eq_u16_sdwa s74, v9, v117 src0_sel:BYTE_1 src1_sel:DWORD
	s_mov_b32 s16, -1
	s_and_saveexec_b32 s73, s74
; %bb.13105:                            ;   in Loop: Header=BB6_12577 Depth=3
	s_xor_b32 s16, exec_lo, -1
; %bb.13106:                            ;   in Loop: Header=BB6_12577 Depth=3
	s_or_b32 exec_lo, exec_lo, s73
	s_and_b32 s16, s16, exec_lo
	s_or_saveexec_b32 s72, s72
	v_mov_b32_e32 v1, 0x7f800001
	s_xor_b32 exec_lo, exec_lo, s72
	s_cbranch_execnz .LBB6_14834
.LBB6_13107:                            ;   in Loop: Header=BB6_12577 Depth=3
	s_or_b32 exec_lo, exec_lo, s72
	s_and_saveexec_b32 s72, s16
	s_cbranch_execz .LBB6_13109
.LBB6_13108:                            ;   in Loop: Header=BB6_12577 Depth=3
	v_and_b32_sdwa v1, v118, v9 dst_sel:DWORD dst_unused:UNUSED_PAD src0_sel:DWORD src1_sel:BYTE_1
	v_and_b32_e32 v4, 3, v1
	v_bfe_u32 v7, v1, 2, 5
	v_ffbh_u32_e32 v5, v4
	v_cmp_eq_u32_e32 vcc_lo, 0, v7
	v_min_u32_e32 v5, 32, v5
	v_subrev_nc_u32_e32 v6, 29, v5
	v_sub_nc_u32_e32 v5, 30, v5
	v_lshlrev_b32_e32 v1, v6, v1
	v_lshlrev_b32_sdwa v6, v119, v9 dst_sel:DWORD dst_unused:UNUSED_PAD src0_sel:DWORD src1_sel:BYTE_1
	v_cndmask_b32_e32 v5, v7, v5, vcc_lo
	v_and_b32_e32 v1, 3, v1
	v_lshl_add_u32 v5, v5, 23, 0x37800000
	v_cndmask_b32_e32 v1, v4, v1, vcc_lo
	v_and_b32_e32 v4, 0x80000000, v6
	v_lshlrev_b32_e32 v1, 21, v1
	v_or3_b32 v1, v4, v5, v1
.LBB6_13109:                            ;   in Loop: Header=BB6_12577 Depth=3
	s_or_b32 exec_lo, exec_lo, s72
	v_mul_f32_e32 v4, s23, v1
	v_and_b32_e32 v1, 0x7f800000, v4
	v_cmp_ne_u32_e32 vcc_lo, 0x7f800000, v1
	v_mov_b32_e32 v1, 0x8000
	s_and_saveexec_b32 s72, vcc_lo
	s_cbranch_execz .LBB6_13117
; %bb.13110:                            ;   in Loop: Header=BB6_12577 Depth=3
	v_mov_b32_e32 v1, 0
	s_mov_b32 s73, exec_lo
	v_cmpx_ne_u32_e32 0, v4
	s_cbranch_execz .LBB6_13116
; %bb.13111:                            ;   in Loop: Header=BB6_12577 Depth=3
	v_bfe_u32 v5, v4, 23, 8
	v_and_b32_e32 v1, 0x7fffff, v4
	v_cmp_gt_u32_e64 s16, 0x71, v5
	v_sub_nc_u32_e32 v6, 0x70, v5
	v_cmp_eq_u32_e32 vcc_lo, 0, v5
	v_or_b32_e32 v7, 0x800000, v1
	v_cndmask_b32_e64 v6, 0, v6, s16
	v_cndmask_b32_e32 v1, v7, v1, vcc_lo
	v_cndmask_b32_e64 v6, v6, 0x6f, vcc_lo
	v_lshl_add_u32 v7, 0x200000, v6, -1
	v_lshlrev_b32_e64 v8, v6, 0x100000
	v_and_b32_e32 v7, v7, v1
	v_cmp_eq_u32_e64 s16, v7, v8
	v_lshrrev_b32_e32 v7, v6, v1
	v_add_nc_u32_e32 v1, 0xffffff91, v5
	v_lshrrev_b32_e32 v5, 23, v7
	v_cndmask_b32_e64 v1, v1, 0xffffff92, vcc_lo
	v_xor_b32_e32 v5, 1, v5
	v_add_nc_u32_e32 v1, v6, v1
	v_bfe_u32 v6, v7, 21, 1
	v_add_nc_u32_e32 v6, -1, v6
	v_cndmask_b32_e64 v6, 0, v6, s16
	s_mov_b32 s16, exec_lo
	v_add_nc_u32_e32 v6, v6, v7
	v_and_b32_e32 v6, 0x1fffff, v6
	v_add_nc_u32_e32 v6, v6, v7
                                        ; implicit-def: $vgpr7
	v_cmpx_ne_u32_e64 v1, v5
	s_xor_b32 s16, exec_lo, s16
; %bb.13112:                            ;   in Loop: Header=BB6_12577 Depth=3
	v_cmp_lt_u32_e32 vcc_lo, 0xffffff, v6
	v_sub_nc_u32_e32 v1, v1, v5
	v_cndmask_b32_e64 v5, 0, 1, vcc_lo
	v_add_co_ci_u32_e64 v7, null, 0, v1, vcc_lo
	v_lshrrev_b32_e32 v6, v5, v6
; %bb.13113:                            ;   in Loop: Header=BB6_12577 Depth=3
	s_andn2_saveexec_b32 s16, s16
; %bb.13114:                            ;   in Loop: Header=BB6_12577 Depth=3
	v_bfe_u32 v7, v6, 23, 1
; %bb.13115:                            ;   in Loop: Header=BB6_12577 Depth=3
	s_or_b32 exec_lo, exec_lo, s16
	v_and_b32_sdwa v1, v4, v117 dst_sel:DWORD dst_unused:UNUSED_PAD src0_sel:BYTE_3 src1_sel:DWORD
	v_lshrrev_b32_e32 v4, 21, v6
	v_min_i32_e32 v5, 31, v7
	v_cmp_gt_i32_e32 vcc_lo, 32, v7
	v_lshlrev_b32_e32 v5, 2, v5
	v_cndmask_b32_e32 v4, 3, v4, vcc_lo
	v_and_b32_e32 v5, 0xfc, v5
	v_or_b32_e32 v6, v7, v4
	v_and_b32_e32 v4, 3, v4
	v_cmp_ne_u32_e32 vcc_lo, 0, v6
	v_or3_b32 v1, v1, v5, v4
	v_lshlrev_b32_e32 v1, 8, v1
	v_cndmask_b32_e32 v1, 0, v1, vcc_lo
.LBB6_13116:                            ;   in Loop: Header=BB6_12577 Depth=3
	s_or_b32 exec_lo, exec_lo, s73
.LBB6_13117:                            ;   in Loop: Header=BB6_12577 Depth=3
	s_or_b32 exec_lo, exec_lo, s72
	v_and_b32_sdwa v5, v9, v40 dst_sel:DWORD dst_unused:UNUSED_PAD src0_sel:WORD_1 src1_sel:DWORD
	s_mov_b32 s72, 0
	s_mov_b32 s16, exec_lo
	v_cmpx_lt_i16_e32 0x7f, v5
	s_xor_b32 s16, exec_lo, s16
	s_cbranch_execz .LBB6_14835
; %bb.13118:                            ;   in Loop: Header=BB6_12577 Depth=3
	s_mov_b32 s72, -1
	s_mov_b32 s73, exec_lo
	v_cmpx_eq_u16_e32 0x80, v5
; %bb.13119:                            ;   in Loop: Header=BB6_12577 Depth=3
	s_xor_b32 s72, exec_lo, -1
; %bb.13120:                            ;   in Loop: Header=BB6_12577 Depth=3
	s_or_b32 exec_lo, exec_lo, s73
	s_and_b32 s72, s72, exec_lo
                                        ; implicit-def: $vgpr5
	s_or_saveexec_b32 s16, s16
	v_mov_b32_e32 v4, 0x7f800001
	s_xor_b32 exec_lo, exec_lo, s16
	s_cbranch_execnz .LBB6_14836
.LBB6_13121:                            ;   in Loop: Header=BB6_12577 Depth=3
	s_or_b32 exec_lo, exec_lo, s16
	s_and_saveexec_b32 s16, s72
	s_cbranch_execz .LBB6_13123
.LBB6_13122:                            ;   in Loop: Header=BB6_12577 Depth=3
	v_bfe_u32 v4, v9, 16, 2
	v_bfe_u32 v5, v9, 18, 5
	v_ffbh_u32_e32 v6, v4
	v_cmp_eq_u32_e32 vcc_lo, 0, v5
	v_min_u32_e32 v6, 32, v6
	v_subrev_nc_u32_e32 v7, 29, v6
	v_sub_nc_u32_e32 v6, 30, v6
	v_lshlrev_b32_sdwa v7, v7, v9 dst_sel:DWORD dst_unused:UNUSED_PAD src0_sel:DWORD src1_sel:WORD_1
	v_cndmask_b32_e32 v5, v5, v6, vcc_lo
	v_lshlrev_b32_e32 v6, 8, v9
	v_and_b32_e32 v7, 3, v7
	v_lshl_add_u32 v5, v5, 23, 0x37800000
	v_and_b32_e32 v6, 0x80000000, v6
	v_cndmask_b32_e32 v4, v4, v7, vcc_lo
	v_lshlrev_b32_e32 v4, 21, v4
	v_or3_b32 v4, v6, v5, v4
.LBB6_13123:                            ;   in Loop: Header=BB6_12577 Depth=3
	s_or_b32 exec_lo, exec_lo, s16
	v_mul_f32_e32 v4, s23, v4
	v_mov_b32_e32 v108, 0x80
	s_mov_b32 s72, exec_lo
	v_and_b32_e32 v5, 0x7f800000, v4
	v_cmpx_ne_u32_e32 0x7f800000, v5
	s_cbranch_execz .LBB6_13131
; %bb.13124:                            ;   in Loop: Header=BB6_12577 Depth=3
	v_mov_b32_e32 v108, 0
	s_mov_b32 s73, exec_lo
	v_cmpx_ne_u32_e32 0, v4
	s_cbranch_execz .LBB6_13130
; %bb.13125:                            ;   in Loop: Header=BB6_12577 Depth=3
	v_bfe_u32 v6, v4, 23, 8
	v_and_b32_e32 v5, 0x7fffff, v4
	v_cmp_gt_u32_e64 s16, 0x71, v6
	v_sub_nc_u32_e32 v7, 0x70, v6
	v_cmp_eq_u32_e32 vcc_lo, 0, v6
	v_or_b32_e32 v8, 0x800000, v5
	v_cndmask_b32_e64 v7, 0, v7, s16
	v_cndmask_b32_e32 v5, v8, v5, vcc_lo
	v_cndmask_b32_e64 v7, v7, 0x6f, vcc_lo
	v_lshl_add_u32 v8, 0x200000, v7, -1
	v_lshlrev_b32_e64 v14, v7, 0x100000
	v_and_b32_e32 v8, v8, v5
	v_cmp_eq_u32_e64 s16, v8, v14
	v_lshrrev_b32_e32 v8, v7, v5
	v_add_nc_u32_e32 v5, 0xffffff91, v6
	v_lshrrev_b32_e32 v6, 23, v8
	v_cndmask_b32_e64 v5, v5, 0xffffff92, vcc_lo
	v_xor_b32_e32 v6, 1, v6
	v_add_nc_u32_e32 v5, v7, v5
	v_bfe_u32 v7, v8, 21, 1
	v_add_nc_u32_e32 v7, -1, v7
	v_cndmask_b32_e64 v7, 0, v7, s16
	s_mov_b32 s16, exec_lo
	v_add_nc_u32_e32 v7, v7, v8
	v_and_b32_e32 v7, 0x1fffff, v7
	v_add_nc_u32_e32 v7, v7, v8
                                        ; implicit-def: $vgpr8
	v_cmpx_ne_u32_e64 v5, v6
	s_xor_b32 s16, exec_lo, s16
; %bb.13126:                            ;   in Loop: Header=BB6_12577 Depth=3
	v_cmp_lt_u32_e32 vcc_lo, 0xffffff, v7
	v_sub_nc_u32_e32 v5, v5, v6
	v_cndmask_b32_e64 v6, 0, 1, vcc_lo
	v_add_co_ci_u32_e64 v8, null, 0, v5, vcc_lo
	v_lshrrev_b32_e32 v7, v6, v7
; %bb.13127:                            ;   in Loop: Header=BB6_12577 Depth=3
	s_andn2_saveexec_b32 s16, s16
; %bb.13128:                            ;   in Loop: Header=BB6_12577 Depth=3
	v_bfe_u32 v8, v7, 23, 1
; %bb.13129:                            ;   in Loop: Header=BB6_12577 Depth=3
	s_or_b32 exec_lo, exec_lo, s16
	v_lshrrev_b32_e32 v5, 21, v7
	v_min_i32_e32 v6, 31, v8
	v_cmp_gt_i32_e32 vcc_lo, 32, v8
	v_and_b32_sdwa v4, v4, v117 dst_sel:DWORD dst_unused:UNUSED_PAD src0_sel:BYTE_3 src1_sel:DWORD
	v_lshlrev_b32_e32 v6, 2, v6
	v_cndmask_b32_e32 v5, 3, v5, vcc_lo
	v_and_b32_e32 v6, 0xfc, v6
	v_or_b32_e32 v7, v8, v5
	v_and_b32_e32 v5, 3, v5
	v_cmp_ne_u32_e32 vcc_lo, 0, v7
	v_or3_b32 v4, v6, v4, v5
	v_cndmask_b32_e32 v108, 0, v4, vcc_lo
.LBB6_13130:                            ;   in Loop: Header=BB6_12577 Depth=3
	s_or_b32 exec_lo, exec_lo, s73
.LBB6_13131:                            ;   in Loop: Header=BB6_12577 Depth=3
	s_or_b32 exec_lo, exec_lo, s72
	v_cmp_gt_i16_sdwa s72, v9, v116 src0_sel:BYTE_3 src1_sel:DWORD
	s_mov_b32 s16, 0
	s_and_saveexec_b32 s73, s72
	s_xor_b32 s72, exec_lo, s73
	s_cbranch_execz .LBB6_14837
; %bb.13132:                            ;   in Loop: Header=BB6_12577 Depth=3
	v_cmp_eq_u16_sdwa s74, v9, v117 src0_sel:BYTE_3 src1_sel:DWORD
	s_mov_b32 s16, -1
	s_and_saveexec_b32 s73, s74
; %bb.13133:                            ;   in Loop: Header=BB6_12577 Depth=3
	s_xor_b32 s16, exec_lo, -1
; %bb.13134:                            ;   in Loop: Header=BB6_12577 Depth=3
	s_or_b32 exec_lo, exec_lo, s73
	s_and_b32 s16, s16, exec_lo
	s_or_saveexec_b32 s72, s72
	v_mov_b32_e32 v4, 0x7f800001
	s_xor_b32 exec_lo, exec_lo, s72
	s_cbranch_execnz .LBB6_14838
.LBB6_13135:                            ;   in Loop: Header=BB6_12577 Depth=3
	s_or_b32 exec_lo, exec_lo, s72
	s_and_saveexec_b32 s72, s16
	s_cbranch_execz .LBB6_13137
.LBB6_13136:                            ;   in Loop: Header=BB6_12577 Depth=3
	v_bfe_u32 v4, v9, 24, 2
	v_bfe_u32 v7, v9, 26, 5
	v_ffbh_u32_e32 v5, v4
	v_cmp_eq_u32_e32 vcc_lo, 0, v7
	v_min_u32_e32 v5, 32, v5
	v_subrev_nc_u32_e32 v6, 29, v5
	v_sub_nc_u32_e32 v5, 30, v5
	v_lshlrev_b32_sdwa v6, v6, v9 dst_sel:DWORD dst_unused:UNUSED_PAD src0_sel:DWORD src1_sel:BYTE_3
	v_cndmask_b32_e32 v5, v7, v5, vcc_lo
	v_and_b32_e32 v6, 3, v6
	v_lshl_add_u32 v5, v5, 23, 0x37800000
	v_cndmask_b32_e32 v4, v4, v6, vcc_lo
	v_and_b32_e32 v6, 0x80000000, v9
	v_lshlrev_b32_e32 v4, 21, v4
	v_or3_b32 v4, v6, v5, v4
.LBB6_13137:                            ;   in Loop: Header=BB6_12577 Depth=3
	s_or_b32 exec_lo, exec_lo, s72
	v_mul_f32_e32 v4, s23, v4
	v_mov_b32_e32 v110, 0x8000
	s_mov_b32 s72, exec_lo
	v_and_b32_e32 v5, 0x7f800000, v4
	v_cmpx_ne_u32_e32 0x7f800000, v5
	s_cbranch_execz .LBB6_13145
; %bb.13138:                            ;   in Loop: Header=BB6_12577 Depth=3
	v_mov_b32_e32 v110, 0
	s_mov_b32 s73, exec_lo
	v_cmpx_ne_u32_e32 0, v4
	s_cbranch_execz .LBB6_13144
; %bb.13139:                            ;   in Loop: Header=BB6_12577 Depth=3
	v_bfe_u32 v6, v4, 23, 8
	v_and_b32_e32 v5, 0x7fffff, v4
	v_cmp_gt_u32_e64 s16, 0x71, v6
	v_sub_nc_u32_e32 v7, 0x70, v6
	v_cmp_eq_u32_e32 vcc_lo, 0, v6
	v_or_b32_e32 v8, 0x800000, v5
	v_cndmask_b32_e64 v7, 0, v7, s16
	v_cndmask_b32_e32 v5, v8, v5, vcc_lo
	v_cndmask_b32_e64 v7, v7, 0x6f, vcc_lo
	v_lshl_add_u32 v8, 0x200000, v7, -1
	v_lshlrev_b32_e64 v9, v7, 0x100000
	v_and_b32_e32 v8, v8, v5
	v_cmp_eq_u32_e64 s16, v8, v9
	v_lshrrev_b32_e32 v8, v7, v5
	v_add_nc_u32_e32 v5, 0xffffff91, v6
	v_lshrrev_b32_e32 v6, 23, v8
	v_cndmask_b32_e64 v5, v5, 0xffffff92, vcc_lo
	v_xor_b32_e32 v6, 1, v6
	v_add_nc_u32_e32 v5, v7, v5
	v_bfe_u32 v7, v8, 21, 1
	v_add_nc_u32_e32 v7, -1, v7
	v_cndmask_b32_e64 v7, 0, v7, s16
	s_mov_b32 s16, exec_lo
	v_add_nc_u32_e32 v7, v7, v8
	v_and_b32_e32 v7, 0x1fffff, v7
	v_add_nc_u32_e32 v7, v7, v8
                                        ; implicit-def: $vgpr8
	v_cmpx_ne_u32_e64 v5, v6
	s_xor_b32 s16, exec_lo, s16
; %bb.13140:                            ;   in Loop: Header=BB6_12577 Depth=3
	v_cmp_lt_u32_e32 vcc_lo, 0xffffff, v7
	v_sub_nc_u32_e32 v5, v5, v6
	v_cndmask_b32_e64 v6, 0, 1, vcc_lo
	v_add_co_ci_u32_e64 v8, null, 0, v5, vcc_lo
	v_lshrrev_b32_e32 v7, v6, v7
; %bb.13141:                            ;   in Loop: Header=BB6_12577 Depth=3
	s_andn2_saveexec_b32 s16, s16
; %bb.13142:                            ;   in Loop: Header=BB6_12577 Depth=3
	v_bfe_u32 v8, v7, 23, 1
; %bb.13143:                            ;   in Loop: Header=BB6_12577 Depth=3
	s_or_b32 exec_lo, exec_lo, s16
	v_lshrrev_b32_e32 v5, 21, v7
	v_min_i32_e32 v6, 31, v8
	v_cmp_gt_i32_e32 vcc_lo, 32, v8
	v_and_b32_sdwa v4, v4, v117 dst_sel:DWORD dst_unused:UNUSED_PAD src0_sel:BYTE_3 src1_sel:DWORD
	v_lshlrev_b32_e32 v6, 2, v6
	v_cndmask_b32_e32 v5, 3, v5, vcc_lo
	v_and_b32_e32 v6, 0xfc, v6
	v_or_b32_e32 v7, v8, v5
	v_and_b32_e32 v5, 3, v5
	v_cmp_ne_u32_e32 vcc_lo, 0, v7
	v_or3_b32 v4, v4, v6, v5
	v_lshlrev_b32_e32 v4, 8, v4
	v_cndmask_b32_e32 v110, 0, v4, vcc_lo
.LBB6_13144:                            ;   in Loop: Header=BB6_12577 Depth=3
	s_or_b32 exec_lo, exec_lo, s73
.LBB6_13145:                            ;   in Loop: Header=BB6_12577 Depth=3
	s_or_b32 exec_lo, exec_lo, s72
	v_cmp_gt_i16_sdwa s16, v10, v116 src0_sel:BYTE_0 src1_sel:DWORD
	s_mov_b32 s72, 0
	s_and_saveexec_b32 s73, s16
	s_xor_b32 s16, exec_lo, s73
	s_cbranch_execz .LBB6_14839
; %bb.13146:                            ;   in Loop: Header=BB6_12577 Depth=3
	v_cmp_eq_u16_sdwa s74, v10, v117 src0_sel:BYTE_0 src1_sel:DWORD
	s_mov_b32 s72, -1
	s_and_saveexec_b32 s73, s74
; %bb.13147:                            ;   in Loop: Header=BB6_12577 Depth=3
	s_xor_b32 s72, exec_lo, -1
; %bb.13148:                            ;   in Loop: Header=BB6_12577 Depth=3
	s_or_b32 exec_lo, exec_lo, s73
	s_and_b32 s72, s72, exec_lo
	s_or_saveexec_b32 s16, s16
	v_mov_b32_e32 v4, 0x7f800001
	s_xor_b32 exec_lo, exec_lo, s16
	s_cbranch_execnz .LBB6_14840
.LBB6_13149:                            ;   in Loop: Header=BB6_12577 Depth=3
	s_or_b32 exec_lo, exec_lo, s16
	s_and_saveexec_b32 s16, s72
	s_cbranch_execz .LBB6_13151
.LBB6_13150:                            ;   in Loop: Header=BB6_12577 Depth=3
	v_and_b32_e32 v4, 3, v10
	v_bfe_u32 v5, v10, 2, 5
	v_ffbh_u32_e32 v6, v4
	v_cmp_eq_u32_e32 vcc_lo, 0, v5
	v_min_u32_e32 v6, 32, v6
	v_subrev_nc_u32_e32 v7, 29, v6
	v_sub_nc_u32_e32 v6, 30, v6
	v_lshlrev_b32_e32 v7, v7, v10
	v_cndmask_b32_e32 v5, v5, v6, vcc_lo
	v_lshlrev_b32_e32 v6, 24, v10
	v_and_b32_e32 v7, 3, v7
	v_lshl_add_u32 v5, v5, 23, 0x37800000
	v_and_b32_e32 v6, 0x80000000, v6
	v_cndmask_b32_e32 v4, v4, v7, vcc_lo
	v_lshlrev_b32_e32 v4, 21, v4
	v_or3_b32 v4, v6, v5, v4
.LBB6_13151:                            ;   in Loop: Header=BB6_12577 Depth=3
	s_or_b32 exec_lo, exec_lo, s16
	v_mul_f32_e32 v4, s23, v4
	v_mov_b32_e32 v106, 0x80
	s_mov_b32 s72, exec_lo
	v_and_b32_e32 v5, 0x7f800000, v4
	v_cmpx_ne_u32_e32 0x7f800000, v5
	s_cbranch_execz .LBB6_13159
; %bb.13152:                            ;   in Loop: Header=BB6_12577 Depth=3
	v_mov_b32_e32 v106, 0
	s_mov_b32 s73, exec_lo
	v_cmpx_ne_u32_e32 0, v4
	s_cbranch_execz .LBB6_13158
; %bb.13153:                            ;   in Loop: Header=BB6_12577 Depth=3
	v_bfe_u32 v6, v4, 23, 8
	v_and_b32_e32 v5, 0x7fffff, v4
	v_cmp_gt_u32_e64 s16, 0x71, v6
	v_sub_nc_u32_e32 v7, 0x70, v6
	v_cmp_eq_u32_e32 vcc_lo, 0, v6
	v_or_b32_e32 v8, 0x800000, v5
	v_cndmask_b32_e64 v7, 0, v7, s16
	v_cndmask_b32_e32 v5, v8, v5, vcc_lo
	v_cndmask_b32_e64 v7, v7, 0x6f, vcc_lo
	v_lshl_add_u32 v8, 0x200000, v7, -1
	v_lshlrev_b32_e64 v9, v7, 0x100000
	v_and_b32_e32 v8, v8, v5
	v_cmp_eq_u32_e64 s16, v8, v9
	v_lshrrev_b32_e32 v8, v7, v5
	v_add_nc_u32_e32 v5, 0xffffff91, v6
	v_lshrrev_b32_e32 v6, 23, v8
	v_cndmask_b32_e64 v5, v5, 0xffffff92, vcc_lo
	v_xor_b32_e32 v6, 1, v6
	v_add_nc_u32_e32 v5, v7, v5
	v_bfe_u32 v7, v8, 21, 1
	v_add_nc_u32_e32 v7, -1, v7
	v_cndmask_b32_e64 v7, 0, v7, s16
	s_mov_b32 s16, exec_lo
	v_add_nc_u32_e32 v7, v7, v8
	v_and_b32_e32 v7, 0x1fffff, v7
	v_add_nc_u32_e32 v7, v7, v8
                                        ; implicit-def: $vgpr8
	v_cmpx_ne_u32_e64 v5, v6
	s_xor_b32 s16, exec_lo, s16
; %bb.13154:                            ;   in Loop: Header=BB6_12577 Depth=3
	v_cmp_lt_u32_e32 vcc_lo, 0xffffff, v7
	v_sub_nc_u32_e32 v5, v5, v6
	v_cndmask_b32_e64 v6, 0, 1, vcc_lo
	v_add_co_ci_u32_e64 v8, null, 0, v5, vcc_lo
	v_lshrrev_b32_e32 v7, v6, v7
; %bb.13155:                            ;   in Loop: Header=BB6_12577 Depth=3
	s_andn2_saveexec_b32 s16, s16
; %bb.13156:                            ;   in Loop: Header=BB6_12577 Depth=3
	v_bfe_u32 v8, v7, 23, 1
; %bb.13157:                            ;   in Loop: Header=BB6_12577 Depth=3
	s_or_b32 exec_lo, exec_lo, s16
	v_lshrrev_b32_e32 v5, 21, v7
	v_min_i32_e32 v6, 31, v8
	v_cmp_gt_i32_e32 vcc_lo, 32, v8
	v_and_b32_sdwa v4, v4, v117 dst_sel:DWORD dst_unused:UNUSED_PAD src0_sel:BYTE_3 src1_sel:DWORD
	v_lshlrev_b32_e32 v6, 2, v6
	v_cndmask_b32_e32 v5, 3, v5, vcc_lo
	v_and_b32_e32 v6, 0xfc, v6
	v_or_b32_e32 v7, v8, v5
	v_and_b32_e32 v5, 3, v5
	v_cmp_ne_u32_e32 vcc_lo, 0, v7
	v_or3_b32 v4, v6, v4, v5
	v_cndmask_b32_e32 v106, 0, v4, vcc_lo
.LBB6_13158:                            ;   in Loop: Header=BB6_12577 Depth=3
	s_or_b32 exec_lo, exec_lo, s73
.LBB6_13159:                            ;   in Loop: Header=BB6_12577 Depth=3
	s_or_b32 exec_lo, exec_lo, s72
	v_cmp_gt_i16_sdwa s72, v10, v116 src0_sel:BYTE_1 src1_sel:DWORD
	s_mov_b32 s16, 0
	s_and_saveexec_b32 s73, s72
	s_xor_b32 s72, exec_lo, s73
	s_cbranch_execz .LBB6_14841
; %bb.13160:                            ;   in Loop: Header=BB6_12577 Depth=3
	v_cmp_eq_u16_sdwa s74, v10, v117 src0_sel:BYTE_1 src1_sel:DWORD
	s_mov_b32 s16, -1
	s_and_saveexec_b32 s73, s74
; %bb.13161:                            ;   in Loop: Header=BB6_12577 Depth=3
	s_xor_b32 s16, exec_lo, -1
; %bb.13162:                            ;   in Loop: Header=BB6_12577 Depth=3
	s_or_b32 exec_lo, exec_lo, s73
	s_and_b32 s16, s16, exec_lo
	s_or_saveexec_b32 s72, s72
	v_mov_b32_e32 v4, 0x7f800001
	s_xor_b32 exec_lo, exec_lo, s72
	s_cbranch_execnz .LBB6_14842
.LBB6_13163:                            ;   in Loop: Header=BB6_12577 Depth=3
	s_or_b32 exec_lo, exec_lo, s72
	s_and_saveexec_b32 s72, s16
	s_cbranch_execz .LBB6_13165
.LBB6_13164:                            ;   in Loop: Header=BB6_12577 Depth=3
	v_and_b32_sdwa v4, v118, v10 dst_sel:DWORD dst_unused:UNUSED_PAD src0_sel:DWORD src1_sel:BYTE_1
	v_and_b32_e32 v5, 3, v4
	v_bfe_u32 v8, v4, 2, 5
	v_ffbh_u32_e32 v6, v5
	v_cmp_eq_u32_e32 vcc_lo, 0, v8
	v_min_u32_e32 v6, 32, v6
	v_subrev_nc_u32_e32 v7, 29, v6
	v_sub_nc_u32_e32 v6, 30, v6
	v_lshlrev_b32_e32 v4, v7, v4
	v_lshlrev_b32_sdwa v7, v119, v10 dst_sel:DWORD dst_unused:UNUSED_PAD src0_sel:DWORD src1_sel:BYTE_1
	v_cndmask_b32_e32 v6, v8, v6, vcc_lo
	v_and_b32_e32 v4, 3, v4
	v_lshl_add_u32 v6, v6, 23, 0x37800000
	v_cndmask_b32_e32 v4, v5, v4, vcc_lo
	v_and_b32_e32 v5, 0x80000000, v7
	v_lshlrev_b32_e32 v4, 21, v4
	v_or3_b32 v4, v5, v6, v4
.LBB6_13165:                            ;   in Loop: Header=BB6_12577 Depth=3
	s_or_b32 exec_lo, exec_lo, s72
	v_mul_f32_e32 v4, s23, v4
	v_mov_b32_e32 v109, 0x8000
	s_mov_b32 s72, exec_lo
	v_and_b32_e32 v5, 0x7f800000, v4
	v_cmpx_ne_u32_e32 0x7f800000, v5
	s_cbranch_execz .LBB6_13173
; %bb.13166:                            ;   in Loop: Header=BB6_12577 Depth=3
	v_mov_b32_e32 v109, 0
	s_mov_b32 s73, exec_lo
	v_cmpx_ne_u32_e32 0, v4
	s_cbranch_execz .LBB6_13172
; %bb.13167:                            ;   in Loop: Header=BB6_12577 Depth=3
	v_bfe_u32 v6, v4, 23, 8
	v_and_b32_e32 v5, 0x7fffff, v4
	v_cmp_gt_u32_e64 s16, 0x71, v6
	v_sub_nc_u32_e32 v7, 0x70, v6
	v_cmp_eq_u32_e32 vcc_lo, 0, v6
	v_or_b32_e32 v8, 0x800000, v5
	v_cndmask_b32_e64 v7, 0, v7, s16
	v_cndmask_b32_e32 v5, v8, v5, vcc_lo
	v_cndmask_b32_e64 v7, v7, 0x6f, vcc_lo
	v_lshl_add_u32 v8, 0x200000, v7, -1
	v_lshlrev_b32_e64 v9, v7, 0x100000
	v_and_b32_e32 v8, v8, v5
	v_cmp_eq_u32_e64 s16, v8, v9
	v_lshrrev_b32_e32 v8, v7, v5
	v_add_nc_u32_e32 v5, 0xffffff91, v6
	v_lshrrev_b32_e32 v6, 23, v8
	v_cndmask_b32_e64 v5, v5, 0xffffff92, vcc_lo
	v_xor_b32_e32 v6, 1, v6
	v_add_nc_u32_e32 v5, v7, v5
	v_bfe_u32 v7, v8, 21, 1
	v_add_nc_u32_e32 v7, -1, v7
	v_cndmask_b32_e64 v7, 0, v7, s16
	s_mov_b32 s16, exec_lo
	v_add_nc_u32_e32 v7, v7, v8
	v_and_b32_e32 v7, 0x1fffff, v7
	v_add_nc_u32_e32 v7, v7, v8
                                        ; implicit-def: $vgpr8
	v_cmpx_ne_u32_e64 v5, v6
	s_xor_b32 s16, exec_lo, s16
; %bb.13168:                            ;   in Loop: Header=BB6_12577 Depth=3
	v_cmp_lt_u32_e32 vcc_lo, 0xffffff, v7
	v_sub_nc_u32_e32 v5, v5, v6
	v_cndmask_b32_e64 v6, 0, 1, vcc_lo
	v_add_co_ci_u32_e64 v8, null, 0, v5, vcc_lo
	v_lshrrev_b32_e32 v7, v6, v7
; %bb.13169:                            ;   in Loop: Header=BB6_12577 Depth=3
	s_andn2_saveexec_b32 s16, s16
; %bb.13170:                            ;   in Loop: Header=BB6_12577 Depth=3
	v_bfe_u32 v8, v7, 23, 1
; %bb.13171:                            ;   in Loop: Header=BB6_12577 Depth=3
	s_or_b32 exec_lo, exec_lo, s16
	v_lshrrev_b32_e32 v5, 21, v7
	v_min_i32_e32 v6, 31, v8
	v_cmp_gt_i32_e32 vcc_lo, 32, v8
	v_and_b32_sdwa v4, v4, v117 dst_sel:DWORD dst_unused:UNUSED_PAD src0_sel:BYTE_3 src1_sel:DWORD
	v_lshlrev_b32_e32 v6, 2, v6
	v_cndmask_b32_e32 v5, 3, v5, vcc_lo
	v_and_b32_e32 v6, 0xfc, v6
	v_or_b32_e32 v7, v8, v5
	v_and_b32_e32 v5, 3, v5
	v_cmp_ne_u32_e32 vcc_lo, 0, v7
	v_or3_b32 v4, v4, v6, v5
	v_lshlrev_b32_e32 v4, 8, v4
	v_cndmask_b32_e32 v109, 0, v4, vcc_lo
.LBB6_13172:                            ;   in Loop: Header=BB6_12577 Depth=3
	s_or_b32 exec_lo, exec_lo, s73
.LBB6_13173:                            ;   in Loop: Header=BB6_12577 Depth=3
	s_or_b32 exec_lo, exec_lo, s72
	v_and_b32_sdwa v5, v10, v40 dst_sel:DWORD dst_unused:UNUSED_PAD src0_sel:WORD_1 src1_sel:DWORD
	s_mov_b32 s72, 0
	s_mov_b32 s16, exec_lo
	v_cmpx_lt_i16_e32 0x7f, v5
	s_xor_b32 s16, exec_lo, s16
	s_cbranch_execz .LBB6_14843
; %bb.13174:                            ;   in Loop: Header=BB6_12577 Depth=3
	s_mov_b32 s72, -1
	s_mov_b32 s73, exec_lo
	v_cmpx_eq_u16_e32 0x80, v5
; %bb.13175:                            ;   in Loop: Header=BB6_12577 Depth=3
	s_xor_b32 s72, exec_lo, -1
; %bb.13176:                            ;   in Loop: Header=BB6_12577 Depth=3
	s_or_b32 exec_lo, exec_lo, s73
	s_and_b32 s72, s72, exec_lo
                                        ; implicit-def: $vgpr5
	s_or_saveexec_b32 s16, s16
	v_mov_b32_e32 v4, 0x7f800001
	s_xor_b32 exec_lo, exec_lo, s16
	s_cbranch_execnz .LBB6_14844
.LBB6_13177:                            ;   in Loop: Header=BB6_12577 Depth=3
	s_or_b32 exec_lo, exec_lo, s16
	s_and_saveexec_b32 s16, s72
	s_cbranch_execz .LBB6_13179
.LBB6_13178:                            ;   in Loop: Header=BB6_12577 Depth=3
	v_bfe_u32 v4, v10, 16, 2
	v_bfe_u32 v5, v10, 18, 5
	v_ffbh_u32_e32 v6, v4
	v_cmp_eq_u32_e32 vcc_lo, 0, v5
	v_min_u32_e32 v6, 32, v6
	v_subrev_nc_u32_e32 v7, 29, v6
	v_sub_nc_u32_e32 v6, 30, v6
	v_lshlrev_b32_sdwa v7, v7, v10 dst_sel:DWORD dst_unused:UNUSED_PAD src0_sel:DWORD src1_sel:WORD_1
	v_cndmask_b32_e32 v5, v5, v6, vcc_lo
	v_lshlrev_b32_e32 v6, 8, v10
	v_and_b32_e32 v7, 3, v7
	v_lshl_add_u32 v5, v5, 23, 0x37800000
	v_and_b32_e32 v6, 0x80000000, v6
	v_cndmask_b32_e32 v4, v4, v7, vcc_lo
	v_lshlrev_b32_e32 v4, 21, v4
	v_or3_b32 v4, v6, v5, v4
.LBB6_13179:                            ;   in Loop: Header=BB6_12577 Depth=3
	s_or_b32 exec_lo, exec_lo, s16
	v_mul_f32_e32 v4, s23, v4
	v_mov_b32_e32 v104, 0x80
	s_mov_b32 s72, exec_lo
	v_and_b32_e32 v5, 0x7f800000, v4
	v_cmpx_ne_u32_e32 0x7f800000, v5
	s_cbranch_execz .LBB6_13187
; %bb.13180:                            ;   in Loop: Header=BB6_12577 Depth=3
	v_mov_b32_e32 v104, 0
	s_mov_b32 s73, exec_lo
	v_cmpx_ne_u32_e32 0, v4
	s_cbranch_execz .LBB6_13186
; %bb.13181:                            ;   in Loop: Header=BB6_12577 Depth=3
	v_bfe_u32 v6, v4, 23, 8
	v_and_b32_e32 v5, 0x7fffff, v4
	v_cmp_gt_u32_e64 s16, 0x71, v6
	v_sub_nc_u32_e32 v7, 0x70, v6
	v_cmp_eq_u32_e32 vcc_lo, 0, v6
	v_or_b32_e32 v8, 0x800000, v5
	v_cndmask_b32_e64 v7, 0, v7, s16
	v_cndmask_b32_e32 v5, v8, v5, vcc_lo
	v_cndmask_b32_e64 v7, v7, 0x6f, vcc_lo
	v_lshl_add_u32 v8, 0x200000, v7, -1
	v_lshlrev_b32_e64 v9, v7, 0x100000
	v_and_b32_e32 v8, v8, v5
	v_cmp_eq_u32_e64 s16, v8, v9
	v_lshrrev_b32_e32 v8, v7, v5
	v_add_nc_u32_e32 v5, 0xffffff91, v6
	v_lshrrev_b32_e32 v6, 23, v8
	v_cndmask_b32_e64 v5, v5, 0xffffff92, vcc_lo
	v_xor_b32_e32 v6, 1, v6
	v_add_nc_u32_e32 v5, v7, v5
	v_bfe_u32 v7, v8, 21, 1
	v_add_nc_u32_e32 v7, -1, v7
	v_cndmask_b32_e64 v7, 0, v7, s16
	s_mov_b32 s16, exec_lo
	v_add_nc_u32_e32 v7, v7, v8
	v_and_b32_e32 v7, 0x1fffff, v7
	v_add_nc_u32_e32 v7, v7, v8
                                        ; implicit-def: $vgpr8
	v_cmpx_ne_u32_e64 v5, v6
	s_xor_b32 s16, exec_lo, s16
; %bb.13182:                            ;   in Loop: Header=BB6_12577 Depth=3
	v_cmp_lt_u32_e32 vcc_lo, 0xffffff, v7
	v_sub_nc_u32_e32 v5, v5, v6
	v_cndmask_b32_e64 v6, 0, 1, vcc_lo
	v_add_co_ci_u32_e64 v8, null, 0, v5, vcc_lo
	v_lshrrev_b32_e32 v7, v6, v7
; %bb.13183:                            ;   in Loop: Header=BB6_12577 Depth=3
	s_andn2_saveexec_b32 s16, s16
; %bb.13184:                            ;   in Loop: Header=BB6_12577 Depth=3
	v_bfe_u32 v8, v7, 23, 1
; %bb.13185:                            ;   in Loop: Header=BB6_12577 Depth=3
	s_or_b32 exec_lo, exec_lo, s16
	v_lshrrev_b32_e32 v5, 21, v7
	v_min_i32_e32 v6, 31, v8
	v_cmp_gt_i32_e32 vcc_lo, 32, v8
	v_and_b32_sdwa v4, v4, v117 dst_sel:DWORD dst_unused:UNUSED_PAD src0_sel:BYTE_3 src1_sel:DWORD
	v_lshlrev_b32_e32 v6, 2, v6
	v_cndmask_b32_e32 v5, 3, v5, vcc_lo
	v_and_b32_e32 v6, 0xfc, v6
	v_or_b32_e32 v7, v8, v5
	v_and_b32_e32 v5, 3, v5
	v_cmp_ne_u32_e32 vcc_lo, 0, v7
	v_or3_b32 v4, v6, v4, v5
	v_cndmask_b32_e32 v104, 0, v4, vcc_lo
.LBB6_13186:                            ;   in Loop: Header=BB6_12577 Depth=3
	s_or_b32 exec_lo, exec_lo, s73
.LBB6_13187:                            ;   in Loop: Header=BB6_12577 Depth=3
	s_or_b32 exec_lo, exec_lo, s72
	v_cmp_gt_i16_sdwa s72, v10, v116 src0_sel:BYTE_3 src1_sel:DWORD
	s_mov_b32 s16, 0
	s_and_saveexec_b32 s73, s72
	s_xor_b32 s72, exec_lo, s73
	s_cbranch_execz .LBB6_14845
; %bb.13188:                            ;   in Loop: Header=BB6_12577 Depth=3
	v_cmp_eq_u16_sdwa s74, v10, v117 src0_sel:BYTE_3 src1_sel:DWORD
	s_mov_b32 s16, -1
	s_and_saveexec_b32 s73, s74
; %bb.13189:                            ;   in Loop: Header=BB6_12577 Depth=3
	s_xor_b32 s16, exec_lo, -1
; %bb.13190:                            ;   in Loop: Header=BB6_12577 Depth=3
	s_or_b32 exec_lo, exec_lo, s73
	s_and_b32 s16, s16, exec_lo
	s_or_saveexec_b32 s72, s72
	v_mov_b32_e32 v4, 0x7f800001
	s_xor_b32 exec_lo, exec_lo, s72
	s_cbranch_execnz .LBB6_14846
.LBB6_13191:                            ;   in Loop: Header=BB6_12577 Depth=3
	s_or_b32 exec_lo, exec_lo, s72
	s_and_saveexec_b32 s72, s16
	s_cbranch_execz .LBB6_13193
.LBB6_13192:                            ;   in Loop: Header=BB6_12577 Depth=3
	v_bfe_u32 v4, v10, 24, 2
	v_bfe_u32 v7, v10, 26, 5
	v_ffbh_u32_e32 v5, v4
	v_cmp_eq_u32_e32 vcc_lo, 0, v7
	v_min_u32_e32 v5, 32, v5
	v_subrev_nc_u32_e32 v6, 29, v5
	v_sub_nc_u32_e32 v5, 30, v5
	v_lshlrev_b32_sdwa v6, v6, v10 dst_sel:DWORD dst_unused:UNUSED_PAD src0_sel:DWORD src1_sel:BYTE_3
	v_cndmask_b32_e32 v5, v7, v5, vcc_lo
	v_and_b32_e32 v6, 3, v6
	v_lshl_add_u32 v5, v5, 23, 0x37800000
	v_cndmask_b32_e32 v4, v4, v6, vcc_lo
	v_and_b32_e32 v6, 0x80000000, v10
	v_lshlrev_b32_e32 v4, 21, v4
	v_or3_b32 v4, v6, v5, v4
.LBB6_13193:                            ;   in Loop: Header=BB6_12577 Depth=3
	s_or_b32 exec_lo, exec_lo, s72
	v_mul_f32_e32 v4, s23, v4
	v_mov_b32_e32 v112, 0x8000
	s_mov_b32 s72, exec_lo
	v_and_b32_e32 v5, 0x7f800000, v4
	v_cmpx_ne_u32_e32 0x7f800000, v5
	s_cbranch_execz .LBB6_13201
; %bb.13194:                            ;   in Loop: Header=BB6_12577 Depth=3
	v_mov_b32_e32 v112, 0
	s_mov_b32 s73, exec_lo
	v_cmpx_ne_u32_e32 0, v4
	s_cbranch_execz .LBB6_13200
; %bb.13195:                            ;   in Loop: Header=BB6_12577 Depth=3
	v_bfe_u32 v6, v4, 23, 8
	v_and_b32_e32 v5, 0x7fffff, v4
	v_cmp_gt_u32_e64 s16, 0x71, v6
	v_sub_nc_u32_e32 v7, 0x70, v6
	v_cmp_eq_u32_e32 vcc_lo, 0, v6
	v_or_b32_e32 v8, 0x800000, v5
	v_cndmask_b32_e64 v7, 0, v7, s16
	v_cndmask_b32_e32 v5, v8, v5, vcc_lo
	v_cndmask_b32_e64 v7, v7, 0x6f, vcc_lo
	v_lshl_add_u32 v8, 0x200000, v7, -1
	v_lshlrev_b32_e64 v9, v7, 0x100000
	v_and_b32_e32 v8, v8, v5
	v_cmp_eq_u32_e64 s16, v8, v9
	v_lshrrev_b32_e32 v8, v7, v5
	v_add_nc_u32_e32 v5, 0xffffff91, v6
	v_lshrrev_b32_e32 v6, 23, v8
	v_cndmask_b32_e64 v5, v5, 0xffffff92, vcc_lo
	v_xor_b32_e32 v6, 1, v6
	v_add_nc_u32_e32 v5, v7, v5
	v_bfe_u32 v7, v8, 21, 1
	v_add_nc_u32_e32 v7, -1, v7
	v_cndmask_b32_e64 v7, 0, v7, s16
	s_mov_b32 s16, exec_lo
	v_add_nc_u32_e32 v7, v7, v8
	v_and_b32_e32 v7, 0x1fffff, v7
	v_add_nc_u32_e32 v7, v7, v8
                                        ; implicit-def: $vgpr8
	v_cmpx_ne_u32_e64 v5, v6
	s_xor_b32 s16, exec_lo, s16
; %bb.13196:                            ;   in Loop: Header=BB6_12577 Depth=3
	v_cmp_lt_u32_e32 vcc_lo, 0xffffff, v7
	v_sub_nc_u32_e32 v5, v5, v6
	v_cndmask_b32_e64 v6, 0, 1, vcc_lo
	v_add_co_ci_u32_e64 v8, null, 0, v5, vcc_lo
	v_lshrrev_b32_e32 v7, v6, v7
; %bb.13197:                            ;   in Loop: Header=BB6_12577 Depth=3
	s_andn2_saveexec_b32 s16, s16
; %bb.13198:                            ;   in Loop: Header=BB6_12577 Depth=3
	v_bfe_u32 v8, v7, 23, 1
; %bb.13199:                            ;   in Loop: Header=BB6_12577 Depth=3
	s_or_b32 exec_lo, exec_lo, s16
	v_lshrrev_b32_e32 v5, 21, v7
	v_min_i32_e32 v6, 31, v8
	v_cmp_gt_i32_e32 vcc_lo, 32, v8
	v_and_b32_sdwa v4, v4, v117 dst_sel:DWORD dst_unused:UNUSED_PAD src0_sel:BYTE_3 src1_sel:DWORD
	v_lshlrev_b32_e32 v6, 2, v6
	v_cndmask_b32_e32 v5, 3, v5, vcc_lo
	v_and_b32_e32 v6, 0xfc, v6
	v_or_b32_e32 v7, v8, v5
	v_and_b32_e32 v5, 3, v5
	v_cmp_ne_u32_e32 vcc_lo, 0, v7
	v_or3_b32 v4, v4, v6, v5
	v_lshlrev_b32_e32 v4, 8, v4
	v_cndmask_b32_e32 v112, 0, v4, vcc_lo
.LBB6_13200:                            ;   in Loop: Header=BB6_12577 Depth=3
	s_or_b32 exec_lo, exec_lo, s73
.LBB6_13201:                            ;   in Loop: Header=BB6_12577 Depth=3
	s_or_b32 exec_lo, exec_lo, s72
	v_cmp_gt_i16_sdwa s16, v11, v116 src0_sel:BYTE_0 src1_sel:DWORD
	s_mov_b32 s72, 0
	s_and_saveexec_b32 s73, s16
	s_xor_b32 s16, exec_lo, s73
	s_cbranch_execz .LBB6_14847
; %bb.13202:                            ;   in Loop: Header=BB6_12577 Depth=3
	v_cmp_eq_u16_sdwa s74, v11, v117 src0_sel:BYTE_0 src1_sel:DWORD
	s_mov_b32 s72, -1
	s_and_saveexec_b32 s73, s74
; %bb.13203:                            ;   in Loop: Header=BB6_12577 Depth=3
	s_xor_b32 s72, exec_lo, -1
; %bb.13204:                            ;   in Loop: Header=BB6_12577 Depth=3
	s_or_b32 exec_lo, exec_lo, s73
	s_and_b32 s72, s72, exec_lo
	s_or_saveexec_b32 s16, s16
	v_mov_b32_e32 v4, 0x7f800001
	s_xor_b32 exec_lo, exec_lo, s16
	s_cbranch_execnz .LBB6_14848
.LBB6_13205:                            ;   in Loop: Header=BB6_12577 Depth=3
	s_or_b32 exec_lo, exec_lo, s16
	s_and_saveexec_b32 s16, s72
	s_cbranch_execz .LBB6_13207
.LBB6_13206:                            ;   in Loop: Header=BB6_12577 Depth=3
	v_and_b32_e32 v4, 3, v11
	v_bfe_u32 v5, v11, 2, 5
	v_ffbh_u32_e32 v6, v4
	v_cmp_eq_u32_e32 vcc_lo, 0, v5
	v_min_u32_e32 v6, 32, v6
	v_subrev_nc_u32_e32 v7, 29, v6
	v_sub_nc_u32_e32 v6, 30, v6
	v_lshlrev_b32_e32 v7, v7, v11
	v_cndmask_b32_e32 v5, v5, v6, vcc_lo
	v_lshlrev_b32_e32 v6, 24, v11
	v_and_b32_e32 v7, 3, v7
	v_lshl_add_u32 v5, v5, 23, 0x37800000
	v_and_b32_e32 v6, 0x80000000, v6
	v_cndmask_b32_e32 v4, v4, v7, vcc_lo
	v_lshlrev_b32_e32 v4, 21, v4
	v_or3_b32 v4, v6, v5, v4
.LBB6_13207:                            ;   in Loop: Header=BB6_12577 Depth=3
	s_or_b32 exec_lo, exec_lo, s16
	v_mul_f32_e32 v4, s23, v4
	v_mov_b32_e32 v51, 0x80
	s_mov_b32 s72, exec_lo
	v_and_b32_e32 v5, 0x7f800000, v4
	v_cmpx_ne_u32_e32 0x7f800000, v5
	s_cbranch_execz .LBB6_13215
; %bb.13208:                            ;   in Loop: Header=BB6_12577 Depth=3
	v_mov_b32_e32 v51, 0
	s_mov_b32 s73, exec_lo
	v_cmpx_ne_u32_e32 0, v4
	s_cbranch_execz .LBB6_13214
; %bb.13209:                            ;   in Loop: Header=BB6_12577 Depth=3
	v_bfe_u32 v6, v4, 23, 8
	v_and_b32_e32 v5, 0x7fffff, v4
	v_cmp_gt_u32_e64 s16, 0x71, v6
	v_sub_nc_u32_e32 v7, 0x70, v6
	v_cmp_eq_u32_e32 vcc_lo, 0, v6
	v_or_b32_e32 v8, 0x800000, v5
	v_cndmask_b32_e64 v7, 0, v7, s16
	v_cndmask_b32_e32 v5, v8, v5, vcc_lo
	v_cndmask_b32_e64 v7, v7, 0x6f, vcc_lo
	v_lshl_add_u32 v8, 0x200000, v7, -1
	v_lshlrev_b32_e64 v9, v7, 0x100000
	v_and_b32_e32 v8, v8, v5
	v_cmp_eq_u32_e64 s16, v8, v9
	v_lshrrev_b32_e32 v8, v7, v5
	v_add_nc_u32_e32 v5, 0xffffff91, v6
	v_lshrrev_b32_e32 v6, 23, v8
	v_cndmask_b32_e64 v5, v5, 0xffffff92, vcc_lo
	v_xor_b32_e32 v6, 1, v6
	v_add_nc_u32_e32 v5, v7, v5
	v_bfe_u32 v7, v8, 21, 1
	v_add_nc_u32_e32 v7, -1, v7
	v_cndmask_b32_e64 v7, 0, v7, s16
	s_mov_b32 s16, exec_lo
	v_add_nc_u32_e32 v7, v7, v8
	v_and_b32_e32 v7, 0x1fffff, v7
	v_add_nc_u32_e32 v7, v7, v8
                                        ; implicit-def: $vgpr8
	v_cmpx_ne_u32_e64 v5, v6
	s_xor_b32 s16, exec_lo, s16
; %bb.13210:                            ;   in Loop: Header=BB6_12577 Depth=3
	v_cmp_lt_u32_e32 vcc_lo, 0xffffff, v7
	v_sub_nc_u32_e32 v5, v5, v6
	v_cndmask_b32_e64 v6, 0, 1, vcc_lo
	v_add_co_ci_u32_e64 v8, null, 0, v5, vcc_lo
	v_lshrrev_b32_e32 v7, v6, v7
; %bb.13211:                            ;   in Loop: Header=BB6_12577 Depth=3
	s_andn2_saveexec_b32 s16, s16
; %bb.13212:                            ;   in Loop: Header=BB6_12577 Depth=3
	v_bfe_u32 v8, v7, 23, 1
; %bb.13213:                            ;   in Loop: Header=BB6_12577 Depth=3
	s_or_b32 exec_lo, exec_lo, s16
	v_lshrrev_b32_e32 v5, 21, v7
	v_min_i32_e32 v6, 31, v8
	v_cmp_gt_i32_e32 vcc_lo, 32, v8
	v_and_b32_sdwa v4, v4, v117 dst_sel:DWORD dst_unused:UNUSED_PAD src0_sel:BYTE_3 src1_sel:DWORD
	v_lshlrev_b32_e32 v6, 2, v6
	v_cndmask_b32_e32 v5, 3, v5, vcc_lo
	v_and_b32_e32 v6, 0xfc, v6
	v_or_b32_e32 v7, v8, v5
	v_and_b32_e32 v5, 3, v5
	v_cmp_ne_u32_e32 vcc_lo, 0, v7
	v_or3_b32 v4, v6, v4, v5
	v_cndmask_b32_e32 v51, 0, v4, vcc_lo
.LBB6_13214:                            ;   in Loop: Header=BB6_12577 Depth=3
	s_or_b32 exec_lo, exec_lo, s73
.LBB6_13215:                            ;   in Loop: Header=BB6_12577 Depth=3
	s_or_b32 exec_lo, exec_lo, s72
	v_cmp_gt_i16_sdwa s72, v11, v116 src0_sel:BYTE_1 src1_sel:DWORD
	s_mov_b32 s16, 0
	s_and_saveexec_b32 s73, s72
	s_xor_b32 s72, exec_lo, s73
	s_cbranch_execz .LBB6_14849
; %bb.13216:                            ;   in Loop: Header=BB6_12577 Depth=3
	v_cmp_eq_u16_sdwa s74, v11, v117 src0_sel:BYTE_1 src1_sel:DWORD
	s_mov_b32 s16, -1
	s_and_saveexec_b32 s73, s74
; %bb.13217:                            ;   in Loop: Header=BB6_12577 Depth=3
	s_xor_b32 s16, exec_lo, -1
; %bb.13218:                            ;   in Loop: Header=BB6_12577 Depth=3
	s_or_b32 exec_lo, exec_lo, s73
	s_and_b32 s16, s16, exec_lo
	s_or_saveexec_b32 s72, s72
	v_mov_b32_e32 v4, 0x7f800001
	s_xor_b32 exec_lo, exec_lo, s72
	s_cbranch_execnz .LBB6_14850
.LBB6_13219:                            ;   in Loop: Header=BB6_12577 Depth=3
	s_or_b32 exec_lo, exec_lo, s72
	s_and_saveexec_b32 s72, s16
	s_cbranch_execz .LBB6_13221
.LBB6_13220:                            ;   in Loop: Header=BB6_12577 Depth=3
	v_and_b32_sdwa v4, v118, v11 dst_sel:DWORD dst_unused:UNUSED_PAD src0_sel:DWORD src1_sel:BYTE_1
	v_and_b32_e32 v5, 3, v4
	v_bfe_u32 v8, v4, 2, 5
	v_ffbh_u32_e32 v6, v5
	v_cmp_eq_u32_e32 vcc_lo, 0, v8
	v_min_u32_e32 v6, 32, v6
	v_subrev_nc_u32_e32 v7, 29, v6
	v_sub_nc_u32_e32 v6, 30, v6
	v_lshlrev_b32_e32 v4, v7, v4
	v_lshlrev_b32_sdwa v7, v119, v11 dst_sel:DWORD dst_unused:UNUSED_PAD src0_sel:DWORD src1_sel:BYTE_1
	v_cndmask_b32_e32 v6, v8, v6, vcc_lo
	v_and_b32_e32 v4, 3, v4
	v_lshl_add_u32 v6, v6, 23, 0x37800000
	v_cndmask_b32_e32 v4, v5, v4, vcc_lo
	v_and_b32_e32 v5, 0x80000000, v7
	v_lshlrev_b32_e32 v4, 21, v4
	v_or3_b32 v4, v5, v6, v4
.LBB6_13221:                            ;   in Loop: Header=BB6_12577 Depth=3
	s_or_b32 exec_lo, exec_lo, s72
	v_mul_f32_e32 v4, s23, v4
	v_mov_b32_e32 v105, 0x8000
	s_mov_b32 s72, exec_lo
	v_and_b32_e32 v5, 0x7f800000, v4
	v_cmpx_ne_u32_e32 0x7f800000, v5
	s_cbranch_execz .LBB6_13229
; %bb.13222:                            ;   in Loop: Header=BB6_12577 Depth=3
	v_mov_b32_e32 v105, 0
	s_mov_b32 s73, exec_lo
	v_cmpx_ne_u32_e32 0, v4
	s_cbranch_execz .LBB6_13228
; %bb.13223:                            ;   in Loop: Header=BB6_12577 Depth=3
	v_bfe_u32 v6, v4, 23, 8
	v_and_b32_e32 v5, 0x7fffff, v4
	v_cmp_gt_u32_e64 s16, 0x71, v6
	v_sub_nc_u32_e32 v7, 0x70, v6
	v_cmp_eq_u32_e32 vcc_lo, 0, v6
	v_or_b32_e32 v8, 0x800000, v5
	v_cndmask_b32_e64 v7, 0, v7, s16
	v_cndmask_b32_e32 v5, v8, v5, vcc_lo
	v_cndmask_b32_e64 v7, v7, 0x6f, vcc_lo
	v_lshl_add_u32 v8, 0x200000, v7, -1
	v_lshlrev_b32_e64 v9, v7, 0x100000
	v_and_b32_e32 v8, v8, v5
	v_cmp_eq_u32_e64 s16, v8, v9
	v_lshrrev_b32_e32 v8, v7, v5
	v_add_nc_u32_e32 v5, 0xffffff91, v6
	v_lshrrev_b32_e32 v6, 23, v8
	v_cndmask_b32_e64 v5, v5, 0xffffff92, vcc_lo
	v_xor_b32_e32 v6, 1, v6
	v_add_nc_u32_e32 v5, v7, v5
	v_bfe_u32 v7, v8, 21, 1
	v_add_nc_u32_e32 v7, -1, v7
	v_cndmask_b32_e64 v7, 0, v7, s16
	s_mov_b32 s16, exec_lo
	v_add_nc_u32_e32 v7, v7, v8
	v_and_b32_e32 v7, 0x1fffff, v7
	v_add_nc_u32_e32 v7, v7, v8
                                        ; implicit-def: $vgpr8
	v_cmpx_ne_u32_e64 v5, v6
	s_xor_b32 s16, exec_lo, s16
; %bb.13224:                            ;   in Loop: Header=BB6_12577 Depth=3
	v_cmp_lt_u32_e32 vcc_lo, 0xffffff, v7
	v_sub_nc_u32_e32 v5, v5, v6
	v_cndmask_b32_e64 v6, 0, 1, vcc_lo
	v_add_co_ci_u32_e64 v8, null, 0, v5, vcc_lo
	v_lshrrev_b32_e32 v7, v6, v7
; %bb.13225:                            ;   in Loop: Header=BB6_12577 Depth=3
	s_andn2_saveexec_b32 s16, s16
; %bb.13226:                            ;   in Loop: Header=BB6_12577 Depth=3
	v_bfe_u32 v8, v7, 23, 1
; %bb.13227:                            ;   in Loop: Header=BB6_12577 Depth=3
	s_or_b32 exec_lo, exec_lo, s16
	v_lshrrev_b32_e32 v5, 21, v7
	v_min_i32_e32 v6, 31, v8
	v_cmp_gt_i32_e32 vcc_lo, 32, v8
	v_and_b32_sdwa v4, v4, v117 dst_sel:DWORD dst_unused:UNUSED_PAD src0_sel:BYTE_3 src1_sel:DWORD
	v_lshlrev_b32_e32 v6, 2, v6
	v_cndmask_b32_e32 v5, 3, v5, vcc_lo
	v_and_b32_e32 v6, 0xfc, v6
	v_or_b32_e32 v7, v8, v5
	v_and_b32_e32 v5, 3, v5
	v_cmp_ne_u32_e32 vcc_lo, 0, v7
	v_or3_b32 v4, v4, v6, v5
	v_lshlrev_b32_e32 v4, 8, v4
	v_cndmask_b32_e32 v105, 0, v4, vcc_lo
.LBB6_13228:                            ;   in Loop: Header=BB6_12577 Depth=3
	s_or_b32 exec_lo, exec_lo, s73
.LBB6_13229:                            ;   in Loop: Header=BB6_12577 Depth=3
	s_or_b32 exec_lo, exec_lo, s72
	v_and_b32_sdwa v5, v11, v40 dst_sel:DWORD dst_unused:UNUSED_PAD src0_sel:WORD_1 src1_sel:DWORD
	s_mov_b32 s72, 0
	s_mov_b32 s16, exec_lo
	v_cmpx_lt_i16_e32 0x7f, v5
	s_xor_b32 s16, exec_lo, s16
	s_cbranch_execz .LBB6_14851
; %bb.13230:                            ;   in Loop: Header=BB6_12577 Depth=3
	s_mov_b32 s72, -1
	s_mov_b32 s73, exec_lo
	v_cmpx_eq_u16_e32 0x80, v5
; %bb.13231:                            ;   in Loop: Header=BB6_12577 Depth=3
	s_xor_b32 s72, exec_lo, -1
; %bb.13232:                            ;   in Loop: Header=BB6_12577 Depth=3
	s_or_b32 exec_lo, exec_lo, s73
	s_and_b32 s72, s72, exec_lo
                                        ; implicit-def: $vgpr5
	s_or_saveexec_b32 s16, s16
	v_mov_b32_e32 v4, 0x7f800001
	s_xor_b32 exec_lo, exec_lo, s16
	s_cbranch_execnz .LBB6_14852
.LBB6_13233:                            ;   in Loop: Header=BB6_12577 Depth=3
	s_or_b32 exec_lo, exec_lo, s16
	s_and_saveexec_b32 s16, s72
	s_cbranch_execz .LBB6_13235
.LBB6_13234:                            ;   in Loop: Header=BB6_12577 Depth=3
	v_bfe_u32 v4, v11, 16, 2
	v_bfe_u32 v5, v11, 18, 5
	v_ffbh_u32_e32 v6, v4
	v_cmp_eq_u32_e32 vcc_lo, 0, v5
	v_min_u32_e32 v6, 32, v6
	v_subrev_nc_u32_e32 v7, 29, v6
	v_sub_nc_u32_e32 v6, 30, v6
	v_lshlrev_b32_sdwa v7, v7, v11 dst_sel:DWORD dst_unused:UNUSED_PAD src0_sel:DWORD src1_sel:WORD_1
	v_cndmask_b32_e32 v5, v5, v6, vcc_lo
	v_lshlrev_b32_e32 v6, 8, v11
	v_and_b32_e32 v7, 3, v7
	v_lshl_add_u32 v5, v5, 23, 0x37800000
	v_and_b32_e32 v6, 0x80000000, v6
	v_cndmask_b32_e32 v4, v4, v7, vcc_lo
	v_lshlrev_b32_e32 v4, 21, v4
	v_or3_b32 v4, v6, v5, v4
.LBB6_13235:                            ;   in Loop: Header=BB6_12577 Depth=3
	s_or_b32 exec_lo, exec_lo, s16
	v_mul_f32_e32 v4, s23, v4
	v_mov_b32_e32 v93, 0x80
	s_mov_b32 s72, exec_lo
	v_and_b32_e32 v5, 0x7f800000, v4
	v_cmpx_ne_u32_e32 0x7f800000, v5
	s_cbranch_execz .LBB6_13243
; %bb.13236:                            ;   in Loop: Header=BB6_12577 Depth=3
	v_mov_b32_e32 v93, 0
	s_mov_b32 s73, exec_lo
	v_cmpx_ne_u32_e32 0, v4
	s_cbranch_execz .LBB6_13242
; %bb.13237:                            ;   in Loop: Header=BB6_12577 Depth=3
	v_bfe_u32 v6, v4, 23, 8
	v_and_b32_e32 v5, 0x7fffff, v4
	v_cmp_gt_u32_e64 s16, 0x71, v6
	v_sub_nc_u32_e32 v7, 0x70, v6
	v_cmp_eq_u32_e32 vcc_lo, 0, v6
	v_or_b32_e32 v8, 0x800000, v5
	v_cndmask_b32_e64 v7, 0, v7, s16
	v_cndmask_b32_e32 v5, v8, v5, vcc_lo
	v_cndmask_b32_e64 v7, v7, 0x6f, vcc_lo
	v_lshl_add_u32 v8, 0x200000, v7, -1
	v_lshlrev_b32_e64 v9, v7, 0x100000
	v_and_b32_e32 v8, v8, v5
	v_cmp_eq_u32_e64 s16, v8, v9
	v_lshrrev_b32_e32 v8, v7, v5
	v_add_nc_u32_e32 v5, 0xffffff91, v6
	v_lshrrev_b32_e32 v6, 23, v8
	v_cndmask_b32_e64 v5, v5, 0xffffff92, vcc_lo
	v_xor_b32_e32 v6, 1, v6
	v_add_nc_u32_e32 v5, v7, v5
	v_bfe_u32 v7, v8, 21, 1
	v_add_nc_u32_e32 v7, -1, v7
	v_cndmask_b32_e64 v7, 0, v7, s16
	s_mov_b32 s16, exec_lo
	v_add_nc_u32_e32 v7, v7, v8
	v_and_b32_e32 v7, 0x1fffff, v7
	v_add_nc_u32_e32 v7, v7, v8
                                        ; implicit-def: $vgpr8
	v_cmpx_ne_u32_e64 v5, v6
	s_xor_b32 s16, exec_lo, s16
; %bb.13238:                            ;   in Loop: Header=BB6_12577 Depth=3
	v_cmp_lt_u32_e32 vcc_lo, 0xffffff, v7
	v_sub_nc_u32_e32 v5, v5, v6
	v_cndmask_b32_e64 v6, 0, 1, vcc_lo
	v_add_co_ci_u32_e64 v8, null, 0, v5, vcc_lo
	v_lshrrev_b32_e32 v7, v6, v7
; %bb.13239:                            ;   in Loop: Header=BB6_12577 Depth=3
	s_andn2_saveexec_b32 s16, s16
; %bb.13240:                            ;   in Loop: Header=BB6_12577 Depth=3
	v_bfe_u32 v8, v7, 23, 1
; %bb.13241:                            ;   in Loop: Header=BB6_12577 Depth=3
	s_or_b32 exec_lo, exec_lo, s16
	v_lshrrev_b32_e32 v5, 21, v7
	v_min_i32_e32 v6, 31, v8
	v_cmp_gt_i32_e32 vcc_lo, 32, v8
	v_and_b32_sdwa v4, v4, v117 dst_sel:DWORD dst_unused:UNUSED_PAD src0_sel:BYTE_3 src1_sel:DWORD
	v_lshlrev_b32_e32 v6, 2, v6
	v_cndmask_b32_e32 v5, 3, v5, vcc_lo
	v_and_b32_e32 v6, 0xfc, v6
	v_or_b32_e32 v7, v8, v5
	v_and_b32_e32 v5, 3, v5
	v_cmp_ne_u32_e32 vcc_lo, 0, v7
	v_or3_b32 v4, v6, v4, v5
	v_cndmask_b32_e32 v93, 0, v4, vcc_lo
.LBB6_13242:                            ;   in Loop: Header=BB6_12577 Depth=3
	s_or_b32 exec_lo, exec_lo, s73
.LBB6_13243:                            ;   in Loop: Header=BB6_12577 Depth=3
	s_or_b32 exec_lo, exec_lo, s72
	v_cmp_gt_i16_sdwa s72, v11, v116 src0_sel:BYTE_3 src1_sel:DWORD
	s_mov_b32 s16, 0
	s_and_saveexec_b32 s73, s72
	s_xor_b32 s72, exec_lo, s73
	s_cbranch_execz .LBB6_14853
; %bb.13244:                            ;   in Loop: Header=BB6_12577 Depth=3
	v_cmp_eq_u16_sdwa s74, v11, v117 src0_sel:BYTE_3 src1_sel:DWORD
	s_mov_b32 s16, -1
	s_and_saveexec_b32 s73, s74
; %bb.13245:                            ;   in Loop: Header=BB6_12577 Depth=3
	s_xor_b32 s16, exec_lo, -1
; %bb.13246:                            ;   in Loop: Header=BB6_12577 Depth=3
	s_or_b32 exec_lo, exec_lo, s73
	s_and_b32 s16, s16, exec_lo
	s_or_saveexec_b32 s72, s72
	v_mov_b32_e32 v4, 0x7f800001
	s_xor_b32 exec_lo, exec_lo, s72
	s_cbranch_execnz .LBB6_14854
.LBB6_13247:                            ;   in Loop: Header=BB6_12577 Depth=3
	s_or_b32 exec_lo, exec_lo, s72
	s_and_saveexec_b32 s72, s16
	s_cbranch_execz .LBB6_13249
.LBB6_13248:                            ;   in Loop: Header=BB6_12577 Depth=3
	v_bfe_u32 v4, v11, 24, 2
	v_bfe_u32 v7, v11, 26, 5
	v_ffbh_u32_e32 v5, v4
	v_cmp_eq_u32_e32 vcc_lo, 0, v7
	v_min_u32_e32 v5, 32, v5
	v_subrev_nc_u32_e32 v6, 29, v5
	v_sub_nc_u32_e32 v5, 30, v5
	v_lshlrev_b32_sdwa v6, v6, v11 dst_sel:DWORD dst_unused:UNUSED_PAD src0_sel:DWORD src1_sel:BYTE_3
	v_cndmask_b32_e32 v5, v7, v5, vcc_lo
	v_and_b32_e32 v6, 3, v6
	v_lshl_add_u32 v5, v5, 23, 0x37800000
	v_cndmask_b32_e32 v4, v4, v6, vcc_lo
	v_and_b32_e32 v6, 0x80000000, v11
	v_lshlrev_b32_e32 v4, 21, v4
	v_or3_b32 v4, v6, v5, v4
.LBB6_13249:                            ;   in Loop: Header=BB6_12577 Depth=3
	s_or_b32 exec_lo, exec_lo, s72
	v_mul_f32_e32 v4, s23, v4
	v_mov_b32_e32 v95, 0x8000
	s_mov_b32 s72, exec_lo
	v_and_b32_e32 v5, 0x7f800000, v4
	v_cmpx_ne_u32_e32 0x7f800000, v5
	s_cbranch_execz .LBB6_13257
; %bb.13250:                            ;   in Loop: Header=BB6_12577 Depth=3
	v_mov_b32_e32 v95, 0
	s_mov_b32 s73, exec_lo
	v_cmpx_ne_u32_e32 0, v4
	s_cbranch_execz .LBB6_13256
; %bb.13251:                            ;   in Loop: Header=BB6_12577 Depth=3
	v_bfe_u32 v6, v4, 23, 8
	v_and_b32_e32 v5, 0x7fffff, v4
	v_cmp_gt_u32_e64 s16, 0x71, v6
	v_sub_nc_u32_e32 v7, 0x70, v6
	v_cmp_eq_u32_e32 vcc_lo, 0, v6
	v_or_b32_e32 v8, 0x800000, v5
	v_cndmask_b32_e64 v7, 0, v7, s16
	v_cndmask_b32_e32 v5, v8, v5, vcc_lo
	v_cndmask_b32_e64 v7, v7, 0x6f, vcc_lo
	v_lshl_add_u32 v8, 0x200000, v7, -1
	v_lshlrev_b32_e64 v9, v7, 0x100000
	v_and_b32_e32 v8, v8, v5
	v_cmp_eq_u32_e64 s16, v8, v9
	v_lshrrev_b32_e32 v8, v7, v5
	v_add_nc_u32_e32 v5, 0xffffff91, v6
	v_lshrrev_b32_e32 v6, 23, v8
	v_cndmask_b32_e64 v5, v5, 0xffffff92, vcc_lo
	v_xor_b32_e32 v6, 1, v6
	v_add_nc_u32_e32 v5, v7, v5
	v_bfe_u32 v7, v8, 21, 1
	v_add_nc_u32_e32 v7, -1, v7
	v_cndmask_b32_e64 v7, 0, v7, s16
	s_mov_b32 s16, exec_lo
	v_add_nc_u32_e32 v7, v7, v8
	v_and_b32_e32 v7, 0x1fffff, v7
	v_add_nc_u32_e32 v7, v7, v8
                                        ; implicit-def: $vgpr8
	v_cmpx_ne_u32_e64 v5, v6
	s_xor_b32 s16, exec_lo, s16
; %bb.13252:                            ;   in Loop: Header=BB6_12577 Depth=3
	v_cmp_lt_u32_e32 vcc_lo, 0xffffff, v7
	v_sub_nc_u32_e32 v5, v5, v6
	v_cndmask_b32_e64 v6, 0, 1, vcc_lo
	v_add_co_ci_u32_e64 v8, null, 0, v5, vcc_lo
	v_lshrrev_b32_e32 v7, v6, v7
; %bb.13253:                            ;   in Loop: Header=BB6_12577 Depth=3
	s_andn2_saveexec_b32 s16, s16
; %bb.13254:                            ;   in Loop: Header=BB6_12577 Depth=3
	v_bfe_u32 v8, v7, 23, 1
; %bb.13255:                            ;   in Loop: Header=BB6_12577 Depth=3
	s_or_b32 exec_lo, exec_lo, s16
	v_lshrrev_b32_e32 v5, 21, v7
	v_min_i32_e32 v6, 31, v8
	v_cmp_gt_i32_e32 vcc_lo, 32, v8
	v_and_b32_sdwa v4, v4, v117 dst_sel:DWORD dst_unused:UNUSED_PAD src0_sel:BYTE_3 src1_sel:DWORD
	v_lshlrev_b32_e32 v6, 2, v6
	v_cndmask_b32_e32 v5, 3, v5, vcc_lo
	v_and_b32_e32 v6, 0xfc, v6
	v_or_b32_e32 v7, v8, v5
	v_and_b32_e32 v5, 3, v5
	v_cmp_ne_u32_e32 vcc_lo, 0, v7
	v_or3_b32 v4, v4, v6, v5
	v_lshlrev_b32_e32 v4, 8, v4
	v_cndmask_b32_e32 v95, 0, v4, vcc_lo
.LBB6_13256:                            ;   in Loop: Header=BB6_12577 Depth=3
	s_or_b32 exec_lo, exec_lo, s73
.LBB6_13257:                            ;   in Loop: Header=BB6_12577 Depth=3
	s_or_b32 exec_lo, exec_lo, s72
	global_load_dwordx4 v[8:11], v[82:83], off offset:1536 slc
	s_mov_b32 s72, 0
	s_waitcnt vmcnt(0)
	v_cmp_gt_i16_sdwa s16, v8, v116 src0_sel:BYTE_0 src1_sel:DWORD
	s_and_saveexec_b32 s73, s16
	s_xor_b32 s16, exec_lo, s73
	s_cbranch_execz .LBB6_14855
; %bb.13258:                            ;   in Loop: Header=BB6_12577 Depth=3
	v_cmp_eq_u16_sdwa s74, v8, v117 src0_sel:BYTE_0 src1_sel:DWORD
	s_mov_b32 s72, -1
	s_and_saveexec_b32 s73, s74
; %bb.13259:                            ;   in Loop: Header=BB6_12577 Depth=3
	s_xor_b32 s72, exec_lo, -1
; %bb.13260:                            ;   in Loop: Header=BB6_12577 Depth=3
	s_or_b32 exec_lo, exec_lo, s73
	s_and_b32 s72, s72, exec_lo
	s_or_saveexec_b32 s16, s16
	v_mov_b32_e32 v4, 0x7f800001
	s_xor_b32 exec_lo, exec_lo, s16
	s_cbranch_execnz .LBB6_14856
.LBB6_13261:                            ;   in Loop: Header=BB6_12577 Depth=3
	s_or_b32 exec_lo, exec_lo, s16
	s_and_saveexec_b32 s16, s72
	s_cbranch_execz .LBB6_13263
.LBB6_13262:                            ;   in Loop: Header=BB6_12577 Depth=3
	v_and_b32_e32 v4, 3, v8
	v_bfe_u32 v5, v8, 2, 5
	v_ffbh_u32_e32 v6, v4
	v_cmp_eq_u32_e32 vcc_lo, 0, v5
	v_min_u32_e32 v6, 32, v6
	v_subrev_nc_u32_e32 v7, 29, v6
	v_sub_nc_u32_e32 v6, 30, v6
	v_lshlrev_b32_e32 v7, v7, v8
	v_cndmask_b32_e32 v5, v5, v6, vcc_lo
	v_lshlrev_b32_e32 v6, 24, v8
	v_and_b32_e32 v7, 3, v7
	v_lshl_add_u32 v5, v5, 23, 0x37800000
	v_and_b32_e32 v6, 0x80000000, v6
	v_cndmask_b32_e32 v4, v4, v7, vcc_lo
	v_lshlrev_b32_e32 v4, 21, v4
	v_or3_b32 v4, v6, v5, v4
.LBB6_13263:                            ;   in Loop: Header=BB6_12577 Depth=3
	s_or_b32 exec_lo, exec_lo, s16
	v_mul_f32_e32 v4, s23, v4
	v_mov_b32_e32 v90, 0x80
	s_mov_b32 s72, exec_lo
	v_and_b32_e32 v5, 0x7f800000, v4
	v_cmpx_ne_u32_e32 0x7f800000, v5
	s_cbranch_execz .LBB6_13271
; %bb.13264:                            ;   in Loop: Header=BB6_12577 Depth=3
	v_mov_b32_e32 v90, 0
	s_mov_b32 s73, exec_lo
	v_cmpx_ne_u32_e32 0, v4
	s_cbranch_execz .LBB6_13270
; %bb.13265:                            ;   in Loop: Header=BB6_12577 Depth=3
	v_bfe_u32 v6, v4, 23, 8
	v_and_b32_e32 v5, 0x7fffff, v4
	v_cmp_gt_u32_e64 s16, 0x71, v6
	v_sub_nc_u32_e32 v7, 0x70, v6
	v_cmp_eq_u32_e32 vcc_lo, 0, v6
	v_or_b32_e32 v14, 0x800000, v5
	v_cndmask_b32_e64 v7, 0, v7, s16
	v_cndmask_b32_e32 v5, v14, v5, vcc_lo
	v_cndmask_b32_e64 v7, v7, 0x6f, vcc_lo
	v_lshl_add_u32 v14, 0x200000, v7, -1
	v_lshlrev_b32_e64 v15, v7, 0x100000
	v_and_b32_e32 v14, v14, v5
	v_cmp_eq_u32_e64 s16, v14, v15
	v_lshrrev_b32_e32 v14, v7, v5
	v_add_nc_u32_e32 v5, 0xffffff91, v6
	v_lshrrev_b32_e32 v6, 23, v14
	v_cndmask_b32_e64 v5, v5, 0xffffff92, vcc_lo
	v_xor_b32_e32 v6, 1, v6
	v_add_nc_u32_e32 v5, v7, v5
	v_bfe_u32 v7, v14, 21, 1
	v_add_nc_u32_e32 v7, -1, v7
	v_cndmask_b32_e64 v7, 0, v7, s16
	s_mov_b32 s16, exec_lo
	v_add_nc_u32_e32 v7, v7, v14
	v_and_b32_e32 v7, 0x1fffff, v7
	v_add_nc_u32_e32 v7, v7, v14
                                        ; implicit-def: $vgpr14
	v_cmpx_ne_u32_e64 v5, v6
	s_xor_b32 s16, exec_lo, s16
; %bb.13266:                            ;   in Loop: Header=BB6_12577 Depth=3
	v_cmp_lt_u32_e32 vcc_lo, 0xffffff, v7
	v_sub_nc_u32_e32 v5, v5, v6
	v_cndmask_b32_e64 v6, 0, 1, vcc_lo
	v_add_co_ci_u32_e64 v14, null, 0, v5, vcc_lo
	v_lshrrev_b32_e32 v7, v6, v7
; %bb.13267:                            ;   in Loop: Header=BB6_12577 Depth=3
	s_andn2_saveexec_b32 s16, s16
; %bb.13268:                            ;   in Loop: Header=BB6_12577 Depth=3
	v_bfe_u32 v14, v7, 23, 1
; %bb.13269:                            ;   in Loop: Header=BB6_12577 Depth=3
	s_or_b32 exec_lo, exec_lo, s16
	v_lshrrev_b32_e32 v5, 21, v7
	v_min_i32_e32 v6, 31, v14
	v_cmp_gt_i32_e32 vcc_lo, 32, v14
	v_and_b32_sdwa v4, v4, v117 dst_sel:DWORD dst_unused:UNUSED_PAD src0_sel:BYTE_3 src1_sel:DWORD
	v_lshlrev_b32_e32 v6, 2, v6
	v_cndmask_b32_e32 v5, 3, v5, vcc_lo
	v_and_b32_e32 v6, 0xfc, v6
	v_or_b32_e32 v7, v14, v5
	v_and_b32_e32 v5, 3, v5
	v_cmp_ne_u32_e32 vcc_lo, 0, v7
	v_or3_b32 v4, v6, v4, v5
	v_cndmask_b32_e32 v90, 0, v4, vcc_lo
.LBB6_13270:                            ;   in Loop: Header=BB6_12577 Depth=3
	s_or_b32 exec_lo, exec_lo, s73
.LBB6_13271:                            ;   in Loop: Header=BB6_12577 Depth=3
	s_or_b32 exec_lo, exec_lo, s72
	v_cmp_gt_i16_sdwa s72, v8, v116 src0_sel:BYTE_1 src1_sel:DWORD
	s_mov_b32 s16, 0
	s_and_saveexec_b32 s73, s72
	s_xor_b32 s72, exec_lo, s73
	s_cbranch_execz .LBB6_14857
; %bb.13272:                            ;   in Loop: Header=BB6_12577 Depth=3
	v_cmp_eq_u16_sdwa s74, v8, v117 src0_sel:BYTE_1 src1_sel:DWORD
	s_mov_b32 s16, -1
	s_and_saveexec_b32 s73, s74
; %bb.13273:                            ;   in Loop: Header=BB6_12577 Depth=3
	s_xor_b32 s16, exec_lo, -1
; %bb.13274:                            ;   in Loop: Header=BB6_12577 Depth=3
	s_or_b32 exec_lo, exec_lo, s73
	s_and_b32 s16, s16, exec_lo
	s_or_saveexec_b32 s72, s72
	v_mov_b32_e32 v4, 0x7f800001
	s_xor_b32 exec_lo, exec_lo, s72
	s_cbranch_execnz .LBB6_14858
.LBB6_13275:                            ;   in Loop: Header=BB6_12577 Depth=3
	s_or_b32 exec_lo, exec_lo, s72
	s_and_saveexec_b32 s72, s16
	s_cbranch_execz .LBB6_13277
.LBB6_13276:                            ;   in Loop: Header=BB6_12577 Depth=3
	v_and_b32_sdwa v4, v118, v8 dst_sel:DWORD dst_unused:UNUSED_PAD src0_sel:DWORD src1_sel:BYTE_1
	v_and_b32_e32 v5, 3, v4
	v_bfe_u32 v14, v4, 2, 5
	v_ffbh_u32_e32 v6, v5
	v_cmp_eq_u32_e32 vcc_lo, 0, v14
	v_min_u32_e32 v6, 32, v6
	v_subrev_nc_u32_e32 v7, 29, v6
	v_sub_nc_u32_e32 v6, 30, v6
	v_lshlrev_b32_e32 v4, v7, v4
	v_lshlrev_b32_sdwa v7, v119, v8 dst_sel:DWORD dst_unused:UNUSED_PAD src0_sel:DWORD src1_sel:BYTE_1
	v_cndmask_b32_e32 v6, v14, v6, vcc_lo
	v_and_b32_e32 v4, 3, v4
	v_lshl_add_u32 v6, v6, 23, 0x37800000
	v_cndmask_b32_e32 v4, v5, v4, vcc_lo
	v_and_b32_e32 v5, 0x80000000, v7
	v_lshlrev_b32_e32 v4, 21, v4
	v_or3_b32 v4, v5, v6, v4
.LBB6_13277:                            ;   in Loop: Header=BB6_12577 Depth=3
	s_or_b32 exec_lo, exec_lo, s72
	v_mul_f32_e32 v4, s23, v4
	v_mov_b32_e32 v50, 0x8000
	s_mov_b32 s72, exec_lo
	v_and_b32_e32 v5, 0x7f800000, v4
	v_cmpx_ne_u32_e32 0x7f800000, v5
	s_cbranch_execz .LBB6_13285
; %bb.13278:                            ;   in Loop: Header=BB6_12577 Depth=3
	v_mov_b32_e32 v50, 0
	s_mov_b32 s73, exec_lo
	v_cmpx_ne_u32_e32 0, v4
	s_cbranch_execz .LBB6_13284
; %bb.13279:                            ;   in Loop: Header=BB6_12577 Depth=3
	v_bfe_u32 v6, v4, 23, 8
	v_and_b32_e32 v5, 0x7fffff, v4
	v_cmp_gt_u32_e64 s16, 0x71, v6
	v_sub_nc_u32_e32 v7, 0x70, v6
	v_cmp_eq_u32_e32 vcc_lo, 0, v6
	v_or_b32_e32 v14, 0x800000, v5
	v_cndmask_b32_e64 v7, 0, v7, s16
	v_cndmask_b32_e32 v5, v14, v5, vcc_lo
	v_cndmask_b32_e64 v7, v7, 0x6f, vcc_lo
	v_lshl_add_u32 v14, 0x200000, v7, -1
	v_lshlrev_b32_e64 v15, v7, 0x100000
	v_and_b32_e32 v14, v14, v5
	v_cmp_eq_u32_e64 s16, v14, v15
	v_lshrrev_b32_e32 v14, v7, v5
	v_add_nc_u32_e32 v5, 0xffffff91, v6
	v_lshrrev_b32_e32 v6, 23, v14
	v_cndmask_b32_e64 v5, v5, 0xffffff92, vcc_lo
	v_xor_b32_e32 v6, 1, v6
	v_add_nc_u32_e32 v5, v7, v5
	v_bfe_u32 v7, v14, 21, 1
	v_add_nc_u32_e32 v7, -1, v7
	v_cndmask_b32_e64 v7, 0, v7, s16
	s_mov_b32 s16, exec_lo
	v_add_nc_u32_e32 v7, v7, v14
	v_and_b32_e32 v7, 0x1fffff, v7
	v_add_nc_u32_e32 v7, v7, v14
                                        ; implicit-def: $vgpr14
	v_cmpx_ne_u32_e64 v5, v6
	s_xor_b32 s16, exec_lo, s16
; %bb.13280:                            ;   in Loop: Header=BB6_12577 Depth=3
	v_cmp_lt_u32_e32 vcc_lo, 0xffffff, v7
	v_sub_nc_u32_e32 v5, v5, v6
	v_cndmask_b32_e64 v6, 0, 1, vcc_lo
	v_add_co_ci_u32_e64 v14, null, 0, v5, vcc_lo
	v_lshrrev_b32_e32 v7, v6, v7
; %bb.13281:                            ;   in Loop: Header=BB6_12577 Depth=3
	s_andn2_saveexec_b32 s16, s16
; %bb.13282:                            ;   in Loop: Header=BB6_12577 Depth=3
	v_bfe_u32 v14, v7, 23, 1
; %bb.13283:                            ;   in Loop: Header=BB6_12577 Depth=3
	s_or_b32 exec_lo, exec_lo, s16
	v_lshrrev_b32_e32 v5, 21, v7
	v_min_i32_e32 v6, 31, v14
	v_cmp_gt_i32_e32 vcc_lo, 32, v14
	v_and_b32_sdwa v4, v4, v117 dst_sel:DWORD dst_unused:UNUSED_PAD src0_sel:BYTE_3 src1_sel:DWORD
	v_lshlrev_b32_e32 v6, 2, v6
	v_cndmask_b32_e32 v5, 3, v5, vcc_lo
	v_and_b32_e32 v6, 0xfc, v6
	v_or_b32_e32 v7, v14, v5
	v_and_b32_e32 v5, 3, v5
	v_cmp_ne_u32_e32 vcc_lo, 0, v7
	v_or3_b32 v4, v4, v6, v5
	v_lshlrev_b32_e32 v4, 8, v4
	v_cndmask_b32_e32 v50, 0, v4, vcc_lo
.LBB6_13284:                            ;   in Loop: Header=BB6_12577 Depth=3
	s_or_b32 exec_lo, exec_lo, s73
.LBB6_13285:                            ;   in Loop: Header=BB6_12577 Depth=3
	s_or_b32 exec_lo, exec_lo, s72
	v_and_b32_sdwa v5, v8, v40 dst_sel:DWORD dst_unused:UNUSED_PAD src0_sel:WORD_1 src1_sel:DWORD
	s_mov_b32 s72, 0
	s_mov_b32 s16, exec_lo
	v_cmpx_lt_i16_e32 0x7f, v5
	s_xor_b32 s16, exec_lo, s16
	s_cbranch_execz .LBB6_14859
; %bb.13286:                            ;   in Loop: Header=BB6_12577 Depth=3
	s_mov_b32 s72, -1
	s_mov_b32 s73, exec_lo
	v_cmpx_eq_u16_e32 0x80, v5
; %bb.13287:                            ;   in Loop: Header=BB6_12577 Depth=3
	s_xor_b32 s72, exec_lo, -1
; %bb.13288:                            ;   in Loop: Header=BB6_12577 Depth=3
	s_or_b32 exec_lo, exec_lo, s73
	s_and_b32 s72, s72, exec_lo
                                        ; implicit-def: $vgpr5
	s_or_saveexec_b32 s16, s16
	v_mov_b32_e32 v4, 0x7f800001
	s_xor_b32 exec_lo, exec_lo, s16
	s_cbranch_execnz .LBB6_14860
.LBB6_13289:                            ;   in Loop: Header=BB6_12577 Depth=3
	s_or_b32 exec_lo, exec_lo, s16
	s_and_saveexec_b32 s16, s72
	s_cbranch_execz .LBB6_13291
.LBB6_13290:                            ;   in Loop: Header=BB6_12577 Depth=3
	v_bfe_u32 v4, v8, 16, 2
	v_bfe_u32 v5, v8, 18, 5
	v_ffbh_u32_e32 v6, v4
	v_cmp_eq_u32_e32 vcc_lo, 0, v5
	v_min_u32_e32 v6, 32, v6
	v_subrev_nc_u32_e32 v7, 29, v6
	v_sub_nc_u32_e32 v6, 30, v6
	v_lshlrev_b32_sdwa v7, v7, v8 dst_sel:DWORD dst_unused:UNUSED_PAD src0_sel:DWORD src1_sel:WORD_1
	v_cndmask_b32_e32 v5, v5, v6, vcc_lo
	v_lshlrev_b32_e32 v6, 8, v8
	v_and_b32_e32 v7, 3, v7
	v_lshl_add_u32 v5, v5, 23, 0x37800000
	v_and_b32_e32 v6, 0x80000000, v6
	v_cndmask_b32_e32 v4, v4, v7, vcc_lo
	v_lshlrev_b32_e32 v4, 21, v4
	v_or3_b32 v4, v6, v5, v4
.LBB6_13291:                            ;   in Loop: Header=BB6_12577 Depth=3
	s_or_b32 exec_lo, exec_lo, s16
	v_mul_f32_e32 v4, s23, v4
	v_and_b32_e32 v5, 0x7f800000, v4
	v_cmp_ne_u32_e32 vcc_lo, 0x7f800000, v5
	v_mov_b32_e32 v5, 0x80
	s_and_saveexec_b32 s72, vcc_lo
	s_cbranch_execz .LBB6_13299
; %bb.13292:                            ;   in Loop: Header=BB6_12577 Depth=3
	v_mov_b32_e32 v5, 0
	s_mov_b32 s73, exec_lo
	v_cmpx_ne_u32_e32 0, v4
	s_cbranch_execz .LBB6_13298
; %bb.13293:                            ;   in Loop: Header=BB6_12577 Depth=3
	v_bfe_u32 v6, v4, 23, 8
	v_and_b32_e32 v5, 0x7fffff, v4
	v_cmp_gt_u32_e64 s16, 0x71, v6
	v_sub_nc_u32_e32 v7, 0x70, v6
	v_cmp_eq_u32_e32 vcc_lo, 0, v6
	v_or_b32_e32 v14, 0x800000, v5
	v_cndmask_b32_e64 v7, 0, v7, s16
	v_cndmask_b32_e32 v5, v14, v5, vcc_lo
	v_cndmask_b32_e64 v7, v7, 0x6f, vcc_lo
	v_lshl_add_u32 v14, 0x200000, v7, -1
	v_lshlrev_b32_e64 v15, v7, 0x100000
	v_and_b32_e32 v14, v14, v5
	v_cmp_eq_u32_e64 s16, v14, v15
	v_lshrrev_b32_e32 v14, v7, v5
	v_add_nc_u32_e32 v5, 0xffffff91, v6
	v_lshrrev_b32_e32 v6, 23, v14
	v_cndmask_b32_e64 v5, v5, 0xffffff92, vcc_lo
	v_xor_b32_e32 v6, 1, v6
	v_add_nc_u32_e32 v5, v7, v5
	v_bfe_u32 v7, v14, 21, 1
	v_add_nc_u32_e32 v7, -1, v7
	v_cndmask_b32_e64 v7, 0, v7, s16
	s_mov_b32 s16, exec_lo
	v_add_nc_u32_e32 v7, v7, v14
	v_and_b32_e32 v7, 0x1fffff, v7
	v_add_nc_u32_e32 v7, v7, v14
                                        ; implicit-def: $vgpr14
	v_cmpx_ne_u32_e64 v5, v6
	s_xor_b32 s16, exec_lo, s16
; %bb.13294:                            ;   in Loop: Header=BB6_12577 Depth=3
	v_cmp_lt_u32_e32 vcc_lo, 0xffffff, v7
	v_sub_nc_u32_e32 v5, v5, v6
	v_cndmask_b32_e64 v6, 0, 1, vcc_lo
	v_add_co_ci_u32_e64 v14, null, 0, v5, vcc_lo
	v_lshrrev_b32_e32 v7, v6, v7
; %bb.13295:                            ;   in Loop: Header=BB6_12577 Depth=3
	s_andn2_saveexec_b32 s16, s16
; %bb.13296:                            ;   in Loop: Header=BB6_12577 Depth=3
	v_bfe_u32 v14, v7, 23, 1
; %bb.13297:                            ;   in Loop: Header=BB6_12577 Depth=3
	s_or_b32 exec_lo, exec_lo, s16
	v_lshrrev_b32_e32 v5, 21, v7
	v_min_i32_e32 v6, 31, v14
	v_cmp_gt_i32_e32 vcc_lo, 32, v14
	v_and_b32_sdwa v4, v4, v117 dst_sel:DWORD dst_unused:UNUSED_PAD src0_sel:BYTE_3 src1_sel:DWORD
	v_lshlrev_b32_e32 v6, 2, v6
	v_cndmask_b32_e32 v5, 3, v5, vcc_lo
	v_and_b32_e32 v6, 0xfc, v6
	v_or_b32_e32 v7, v14, v5
	v_and_b32_e32 v5, 3, v5
	v_cmp_ne_u32_e32 vcc_lo, 0, v7
	v_or3_b32 v4, v6, v4, v5
	v_cndmask_b32_e32 v5, 0, v4, vcc_lo
.LBB6_13298:                            ;   in Loop: Header=BB6_12577 Depth=3
	s_or_b32 exec_lo, exec_lo, s73
.LBB6_13299:                            ;   in Loop: Header=BB6_12577 Depth=3
	s_or_b32 exec_lo, exec_lo, s72
	v_cmp_gt_i16_sdwa s72, v8, v116 src0_sel:BYTE_3 src1_sel:DWORD
	s_mov_b32 s16, 0
	s_and_saveexec_b32 s73, s72
	s_xor_b32 s72, exec_lo, s73
	s_cbranch_execz .LBB6_14861
; %bb.13300:                            ;   in Loop: Header=BB6_12577 Depth=3
	v_cmp_eq_u16_sdwa s74, v8, v117 src0_sel:BYTE_3 src1_sel:DWORD
	s_mov_b32 s16, -1
	s_and_saveexec_b32 s73, s74
; %bb.13301:                            ;   in Loop: Header=BB6_12577 Depth=3
	s_xor_b32 s16, exec_lo, -1
; %bb.13302:                            ;   in Loop: Header=BB6_12577 Depth=3
	s_or_b32 exec_lo, exec_lo, s73
	s_and_b32 s16, s16, exec_lo
	s_or_saveexec_b32 s72, s72
	v_mov_b32_e32 v4, 0x7f800001
	s_xor_b32 exec_lo, exec_lo, s72
	s_cbranch_execnz .LBB6_14862
.LBB6_13303:                            ;   in Loop: Header=BB6_12577 Depth=3
	s_or_b32 exec_lo, exec_lo, s72
	s_and_saveexec_b32 s72, s16
	s_cbranch_execz .LBB6_13305
.LBB6_13304:                            ;   in Loop: Header=BB6_12577 Depth=3
	v_bfe_u32 v4, v8, 24, 2
	v_bfe_u32 v14, v8, 26, 5
	v_ffbh_u32_e32 v6, v4
	v_cmp_eq_u32_e32 vcc_lo, 0, v14
	v_min_u32_e32 v6, 32, v6
	v_subrev_nc_u32_e32 v7, 29, v6
	v_sub_nc_u32_e32 v6, 30, v6
	v_lshlrev_b32_sdwa v7, v7, v8 dst_sel:DWORD dst_unused:UNUSED_PAD src0_sel:DWORD src1_sel:BYTE_3
	v_cndmask_b32_e32 v6, v14, v6, vcc_lo
	v_and_b32_e32 v7, 3, v7
	v_lshl_add_u32 v6, v6, 23, 0x37800000
	v_cndmask_b32_e32 v4, v4, v7, vcc_lo
	v_and_b32_e32 v7, 0x80000000, v8
	v_lshlrev_b32_e32 v4, 21, v4
	v_or3_b32 v4, v7, v6, v4
.LBB6_13305:                            ;   in Loop: Header=BB6_12577 Depth=3
	s_or_b32 exec_lo, exec_lo, s72
	v_mul_f32_e32 v4, s23, v4
	v_mov_b32_e32 v92, 0x8000
	s_mov_b32 s72, exec_lo
	v_and_b32_e32 v6, 0x7f800000, v4
	v_cmpx_ne_u32_e32 0x7f800000, v6
	s_cbranch_execz .LBB6_13313
; %bb.13306:                            ;   in Loop: Header=BB6_12577 Depth=3
	v_mov_b32_e32 v92, 0
	s_mov_b32 s73, exec_lo
	v_cmpx_ne_u32_e32 0, v4
	s_cbranch_execz .LBB6_13312
; %bb.13307:                            ;   in Loop: Header=BB6_12577 Depth=3
	v_bfe_u32 v7, v4, 23, 8
	v_and_b32_e32 v6, 0x7fffff, v4
	v_cmp_gt_u32_e64 s16, 0x71, v7
	v_sub_nc_u32_e32 v8, 0x70, v7
	v_cmp_eq_u32_e32 vcc_lo, 0, v7
	v_or_b32_e32 v14, 0x800000, v6
	v_cndmask_b32_e64 v8, 0, v8, s16
	v_cndmask_b32_e32 v6, v14, v6, vcc_lo
	v_cndmask_b32_e64 v8, v8, 0x6f, vcc_lo
	v_lshl_add_u32 v14, 0x200000, v8, -1
	v_lshlrev_b32_e64 v15, v8, 0x100000
	v_and_b32_e32 v14, v14, v6
	v_cmp_eq_u32_e64 s16, v14, v15
	v_lshrrev_b32_e32 v14, v8, v6
	v_add_nc_u32_e32 v6, 0xffffff91, v7
	v_lshrrev_b32_e32 v7, 23, v14
	v_cndmask_b32_e64 v6, v6, 0xffffff92, vcc_lo
	v_xor_b32_e32 v7, 1, v7
	v_add_nc_u32_e32 v6, v8, v6
	v_bfe_u32 v8, v14, 21, 1
	v_add_nc_u32_e32 v8, -1, v8
	v_cndmask_b32_e64 v8, 0, v8, s16
	s_mov_b32 s16, exec_lo
	v_add_nc_u32_e32 v8, v8, v14
	v_and_b32_e32 v8, 0x1fffff, v8
	v_add_nc_u32_e32 v8, v8, v14
                                        ; implicit-def: $vgpr14
	v_cmpx_ne_u32_e64 v6, v7
	s_xor_b32 s16, exec_lo, s16
; %bb.13308:                            ;   in Loop: Header=BB6_12577 Depth=3
	v_cmp_lt_u32_e32 vcc_lo, 0xffffff, v8
	v_sub_nc_u32_e32 v6, v6, v7
	v_cndmask_b32_e64 v7, 0, 1, vcc_lo
	v_add_co_ci_u32_e64 v14, null, 0, v6, vcc_lo
	v_lshrrev_b32_e32 v8, v7, v8
; %bb.13309:                            ;   in Loop: Header=BB6_12577 Depth=3
	s_andn2_saveexec_b32 s16, s16
; %bb.13310:                            ;   in Loop: Header=BB6_12577 Depth=3
	v_bfe_u32 v14, v8, 23, 1
; %bb.13311:                            ;   in Loop: Header=BB6_12577 Depth=3
	s_or_b32 exec_lo, exec_lo, s16
	v_lshrrev_b32_e32 v6, 21, v8
	v_min_i32_e32 v7, 31, v14
	v_cmp_gt_i32_e32 vcc_lo, 32, v14
	v_and_b32_sdwa v4, v4, v117 dst_sel:DWORD dst_unused:UNUSED_PAD src0_sel:BYTE_3 src1_sel:DWORD
	v_lshlrev_b32_e32 v7, 2, v7
	v_cndmask_b32_e32 v6, 3, v6, vcc_lo
	v_and_b32_e32 v7, 0xfc, v7
	v_or_b32_e32 v8, v14, v6
	v_and_b32_e32 v6, 3, v6
	v_cmp_ne_u32_e32 vcc_lo, 0, v8
	v_or3_b32 v4, v4, v7, v6
	v_lshlrev_b32_e32 v4, 8, v4
	v_cndmask_b32_e32 v92, 0, v4, vcc_lo
.LBB6_13312:                            ;   in Loop: Header=BB6_12577 Depth=3
	s_or_b32 exec_lo, exec_lo, s73
.LBB6_13313:                            ;   in Loop: Header=BB6_12577 Depth=3
	s_or_b32 exec_lo, exec_lo, s72
	v_cmp_gt_i16_sdwa s16, v9, v116 src0_sel:BYTE_0 src1_sel:DWORD
	s_mov_b32 s72, 0
	s_and_saveexec_b32 s73, s16
	s_xor_b32 s16, exec_lo, s73
	s_cbranch_execz .LBB6_14863
; %bb.13314:                            ;   in Loop: Header=BB6_12577 Depth=3
	v_cmp_eq_u16_sdwa s74, v9, v117 src0_sel:BYTE_0 src1_sel:DWORD
	s_mov_b32 s72, -1
	s_and_saveexec_b32 s73, s74
; %bb.13315:                            ;   in Loop: Header=BB6_12577 Depth=3
	s_xor_b32 s72, exec_lo, -1
; %bb.13316:                            ;   in Loop: Header=BB6_12577 Depth=3
	s_or_b32 exec_lo, exec_lo, s73
	s_and_b32 s72, s72, exec_lo
	s_or_saveexec_b32 s16, s16
	v_mov_b32_e32 v4, 0x7f800001
	s_xor_b32 exec_lo, exec_lo, s16
	s_cbranch_execnz .LBB6_14864
.LBB6_13317:                            ;   in Loop: Header=BB6_12577 Depth=3
	s_or_b32 exec_lo, exec_lo, s16
	s_and_saveexec_b32 s16, s72
	s_cbranch_execz .LBB6_13319
.LBB6_13318:                            ;   in Loop: Header=BB6_12577 Depth=3
	v_and_b32_e32 v4, 3, v9
	v_bfe_u32 v6, v9, 2, 5
	v_ffbh_u32_e32 v7, v4
	v_cmp_eq_u32_e32 vcc_lo, 0, v6
	v_min_u32_e32 v7, 32, v7
	v_subrev_nc_u32_e32 v8, 29, v7
	v_sub_nc_u32_e32 v7, 30, v7
	v_lshlrev_b32_e32 v8, v8, v9
	v_cndmask_b32_e32 v6, v6, v7, vcc_lo
	v_lshlrev_b32_e32 v7, 24, v9
	v_and_b32_e32 v8, 3, v8
	v_lshl_add_u32 v6, v6, 23, 0x37800000
	v_and_b32_e32 v7, 0x80000000, v7
	v_cndmask_b32_e32 v4, v4, v8, vcc_lo
	v_lshlrev_b32_e32 v4, 21, v4
	v_or3_b32 v4, v7, v6, v4
.LBB6_13319:                            ;   in Loop: Header=BB6_12577 Depth=3
	s_or_b32 exec_lo, exec_lo, s16
	v_mul_f32_e32 v4, s23, v4
	v_mov_b32_e32 v88, 0x80
	s_mov_b32 s72, exec_lo
	v_and_b32_e32 v6, 0x7f800000, v4
	v_cmpx_ne_u32_e32 0x7f800000, v6
	s_cbranch_execz .LBB6_13327
; %bb.13320:                            ;   in Loop: Header=BB6_12577 Depth=3
	v_mov_b32_e32 v88, 0
	s_mov_b32 s73, exec_lo
	v_cmpx_ne_u32_e32 0, v4
	s_cbranch_execz .LBB6_13326
; %bb.13321:                            ;   in Loop: Header=BB6_12577 Depth=3
	v_bfe_u32 v7, v4, 23, 8
	v_and_b32_e32 v6, 0x7fffff, v4
	v_cmp_gt_u32_e64 s16, 0x71, v7
	v_sub_nc_u32_e32 v8, 0x70, v7
	v_cmp_eq_u32_e32 vcc_lo, 0, v7
	v_or_b32_e32 v14, 0x800000, v6
	v_cndmask_b32_e64 v8, 0, v8, s16
	v_cndmask_b32_e32 v6, v14, v6, vcc_lo
	v_cndmask_b32_e64 v8, v8, 0x6f, vcc_lo
	v_lshl_add_u32 v14, 0x200000, v8, -1
	v_lshlrev_b32_e64 v15, v8, 0x100000
	v_and_b32_e32 v14, v14, v6
	v_cmp_eq_u32_e64 s16, v14, v15
	v_lshrrev_b32_e32 v14, v8, v6
	v_add_nc_u32_e32 v6, 0xffffff91, v7
	v_lshrrev_b32_e32 v7, 23, v14
	v_cndmask_b32_e64 v6, v6, 0xffffff92, vcc_lo
	v_xor_b32_e32 v7, 1, v7
	v_add_nc_u32_e32 v6, v8, v6
	v_bfe_u32 v8, v14, 21, 1
	v_add_nc_u32_e32 v8, -1, v8
	v_cndmask_b32_e64 v8, 0, v8, s16
	s_mov_b32 s16, exec_lo
	v_add_nc_u32_e32 v8, v8, v14
	v_and_b32_e32 v8, 0x1fffff, v8
	v_add_nc_u32_e32 v8, v8, v14
                                        ; implicit-def: $vgpr14
	v_cmpx_ne_u32_e64 v6, v7
	s_xor_b32 s16, exec_lo, s16
; %bb.13322:                            ;   in Loop: Header=BB6_12577 Depth=3
	v_cmp_lt_u32_e32 vcc_lo, 0xffffff, v8
	v_sub_nc_u32_e32 v6, v6, v7
	v_cndmask_b32_e64 v7, 0, 1, vcc_lo
	v_add_co_ci_u32_e64 v14, null, 0, v6, vcc_lo
	v_lshrrev_b32_e32 v8, v7, v8
; %bb.13323:                            ;   in Loop: Header=BB6_12577 Depth=3
	s_andn2_saveexec_b32 s16, s16
; %bb.13324:                            ;   in Loop: Header=BB6_12577 Depth=3
	v_bfe_u32 v14, v8, 23, 1
; %bb.13325:                            ;   in Loop: Header=BB6_12577 Depth=3
	s_or_b32 exec_lo, exec_lo, s16
	v_lshrrev_b32_e32 v6, 21, v8
	v_min_i32_e32 v7, 31, v14
	v_cmp_gt_i32_e32 vcc_lo, 32, v14
	v_and_b32_sdwa v4, v4, v117 dst_sel:DWORD dst_unused:UNUSED_PAD src0_sel:BYTE_3 src1_sel:DWORD
	v_lshlrev_b32_e32 v7, 2, v7
	v_cndmask_b32_e32 v6, 3, v6, vcc_lo
	v_and_b32_e32 v7, 0xfc, v7
	v_or_b32_e32 v8, v14, v6
	v_and_b32_e32 v6, 3, v6
	v_cmp_ne_u32_e32 vcc_lo, 0, v8
	v_or3_b32 v4, v7, v4, v6
	v_cndmask_b32_e32 v88, 0, v4, vcc_lo
.LBB6_13326:                            ;   in Loop: Header=BB6_12577 Depth=3
	s_or_b32 exec_lo, exec_lo, s73
.LBB6_13327:                            ;   in Loop: Header=BB6_12577 Depth=3
	s_or_b32 exec_lo, exec_lo, s72
	v_cmp_gt_i16_sdwa s72, v9, v116 src0_sel:BYTE_1 src1_sel:DWORD
	s_mov_b32 s16, 0
	s_and_saveexec_b32 s73, s72
	s_xor_b32 s72, exec_lo, s73
	s_cbranch_execz .LBB6_14865
; %bb.13328:                            ;   in Loop: Header=BB6_12577 Depth=3
	v_cmp_eq_u16_sdwa s74, v9, v117 src0_sel:BYTE_1 src1_sel:DWORD
	s_mov_b32 s16, -1
	s_and_saveexec_b32 s73, s74
; %bb.13329:                            ;   in Loop: Header=BB6_12577 Depth=3
	s_xor_b32 s16, exec_lo, -1
; %bb.13330:                            ;   in Loop: Header=BB6_12577 Depth=3
	s_or_b32 exec_lo, exec_lo, s73
	s_and_b32 s16, s16, exec_lo
	s_or_saveexec_b32 s72, s72
	v_mov_b32_e32 v4, 0x7f800001
	s_xor_b32 exec_lo, exec_lo, s72
	s_cbranch_execnz .LBB6_14866
.LBB6_13331:                            ;   in Loop: Header=BB6_12577 Depth=3
	s_or_b32 exec_lo, exec_lo, s72
	s_and_saveexec_b32 s72, s16
	s_cbranch_execz .LBB6_13333
.LBB6_13332:                            ;   in Loop: Header=BB6_12577 Depth=3
	v_and_b32_sdwa v4, v118, v9 dst_sel:DWORD dst_unused:UNUSED_PAD src0_sel:DWORD src1_sel:BYTE_1
	v_and_b32_e32 v6, 3, v4
	v_bfe_u32 v14, v4, 2, 5
	v_ffbh_u32_e32 v7, v6
	v_cmp_eq_u32_e32 vcc_lo, 0, v14
	v_min_u32_e32 v7, 32, v7
	v_subrev_nc_u32_e32 v8, 29, v7
	v_sub_nc_u32_e32 v7, 30, v7
	v_lshlrev_b32_e32 v4, v8, v4
	v_lshlrev_b32_sdwa v8, v119, v9 dst_sel:DWORD dst_unused:UNUSED_PAD src0_sel:DWORD src1_sel:BYTE_1
	v_cndmask_b32_e32 v7, v14, v7, vcc_lo
	v_and_b32_e32 v4, 3, v4
	v_lshl_add_u32 v7, v7, 23, 0x37800000
	v_cndmask_b32_e32 v4, v6, v4, vcc_lo
	v_and_b32_e32 v6, 0x80000000, v8
	v_lshlrev_b32_e32 v4, 21, v4
	v_or3_b32 v4, v6, v7, v4
.LBB6_13333:                            ;   in Loop: Header=BB6_12577 Depth=3
	s_or_b32 exec_lo, exec_lo, s72
	v_mul_f32_e32 v4, s23, v4
	v_mov_b32_e32 v89, 0x8000
	s_mov_b32 s72, exec_lo
	v_and_b32_e32 v6, 0x7f800000, v4
	v_cmpx_ne_u32_e32 0x7f800000, v6
	s_cbranch_execz .LBB6_13341
; %bb.13334:                            ;   in Loop: Header=BB6_12577 Depth=3
	v_mov_b32_e32 v89, 0
	s_mov_b32 s73, exec_lo
	v_cmpx_ne_u32_e32 0, v4
	s_cbranch_execz .LBB6_13340
; %bb.13335:                            ;   in Loop: Header=BB6_12577 Depth=3
	v_bfe_u32 v7, v4, 23, 8
	v_and_b32_e32 v6, 0x7fffff, v4
	v_cmp_gt_u32_e64 s16, 0x71, v7
	v_sub_nc_u32_e32 v8, 0x70, v7
	v_cmp_eq_u32_e32 vcc_lo, 0, v7
	v_or_b32_e32 v14, 0x800000, v6
	v_cndmask_b32_e64 v8, 0, v8, s16
	v_cndmask_b32_e32 v6, v14, v6, vcc_lo
	v_cndmask_b32_e64 v8, v8, 0x6f, vcc_lo
	v_lshl_add_u32 v14, 0x200000, v8, -1
	v_lshlrev_b32_e64 v15, v8, 0x100000
	v_and_b32_e32 v14, v14, v6
	v_cmp_eq_u32_e64 s16, v14, v15
	v_lshrrev_b32_e32 v14, v8, v6
	v_add_nc_u32_e32 v6, 0xffffff91, v7
	v_lshrrev_b32_e32 v7, 23, v14
	v_cndmask_b32_e64 v6, v6, 0xffffff92, vcc_lo
	v_xor_b32_e32 v7, 1, v7
	v_add_nc_u32_e32 v6, v8, v6
	v_bfe_u32 v8, v14, 21, 1
	v_add_nc_u32_e32 v8, -1, v8
	v_cndmask_b32_e64 v8, 0, v8, s16
	s_mov_b32 s16, exec_lo
	v_add_nc_u32_e32 v8, v8, v14
	v_and_b32_e32 v8, 0x1fffff, v8
	v_add_nc_u32_e32 v8, v8, v14
                                        ; implicit-def: $vgpr14
	v_cmpx_ne_u32_e64 v6, v7
	s_xor_b32 s16, exec_lo, s16
; %bb.13336:                            ;   in Loop: Header=BB6_12577 Depth=3
	v_cmp_lt_u32_e32 vcc_lo, 0xffffff, v8
	v_sub_nc_u32_e32 v6, v6, v7
	v_cndmask_b32_e64 v7, 0, 1, vcc_lo
	v_add_co_ci_u32_e64 v14, null, 0, v6, vcc_lo
	v_lshrrev_b32_e32 v8, v7, v8
; %bb.13337:                            ;   in Loop: Header=BB6_12577 Depth=3
	s_andn2_saveexec_b32 s16, s16
; %bb.13338:                            ;   in Loop: Header=BB6_12577 Depth=3
	v_bfe_u32 v14, v8, 23, 1
; %bb.13339:                            ;   in Loop: Header=BB6_12577 Depth=3
	s_or_b32 exec_lo, exec_lo, s16
	v_lshrrev_b32_e32 v6, 21, v8
	v_min_i32_e32 v7, 31, v14
	v_cmp_gt_i32_e32 vcc_lo, 32, v14
	v_and_b32_sdwa v4, v4, v117 dst_sel:DWORD dst_unused:UNUSED_PAD src0_sel:BYTE_3 src1_sel:DWORD
	v_lshlrev_b32_e32 v7, 2, v7
	v_cndmask_b32_e32 v6, 3, v6, vcc_lo
	v_and_b32_e32 v7, 0xfc, v7
	v_or_b32_e32 v8, v14, v6
	v_and_b32_e32 v6, 3, v6
	v_cmp_ne_u32_e32 vcc_lo, 0, v8
	v_or3_b32 v4, v4, v7, v6
	v_lshlrev_b32_e32 v4, 8, v4
	v_cndmask_b32_e32 v89, 0, v4, vcc_lo
.LBB6_13340:                            ;   in Loop: Header=BB6_12577 Depth=3
	s_or_b32 exec_lo, exec_lo, s73
.LBB6_13341:                            ;   in Loop: Header=BB6_12577 Depth=3
	s_or_b32 exec_lo, exec_lo, s72
	v_and_b32_sdwa v6, v9, v40 dst_sel:DWORD dst_unused:UNUSED_PAD src0_sel:WORD_1 src1_sel:DWORD
	s_mov_b32 s72, 0
	s_mov_b32 s16, exec_lo
	v_cmpx_lt_i16_e32 0x7f, v6
	s_xor_b32 s16, exec_lo, s16
	s_cbranch_execz .LBB6_14867
; %bb.13342:                            ;   in Loop: Header=BB6_12577 Depth=3
	s_mov_b32 s72, -1
	s_mov_b32 s73, exec_lo
	v_cmpx_eq_u16_e32 0x80, v6
; %bb.13343:                            ;   in Loop: Header=BB6_12577 Depth=3
	s_xor_b32 s72, exec_lo, -1
; %bb.13344:                            ;   in Loop: Header=BB6_12577 Depth=3
	s_or_b32 exec_lo, exec_lo, s73
	s_and_b32 s72, s72, exec_lo
                                        ; implicit-def: $vgpr6
	s_or_saveexec_b32 s16, s16
	v_mov_b32_e32 v4, 0x7f800001
	s_xor_b32 exec_lo, exec_lo, s16
	s_cbranch_execnz .LBB6_14868
.LBB6_13345:                            ;   in Loop: Header=BB6_12577 Depth=3
	s_or_b32 exec_lo, exec_lo, s16
	s_and_saveexec_b32 s16, s72
	s_cbranch_execz .LBB6_13347
.LBB6_13346:                            ;   in Loop: Header=BB6_12577 Depth=3
	v_bfe_u32 v4, v9, 16, 2
	v_bfe_u32 v6, v9, 18, 5
	v_ffbh_u32_e32 v7, v4
	v_cmp_eq_u32_e32 vcc_lo, 0, v6
	v_min_u32_e32 v7, 32, v7
	v_subrev_nc_u32_e32 v8, 29, v7
	v_sub_nc_u32_e32 v7, 30, v7
	v_lshlrev_b32_sdwa v8, v8, v9 dst_sel:DWORD dst_unused:UNUSED_PAD src0_sel:DWORD src1_sel:WORD_1
	v_cndmask_b32_e32 v6, v6, v7, vcc_lo
	v_lshlrev_b32_e32 v7, 8, v9
	v_and_b32_e32 v8, 3, v8
	v_lshl_add_u32 v6, v6, 23, 0x37800000
	v_and_b32_e32 v7, 0x80000000, v7
	v_cndmask_b32_e32 v4, v4, v8, vcc_lo
	v_lshlrev_b32_e32 v4, 21, v4
	v_or3_b32 v4, v7, v6, v4
.LBB6_13347:                            ;   in Loop: Header=BB6_12577 Depth=3
	s_or_b32 exec_lo, exec_lo, s16
	v_mul_f32_e32 v4, s23, v4
	v_mov_b32_e32 v99, 0x80
	s_mov_b32 s72, exec_lo
	v_and_b32_e32 v6, 0x7f800000, v4
	v_cmpx_ne_u32_e32 0x7f800000, v6
	s_cbranch_execz .LBB6_13355
; %bb.13348:                            ;   in Loop: Header=BB6_12577 Depth=3
	v_mov_b32_e32 v99, 0
	s_mov_b32 s73, exec_lo
	v_cmpx_ne_u32_e32 0, v4
	s_cbranch_execz .LBB6_13354
; %bb.13349:                            ;   in Loop: Header=BB6_12577 Depth=3
	v_bfe_u32 v7, v4, 23, 8
	v_and_b32_e32 v6, 0x7fffff, v4
	v_cmp_gt_u32_e64 s16, 0x71, v7
	v_sub_nc_u32_e32 v8, 0x70, v7
	v_cmp_eq_u32_e32 vcc_lo, 0, v7
	v_or_b32_e32 v14, 0x800000, v6
	v_cndmask_b32_e64 v8, 0, v8, s16
	v_cndmask_b32_e32 v6, v14, v6, vcc_lo
	v_cndmask_b32_e64 v8, v8, 0x6f, vcc_lo
	v_lshl_add_u32 v14, 0x200000, v8, -1
	v_lshlrev_b32_e64 v15, v8, 0x100000
	v_and_b32_e32 v14, v14, v6
	v_cmp_eq_u32_e64 s16, v14, v15
	v_lshrrev_b32_e32 v14, v8, v6
	v_add_nc_u32_e32 v6, 0xffffff91, v7
	v_lshrrev_b32_e32 v7, 23, v14
	v_cndmask_b32_e64 v6, v6, 0xffffff92, vcc_lo
	v_xor_b32_e32 v7, 1, v7
	v_add_nc_u32_e32 v6, v8, v6
	v_bfe_u32 v8, v14, 21, 1
	v_add_nc_u32_e32 v8, -1, v8
	v_cndmask_b32_e64 v8, 0, v8, s16
	s_mov_b32 s16, exec_lo
	v_add_nc_u32_e32 v8, v8, v14
	v_and_b32_e32 v8, 0x1fffff, v8
	v_add_nc_u32_e32 v8, v8, v14
                                        ; implicit-def: $vgpr14
	v_cmpx_ne_u32_e64 v6, v7
	s_xor_b32 s16, exec_lo, s16
; %bb.13350:                            ;   in Loop: Header=BB6_12577 Depth=3
	v_cmp_lt_u32_e32 vcc_lo, 0xffffff, v8
	v_sub_nc_u32_e32 v6, v6, v7
	v_cndmask_b32_e64 v7, 0, 1, vcc_lo
	v_add_co_ci_u32_e64 v14, null, 0, v6, vcc_lo
	v_lshrrev_b32_e32 v8, v7, v8
; %bb.13351:                            ;   in Loop: Header=BB6_12577 Depth=3
	s_andn2_saveexec_b32 s16, s16
; %bb.13352:                            ;   in Loop: Header=BB6_12577 Depth=3
	v_bfe_u32 v14, v8, 23, 1
; %bb.13353:                            ;   in Loop: Header=BB6_12577 Depth=3
	s_or_b32 exec_lo, exec_lo, s16
	v_lshrrev_b32_e32 v6, 21, v8
	v_min_i32_e32 v7, 31, v14
	v_cmp_gt_i32_e32 vcc_lo, 32, v14
	v_and_b32_sdwa v4, v4, v117 dst_sel:DWORD dst_unused:UNUSED_PAD src0_sel:BYTE_3 src1_sel:DWORD
	v_lshlrev_b32_e32 v7, 2, v7
	v_cndmask_b32_e32 v6, 3, v6, vcc_lo
	v_and_b32_e32 v7, 0xfc, v7
	v_or_b32_e32 v8, v14, v6
	v_and_b32_e32 v6, 3, v6
	v_cmp_ne_u32_e32 vcc_lo, 0, v8
	v_or3_b32 v4, v7, v4, v6
	v_cndmask_b32_e32 v99, 0, v4, vcc_lo
.LBB6_13354:                            ;   in Loop: Header=BB6_12577 Depth=3
	s_or_b32 exec_lo, exec_lo, s73
.LBB6_13355:                            ;   in Loop: Header=BB6_12577 Depth=3
	s_or_b32 exec_lo, exec_lo, s72
	v_cmp_gt_i16_sdwa s72, v9, v116 src0_sel:BYTE_3 src1_sel:DWORD
	s_mov_b32 s16, 0
	s_and_saveexec_b32 s73, s72
	s_xor_b32 s72, exec_lo, s73
	s_cbranch_execz .LBB6_14869
; %bb.13356:                            ;   in Loop: Header=BB6_12577 Depth=3
	v_cmp_eq_u16_sdwa s74, v9, v117 src0_sel:BYTE_3 src1_sel:DWORD
	s_mov_b32 s16, -1
	s_and_saveexec_b32 s73, s74
; %bb.13357:                            ;   in Loop: Header=BB6_12577 Depth=3
	s_xor_b32 s16, exec_lo, -1
; %bb.13358:                            ;   in Loop: Header=BB6_12577 Depth=3
	s_or_b32 exec_lo, exec_lo, s73
	s_and_b32 s16, s16, exec_lo
	s_or_saveexec_b32 s72, s72
	v_mov_b32_e32 v4, 0x7f800001
	s_xor_b32 exec_lo, exec_lo, s72
	s_cbranch_execnz .LBB6_14870
.LBB6_13359:                            ;   in Loop: Header=BB6_12577 Depth=3
	s_or_b32 exec_lo, exec_lo, s72
	s_and_saveexec_b32 s72, s16
	s_cbranch_execz .LBB6_13361
.LBB6_13360:                            ;   in Loop: Header=BB6_12577 Depth=3
	v_bfe_u32 v4, v9, 24, 2
	v_bfe_u32 v8, v9, 26, 5
	v_ffbh_u32_e32 v6, v4
	v_cmp_eq_u32_e32 vcc_lo, 0, v8
	v_min_u32_e32 v6, 32, v6
	v_subrev_nc_u32_e32 v7, 29, v6
	v_sub_nc_u32_e32 v6, 30, v6
	v_lshlrev_b32_sdwa v7, v7, v9 dst_sel:DWORD dst_unused:UNUSED_PAD src0_sel:DWORD src1_sel:BYTE_3
	v_cndmask_b32_e32 v6, v8, v6, vcc_lo
	v_and_b32_e32 v7, 3, v7
	v_lshl_add_u32 v6, v6, 23, 0x37800000
	v_cndmask_b32_e32 v4, v4, v7, vcc_lo
	v_and_b32_e32 v7, 0x80000000, v9
	v_lshlrev_b32_e32 v4, 21, v4
	v_or3_b32 v4, v7, v6, v4
.LBB6_13361:                            ;   in Loop: Header=BB6_12577 Depth=3
	s_or_b32 exec_lo, exec_lo, s72
	v_mul_f32_e32 v6, s23, v4
	v_and_b32_e32 v4, 0x7f800000, v6
	v_cmp_ne_u32_e32 vcc_lo, 0x7f800000, v4
	v_mov_b32_e32 v4, 0x8000
	s_and_saveexec_b32 s72, vcc_lo
	s_cbranch_execz .LBB6_13369
; %bb.13362:                            ;   in Loop: Header=BB6_12577 Depth=3
	v_mov_b32_e32 v4, 0
	s_mov_b32 s73, exec_lo
	v_cmpx_ne_u32_e32 0, v6
	s_cbranch_execz .LBB6_13368
; %bb.13363:                            ;   in Loop: Header=BB6_12577 Depth=3
	v_bfe_u32 v7, v6, 23, 8
	v_and_b32_e32 v4, 0x7fffff, v6
	v_cmp_gt_u32_e64 s16, 0x71, v7
	v_sub_nc_u32_e32 v8, 0x70, v7
	v_cmp_eq_u32_e32 vcc_lo, 0, v7
	v_or_b32_e32 v9, 0x800000, v4
	v_cndmask_b32_e64 v8, 0, v8, s16
	v_cndmask_b32_e32 v4, v9, v4, vcc_lo
	v_cndmask_b32_e64 v8, v8, 0x6f, vcc_lo
	v_lshl_add_u32 v9, 0x200000, v8, -1
	v_lshlrev_b32_e64 v14, v8, 0x100000
	v_and_b32_e32 v9, v9, v4
	v_cmp_eq_u32_e64 s16, v9, v14
	v_lshrrev_b32_e32 v9, v8, v4
	v_add_nc_u32_e32 v4, 0xffffff91, v7
	v_lshrrev_b32_e32 v7, 23, v9
	v_cndmask_b32_e64 v4, v4, 0xffffff92, vcc_lo
	v_xor_b32_e32 v7, 1, v7
	v_add_nc_u32_e32 v4, v8, v4
	v_bfe_u32 v8, v9, 21, 1
	v_add_nc_u32_e32 v8, -1, v8
	v_cndmask_b32_e64 v8, 0, v8, s16
	s_mov_b32 s16, exec_lo
	v_add_nc_u32_e32 v8, v8, v9
	v_and_b32_e32 v8, 0x1fffff, v8
	v_add_nc_u32_e32 v8, v8, v9
                                        ; implicit-def: $vgpr9
	v_cmpx_ne_u32_e64 v4, v7
	s_xor_b32 s16, exec_lo, s16
; %bb.13364:                            ;   in Loop: Header=BB6_12577 Depth=3
	v_cmp_lt_u32_e32 vcc_lo, 0xffffff, v8
	v_sub_nc_u32_e32 v4, v4, v7
	v_cndmask_b32_e64 v7, 0, 1, vcc_lo
	v_add_co_ci_u32_e64 v9, null, 0, v4, vcc_lo
	v_lshrrev_b32_e32 v8, v7, v8
; %bb.13365:                            ;   in Loop: Header=BB6_12577 Depth=3
	s_andn2_saveexec_b32 s16, s16
; %bb.13366:                            ;   in Loop: Header=BB6_12577 Depth=3
	v_bfe_u32 v9, v8, 23, 1
; %bb.13367:                            ;   in Loop: Header=BB6_12577 Depth=3
	s_or_b32 exec_lo, exec_lo, s16
	v_and_b32_sdwa v4, v6, v117 dst_sel:DWORD dst_unused:UNUSED_PAD src0_sel:BYTE_3 src1_sel:DWORD
	v_lshrrev_b32_e32 v6, 21, v8
	v_min_i32_e32 v7, 31, v9
	v_cmp_gt_i32_e32 vcc_lo, 32, v9
	v_lshlrev_b32_e32 v7, 2, v7
	v_cndmask_b32_e32 v6, 3, v6, vcc_lo
	v_and_b32_e32 v7, 0xfc, v7
	v_or_b32_e32 v8, v9, v6
	v_and_b32_e32 v6, 3, v6
	v_cmp_ne_u32_e32 vcc_lo, 0, v8
	v_or3_b32 v4, v4, v7, v6
	v_lshlrev_b32_e32 v4, 8, v4
	v_cndmask_b32_e32 v4, 0, v4, vcc_lo
.LBB6_13368:                            ;   in Loop: Header=BB6_12577 Depth=3
	s_or_b32 exec_lo, exec_lo, s73
.LBB6_13369:                            ;   in Loop: Header=BB6_12577 Depth=3
	s_or_b32 exec_lo, exec_lo, s72
	v_cmp_gt_i16_sdwa s16, v10, v116 src0_sel:BYTE_0 src1_sel:DWORD
	s_mov_b32 s72, 0
	s_and_saveexec_b32 s73, s16
	s_xor_b32 s16, exec_lo, s73
	s_cbranch_execz .LBB6_14871
; %bb.13370:                            ;   in Loop: Header=BB6_12577 Depth=3
	v_cmp_eq_u16_sdwa s74, v10, v117 src0_sel:BYTE_0 src1_sel:DWORD
	s_mov_b32 s72, -1
	s_and_saveexec_b32 s73, s74
; %bb.13371:                            ;   in Loop: Header=BB6_12577 Depth=3
	s_xor_b32 s72, exec_lo, -1
; %bb.13372:                            ;   in Loop: Header=BB6_12577 Depth=3
	s_or_b32 exec_lo, exec_lo, s73
	s_and_b32 s72, s72, exec_lo
	s_or_saveexec_b32 s16, s16
	v_mov_b32_e32 v6, 0x7f800001
	s_xor_b32 exec_lo, exec_lo, s16
	s_cbranch_execnz .LBB6_14872
.LBB6_13373:                            ;   in Loop: Header=BB6_12577 Depth=3
	s_or_b32 exec_lo, exec_lo, s16
	s_and_saveexec_b32 s16, s72
	s_cbranch_execz .LBB6_13375
.LBB6_13374:                            ;   in Loop: Header=BB6_12577 Depth=3
	v_and_b32_e32 v6, 3, v10
	v_bfe_u32 v7, v10, 2, 5
	v_ffbh_u32_e32 v8, v6
	v_cmp_eq_u32_e32 vcc_lo, 0, v7
	v_min_u32_e32 v8, 32, v8
	v_subrev_nc_u32_e32 v9, 29, v8
	v_sub_nc_u32_e32 v8, 30, v8
	v_lshlrev_b32_e32 v9, v9, v10
	v_cndmask_b32_e32 v7, v7, v8, vcc_lo
	v_lshlrev_b32_e32 v8, 24, v10
	v_and_b32_e32 v9, 3, v9
	v_lshl_add_u32 v7, v7, 23, 0x37800000
	v_and_b32_e32 v8, 0x80000000, v8
	v_cndmask_b32_e32 v6, v6, v9, vcc_lo
	v_lshlrev_b32_e32 v6, 21, v6
	v_or3_b32 v6, v8, v7, v6
.LBB6_13375:                            ;   in Loop: Header=BB6_12577 Depth=3
	s_or_b32 exec_lo, exec_lo, s16
	v_mul_f32_e32 v6, s23, v6
	v_mov_b32_e32 v52, 0x80
	s_mov_b32 s72, exec_lo
	v_and_b32_e32 v7, 0x7f800000, v6
	v_cmpx_ne_u32_e32 0x7f800000, v7
	s_cbranch_execz .LBB6_13383
; %bb.13376:                            ;   in Loop: Header=BB6_12577 Depth=3
	v_mov_b32_e32 v52, 0
	s_mov_b32 s73, exec_lo
	v_cmpx_ne_u32_e32 0, v6
	s_cbranch_execz .LBB6_13382
; %bb.13377:                            ;   in Loop: Header=BB6_12577 Depth=3
	v_bfe_u32 v8, v6, 23, 8
	v_and_b32_e32 v7, 0x7fffff, v6
	v_cmp_gt_u32_e64 s16, 0x71, v8
	v_sub_nc_u32_e32 v9, 0x70, v8
	v_cmp_eq_u32_e32 vcc_lo, 0, v8
	v_or_b32_e32 v14, 0x800000, v7
	v_cndmask_b32_e64 v9, 0, v9, s16
	v_cndmask_b32_e32 v7, v14, v7, vcc_lo
	v_cndmask_b32_e64 v9, v9, 0x6f, vcc_lo
	v_lshl_add_u32 v14, 0x200000, v9, -1
	v_lshlrev_b32_e64 v15, v9, 0x100000
	v_and_b32_e32 v14, v14, v7
	v_cmp_eq_u32_e64 s16, v14, v15
	v_lshrrev_b32_e32 v14, v9, v7
	v_add_nc_u32_e32 v7, 0xffffff91, v8
	v_lshrrev_b32_e32 v8, 23, v14
	v_cndmask_b32_e64 v7, v7, 0xffffff92, vcc_lo
	v_xor_b32_e32 v8, 1, v8
	v_add_nc_u32_e32 v7, v9, v7
	v_bfe_u32 v9, v14, 21, 1
	v_add_nc_u32_e32 v9, -1, v9
	v_cndmask_b32_e64 v9, 0, v9, s16
	s_mov_b32 s16, exec_lo
	v_add_nc_u32_e32 v9, v9, v14
	v_and_b32_e32 v9, 0x1fffff, v9
	v_add_nc_u32_e32 v9, v9, v14
                                        ; implicit-def: $vgpr14
	v_cmpx_ne_u32_e64 v7, v8
	s_xor_b32 s16, exec_lo, s16
; %bb.13378:                            ;   in Loop: Header=BB6_12577 Depth=3
	v_cmp_lt_u32_e32 vcc_lo, 0xffffff, v9
	v_sub_nc_u32_e32 v7, v7, v8
	v_cndmask_b32_e64 v8, 0, 1, vcc_lo
	v_add_co_ci_u32_e64 v14, null, 0, v7, vcc_lo
	v_lshrrev_b32_e32 v9, v8, v9
; %bb.13379:                            ;   in Loop: Header=BB6_12577 Depth=3
	s_andn2_saveexec_b32 s16, s16
; %bb.13380:                            ;   in Loop: Header=BB6_12577 Depth=3
	v_bfe_u32 v14, v9, 23, 1
; %bb.13381:                            ;   in Loop: Header=BB6_12577 Depth=3
	s_or_b32 exec_lo, exec_lo, s16
	v_lshrrev_b32_e32 v7, 21, v9
	v_min_i32_e32 v8, 31, v14
	v_cmp_gt_i32_e32 vcc_lo, 32, v14
	v_and_b32_sdwa v6, v6, v117 dst_sel:DWORD dst_unused:UNUSED_PAD src0_sel:BYTE_3 src1_sel:DWORD
	v_lshlrev_b32_e32 v8, 2, v8
	v_cndmask_b32_e32 v7, 3, v7, vcc_lo
	v_and_b32_e32 v8, 0xfc, v8
	v_or_b32_e32 v9, v14, v7
	v_and_b32_e32 v7, 3, v7
	v_cmp_ne_u32_e32 vcc_lo, 0, v9
	v_or3_b32 v6, v8, v6, v7
	v_cndmask_b32_e32 v52, 0, v6, vcc_lo
.LBB6_13382:                            ;   in Loop: Header=BB6_12577 Depth=3
	s_or_b32 exec_lo, exec_lo, s73
.LBB6_13383:                            ;   in Loop: Header=BB6_12577 Depth=3
	s_or_b32 exec_lo, exec_lo, s72
	v_cmp_gt_i16_sdwa s72, v10, v116 src0_sel:BYTE_1 src1_sel:DWORD
	s_mov_b32 s16, 0
	s_and_saveexec_b32 s73, s72
	s_xor_b32 s72, exec_lo, s73
	s_cbranch_execz .LBB6_14873
; %bb.13384:                            ;   in Loop: Header=BB6_12577 Depth=3
	v_cmp_eq_u16_sdwa s74, v10, v117 src0_sel:BYTE_1 src1_sel:DWORD
	s_mov_b32 s16, -1
	s_and_saveexec_b32 s73, s74
; %bb.13385:                            ;   in Loop: Header=BB6_12577 Depth=3
	s_xor_b32 s16, exec_lo, -1
; %bb.13386:                            ;   in Loop: Header=BB6_12577 Depth=3
	s_or_b32 exec_lo, exec_lo, s73
	s_and_b32 s16, s16, exec_lo
	s_or_saveexec_b32 s72, s72
	v_mov_b32_e32 v6, 0x7f800001
	s_xor_b32 exec_lo, exec_lo, s72
	s_cbranch_execnz .LBB6_14874
.LBB6_13387:                            ;   in Loop: Header=BB6_12577 Depth=3
	s_or_b32 exec_lo, exec_lo, s72
	s_and_saveexec_b32 s72, s16
	s_cbranch_execz .LBB6_13389
.LBB6_13388:                            ;   in Loop: Header=BB6_12577 Depth=3
	v_and_b32_sdwa v6, v118, v10 dst_sel:DWORD dst_unused:UNUSED_PAD src0_sel:DWORD src1_sel:BYTE_1
	v_and_b32_e32 v7, 3, v6
	v_bfe_u32 v14, v6, 2, 5
	v_ffbh_u32_e32 v8, v7
	v_cmp_eq_u32_e32 vcc_lo, 0, v14
	v_min_u32_e32 v8, 32, v8
	v_subrev_nc_u32_e32 v9, 29, v8
	v_sub_nc_u32_e32 v8, 30, v8
	v_lshlrev_b32_e32 v6, v9, v6
	v_lshlrev_b32_sdwa v9, v119, v10 dst_sel:DWORD dst_unused:UNUSED_PAD src0_sel:DWORD src1_sel:BYTE_1
	v_cndmask_b32_e32 v8, v14, v8, vcc_lo
	v_and_b32_e32 v6, 3, v6
	v_lshl_add_u32 v8, v8, 23, 0x37800000
	v_cndmask_b32_e32 v6, v7, v6, vcc_lo
	v_and_b32_e32 v7, 0x80000000, v9
	v_lshlrev_b32_e32 v6, 21, v6
	v_or3_b32 v6, v7, v8, v6
.LBB6_13389:                            ;   in Loop: Header=BB6_12577 Depth=3
	s_or_b32 exec_lo, exec_lo, s72
	v_mul_f32_e32 v6, s23, v6
	v_mov_b32_e32 v79, 0x8000
	s_mov_b32 s72, exec_lo
	v_and_b32_e32 v7, 0x7f800000, v6
	v_cmpx_ne_u32_e32 0x7f800000, v7
	s_cbranch_execz .LBB6_13397
; %bb.13390:                            ;   in Loop: Header=BB6_12577 Depth=3
	v_mov_b32_e32 v79, 0
	s_mov_b32 s73, exec_lo
	v_cmpx_ne_u32_e32 0, v6
	s_cbranch_execz .LBB6_13396
; %bb.13391:                            ;   in Loop: Header=BB6_12577 Depth=3
	v_bfe_u32 v8, v6, 23, 8
	v_and_b32_e32 v7, 0x7fffff, v6
	v_cmp_gt_u32_e64 s16, 0x71, v8
	v_sub_nc_u32_e32 v9, 0x70, v8
	v_cmp_eq_u32_e32 vcc_lo, 0, v8
	v_or_b32_e32 v14, 0x800000, v7
	v_cndmask_b32_e64 v9, 0, v9, s16
	v_cndmask_b32_e32 v7, v14, v7, vcc_lo
	v_cndmask_b32_e64 v9, v9, 0x6f, vcc_lo
	v_lshl_add_u32 v14, 0x200000, v9, -1
	v_lshlrev_b32_e64 v15, v9, 0x100000
	v_and_b32_e32 v14, v14, v7
	v_cmp_eq_u32_e64 s16, v14, v15
	v_lshrrev_b32_e32 v14, v9, v7
	v_add_nc_u32_e32 v7, 0xffffff91, v8
	v_lshrrev_b32_e32 v8, 23, v14
	v_cndmask_b32_e64 v7, v7, 0xffffff92, vcc_lo
	v_xor_b32_e32 v8, 1, v8
	v_add_nc_u32_e32 v7, v9, v7
	v_bfe_u32 v9, v14, 21, 1
	v_add_nc_u32_e32 v9, -1, v9
	v_cndmask_b32_e64 v9, 0, v9, s16
	s_mov_b32 s16, exec_lo
	v_add_nc_u32_e32 v9, v9, v14
	v_and_b32_e32 v9, 0x1fffff, v9
	v_add_nc_u32_e32 v9, v9, v14
                                        ; implicit-def: $vgpr14
	v_cmpx_ne_u32_e64 v7, v8
	s_xor_b32 s16, exec_lo, s16
; %bb.13392:                            ;   in Loop: Header=BB6_12577 Depth=3
	v_cmp_lt_u32_e32 vcc_lo, 0xffffff, v9
	v_sub_nc_u32_e32 v7, v7, v8
	v_cndmask_b32_e64 v8, 0, 1, vcc_lo
	v_add_co_ci_u32_e64 v14, null, 0, v7, vcc_lo
	v_lshrrev_b32_e32 v9, v8, v9
; %bb.13393:                            ;   in Loop: Header=BB6_12577 Depth=3
	s_andn2_saveexec_b32 s16, s16
; %bb.13394:                            ;   in Loop: Header=BB6_12577 Depth=3
	v_bfe_u32 v14, v9, 23, 1
; %bb.13395:                            ;   in Loop: Header=BB6_12577 Depth=3
	s_or_b32 exec_lo, exec_lo, s16
	v_lshrrev_b32_e32 v7, 21, v9
	v_min_i32_e32 v8, 31, v14
	v_cmp_gt_i32_e32 vcc_lo, 32, v14
	v_and_b32_sdwa v6, v6, v117 dst_sel:DWORD dst_unused:UNUSED_PAD src0_sel:BYTE_3 src1_sel:DWORD
	v_lshlrev_b32_e32 v8, 2, v8
	v_cndmask_b32_e32 v7, 3, v7, vcc_lo
	v_and_b32_e32 v8, 0xfc, v8
	v_or_b32_e32 v9, v14, v7
	v_and_b32_e32 v7, 3, v7
	v_cmp_ne_u32_e32 vcc_lo, 0, v9
	v_or3_b32 v6, v6, v8, v7
	v_lshlrev_b32_e32 v6, 8, v6
	v_cndmask_b32_e32 v79, 0, v6, vcc_lo
.LBB6_13396:                            ;   in Loop: Header=BB6_12577 Depth=3
	s_or_b32 exec_lo, exec_lo, s73
.LBB6_13397:                            ;   in Loop: Header=BB6_12577 Depth=3
	s_or_b32 exec_lo, exec_lo, s72
	v_and_b32_sdwa v7, v10, v40 dst_sel:DWORD dst_unused:UNUSED_PAD src0_sel:WORD_1 src1_sel:DWORD
	s_mov_b32 s72, 0
	s_mov_b32 s16, exec_lo
	v_cmpx_lt_i16_e32 0x7f, v7
	s_xor_b32 s16, exec_lo, s16
	s_cbranch_execz .LBB6_14875
; %bb.13398:                            ;   in Loop: Header=BB6_12577 Depth=3
	s_mov_b32 s72, -1
	s_mov_b32 s73, exec_lo
	v_cmpx_eq_u16_e32 0x80, v7
; %bb.13399:                            ;   in Loop: Header=BB6_12577 Depth=3
	s_xor_b32 s72, exec_lo, -1
; %bb.13400:                            ;   in Loop: Header=BB6_12577 Depth=3
	s_or_b32 exec_lo, exec_lo, s73
	s_and_b32 s72, s72, exec_lo
                                        ; implicit-def: $vgpr7
	s_or_saveexec_b32 s16, s16
	v_mov_b32_e32 v6, 0x7f800001
	s_xor_b32 exec_lo, exec_lo, s16
	s_cbranch_execnz .LBB6_14876
.LBB6_13401:                            ;   in Loop: Header=BB6_12577 Depth=3
	s_or_b32 exec_lo, exec_lo, s16
	s_and_saveexec_b32 s16, s72
	s_cbranch_execz .LBB6_13403
.LBB6_13402:                            ;   in Loop: Header=BB6_12577 Depth=3
	v_bfe_u32 v6, v10, 16, 2
	v_bfe_u32 v7, v10, 18, 5
	v_ffbh_u32_e32 v8, v6
	v_cmp_eq_u32_e32 vcc_lo, 0, v7
	v_min_u32_e32 v8, 32, v8
	v_subrev_nc_u32_e32 v9, 29, v8
	v_sub_nc_u32_e32 v8, 30, v8
	v_lshlrev_b32_sdwa v9, v9, v10 dst_sel:DWORD dst_unused:UNUSED_PAD src0_sel:DWORD src1_sel:WORD_1
	v_cndmask_b32_e32 v7, v7, v8, vcc_lo
	v_lshlrev_b32_e32 v8, 8, v10
	v_and_b32_e32 v9, 3, v9
	v_lshl_add_u32 v7, v7, 23, 0x37800000
	v_and_b32_e32 v8, 0x80000000, v8
	v_cndmask_b32_e32 v6, v6, v9, vcc_lo
	v_lshlrev_b32_e32 v6, 21, v6
	v_or3_b32 v6, v8, v7, v6
.LBB6_13403:                            ;   in Loop: Header=BB6_12577 Depth=3
	s_or_b32 exec_lo, exec_lo, s16
	v_mul_f32_e32 v6, s23, v6
	v_mov_b32_e32 v29, 0x80
	s_mov_b32 s72, exec_lo
	v_and_b32_e32 v7, 0x7f800000, v6
	v_cmpx_ne_u32_e32 0x7f800000, v7
	s_cbranch_execz .LBB6_13411
; %bb.13404:                            ;   in Loop: Header=BB6_12577 Depth=3
	v_mov_b32_e32 v29, 0
	s_mov_b32 s73, exec_lo
	v_cmpx_ne_u32_e32 0, v6
	s_cbranch_execz .LBB6_13410
; %bb.13405:                            ;   in Loop: Header=BB6_12577 Depth=3
	v_bfe_u32 v8, v6, 23, 8
	v_and_b32_e32 v7, 0x7fffff, v6
	v_cmp_gt_u32_e64 s16, 0x71, v8
	v_sub_nc_u32_e32 v9, 0x70, v8
	v_cmp_eq_u32_e32 vcc_lo, 0, v8
	v_or_b32_e32 v14, 0x800000, v7
	v_cndmask_b32_e64 v9, 0, v9, s16
	v_cndmask_b32_e32 v7, v14, v7, vcc_lo
	v_cndmask_b32_e64 v9, v9, 0x6f, vcc_lo
	v_lshl_add_u32 v14, 0x200000, v9, -1
	v_lshlrev_b32_e64 v15, v9, 0x100000
	v_and_b32_e32 v14, v14, v7
	v_cmp_eq_u32_e64 s16, v14, v15
	v_lshrrev_b32_e32 v14, v9, v7
	v_add_nc_u32_e32 v7, 0xffffff91, v8
	v_lshrrev_b32_e32 v8, 23, v14
	v_cndmask_b32_e64 v7, v7, 0xffffff92, vcc_lo
	v_xor_b32_e32 v8, 1, v8
	v_add_nc_u32_e32 v7, v9, v7
	v_bfe_u32 v9, v14, 21, 1
	v_add_nc_u32_e32 v9, -1, v9
	v_cndmask_b32_e64 v9, 0, v9, s16
	s_mov_b32 s16, exec_lo
	v_add_nc_u32_e32 v9, v9, v14
	v_and_b32_e32 v9, 0x1fffff, v9
	v_add_nc_u32_e32 v9, v9, v14
                                        ; implicit-def: $vgpr14
	v_cmpx_ne_u32_e64 v7, v8
	s_xor_b32 s16, exec_lo, s16
; %bb.13406:                            ;   in Loop: Header=BB6_12577 Depth=3
	v_cmp_lt_u32_e32 vcc_lo, 0xffffff, v9
	v_sub_nc_u32_e32 v7, v7, v8
	v_cndmask_b32_e64 v8, 0, 1, vcc_lo
	v_add_co_ci_u32_e64 v14, null, 0, v7, vcc_lo
	v_lshrrev_b32_e32 v9, v8, v9
; %bb.13407:                            ;   in Loop: Header=BB6_12577 Depth=3
	s_andn2_saveexec_b32 s16, s16
; %bb.13408:                            ;   in Loop: Header=BB6_12577 Depth=3
	v_bfe_u32 v14, v9, 23, 1
; %bb.13409:                            ;   in Loop: Header=BB6_12577 Depth=3
	s_or_b32 exec_lo, exec_lo, s16
	v_lshrrev_b32_e32 v7, 21, v9
	v_min_i32_e32 v8, 31, v14
	v_cmp_gt_i32_e32 vcc_lo, 32, v14
	v_and_b32_sdwa v6, v6, v117 dst_sel:DWORD dst_unused:UNUSED_PAD src0_sel:BYTE_3 src1_sel:DWORD
	v_lshlrev_b32_e32 v8, 2, v8
	v_cndmask_b32_e32 v7, 3, v7, vcc_lo
	v_and_b32_e32 v8, 0xfc, v8
	v_or_b32_e32 v9, v14, v7
	v_and_b32_e32 v7, 3, v7
	v_cmp_ne_u32_e32 vcc_lo, 0, v9
	v_or3_b32 v6, v8, v6, v7
	v_cndmask_b32_e32 v29, 0, v6, vcc_lo
.LBB6_13410:                            ;   in Loop: Header=BB6_12577 Depth=3
	s_or_b32 exec_lo, exec_lo, s73
.LBB6_13411:                            ;   in Loop: Header=BB6_12577 Depth=3
	s_or_b32 exec_lo, exec_lo, s72
	v_cmp_gt_i16_sdwa s72, v10, v116 src0_sel:BYTE_3 src1_sel:DWORD
	s_mov_b32 s16, 0
	s_and_saveexec_b32 s73, s72
	s_xor_b32 s72, exec_lo, s73
	s_cbranch_execz .LBB6_14877
; %bb.13412:                            ;   in Loop: Header=BB6_12577 Depth=3
	v_cmp_eq_u16_sdwa s74, v10, v117 src0_sel:BYTE_3 src1_sel:DWORD
	s_mov_b32 s16, -1
	s_and_saveexec_b32 s73, s74
; %bb.13413:                            ;   in Loop: Header=BB6_12577 Depth=3
	s_xor_b32 s16, exec_lo, -1
; %bb.13414:                            ;   in Loop: Header=BB6_12577 Depth=3
	s_or_b32 exec_lo, exec_lo, s73
	s_and_b32 s16, s16, exec_lo
	s_or_saveexec_b32 s72, s72
	v_mov_b32_e32 v6, 0x7f800001
	s_xor_b32 exec_lo, exec_lo, s72
	s_cbranch_execnz .LBB6_14878
.LBB6_13415:                            ;   in Loop: Header=BB6_12577 Depth=3
	s_or_b32 exec_lo, exec_lo, s72
	s_and_saveexec_b32 s72, s16
	s_cbranch_execz .LBB6_13417
.LBB6_13416:                            ;   in Loop: Header=BB6_12577 Depth=3
	v_bfe_u32 v6, v10, 24, 2
	v_bfe_u32 v9, v10, 26, 5
	v_ffbh_u32_e32 v7, v6
	v_cmp_eq_u32_e32 vcc_lo, 0, v9
	v_min_u32_e32 v7, 32, v7
	v_subrev_nc_u32_e32 v8, 29, v7
	v_sub_nc_u32_e32 v7, 30, v7
	v_lshlrev_b32_sdwa v8, v8, v10 dst_sel:DWORD dst_unused:UNUSED_PAD src0_sel:DWORD src1_sel:BYTE_3
	v_cndmask_b32_e32 v7, v9, v7, vcc_lo
	v_and_b32_e32 v8, 3, v8
	v_lshl_add_u32 v7, v7, 23, 0x37800000
	v_cndmask_b32_e32 v6, v6, v8, vcc_lo
	v_and_b32_e32 v8, 0x80000000, v10
	v_lshlrev_b32_e32 v6, 21, v6
	v_or3_b32 v6, v8, v7, v6
.LBB6_13417:                            ;   in Loop: Header=BB6_12577 Depth=3
	s_or_b32 exec_lo, exec_lo, s72
	v_mul_f32_e32 v6, s23, v6
	v_mov_b32_e32 v98, 0x8000
	s_mov_b32 s72, exec_lo
	v_and_b32_e32 v7, 0x7f800000, v6
	v_cmpx_ne_u32_e32 0x7f800000, v7
	s_cbranch_execz .LBB6_13425
; %bb.13418:                            ;   in Loop: Header=BB6_12577 Depth=3
	v_mov_b32_e32 v98, 0
	s_mov_b32 s73, exec_lo
	v_cmpx_ne_u32_e32 0, v6
	s_cbranch_execz .LBB6_13424
; %bb.13419:                            ;   in Loop: Header=BB6_12577 Depth=3
	v_bfe_u32 v8, v6, 23, 8
	v_and_b32_e32 v7, 0x7fffff, v6
	v_cmp_gt_u32_e64 s16, 0x71, v8
	v_sub_nc_u32_e32 v9, 0x70, v8
	v_cmp_eq_u32_e32 vcc_lo, 0, v8
	v_or_b32_e32 v10, 0x800000, v7
	v_cndmask_b32_e64 v9, 0, v9, s16
	v_cndmask_b32_e32 v7, v10, v7, vcc_lo
	v_cndmask_b32_e64 v9, v9, 0x6f, vcc_lo
	v_lshl_add_u32 v10, 0x200000, v9, -1
	v_lshlrev_b32_e64 v14, v9, 0x100000
	v_and_b32_e32 v10, v10, v7
	v_cmp_eq_u32_e64 s16, v10, v14
	v_lshrrev_b32_e32 v10, v9, v7
	v_add_nc_u32_e32 v7, 0xffffff91, v8
	v_lshrrev_b32_e32 v8, 23, v10
	v_cndmask_b32_e64 v7, v7, 0xffffff92, vcc_lo
	v_xor_b32_e32 v8, 1, v8
	v_add_nc_u32_e32 v7, v9, v7
	v_bfe_u32 v9, v10, 21, 1
	v_add_nc_u32_e32 v9, -1, v9
	v_cndmask_b32_e64 v9, 0, v9, s16
	s_mov_b32 s16, exec_lo
	v_add_nc_u32_e32 v9, v9, v10
	v_and_b32_e32 v9, 0x1fffff, v9
	v_add_nc_u32_e32 v9, v9, v10
                                        ; implicit-def: $vgpr10
	v_cmpx_ne_u32_e64 v7, v8
	s_xor_b32 s16, exec_lo, s16
; %bb.13420:                            ;   in Loop: Header=BB6_12577 Depth=3
	v_cmp_lt_u32_e32 vcc_lo, 0xffffff, v9
	v_sub_nc_u32_e32 v7, v7, v8
	v_cndmask_b32_e64 v8, 0, 1, vcc_lo
	v_add_co_ci_u32_e64 v10, null, 0, v7, vcc_lo
	v_lshrrev_b32_e32 v9, v8, v9
; %bb.13421:                            ;   in Loop: Header=BB6_12577 Depth=3
	s_andn2_saveexec_b32 s16, s16
; %bb.13422:                            ;   in Loop: Header=BB6_12577 Depth=3
	v_bfe_u32 v10, v9, 23, 1
; %bb.13423:                            ;   in Loop: Header=BB6_12577 Depth=3
	s_or_b32 exec_lo, exec_lo, s16
	v_lshrrev_b32_e32 v7, 21, v9
	v_min_i32_e32 v8, 31, v10
	v_cmp_gt_i32_e32 vcc_lo, 32, v10
	v_and_b32_sdwa v6, v6, v117 dst_sel:DWORD dst_unused:UNUSED_PAD src0_sel:BYTE_3 src1_sel:DWORD
	v_lshlrev_b32_e32 v8, 2, v8
	v_cndmask_b32_e32 v7, 3, v7, vcc_lo
	v_and_b32_e32 v8, 0xfc, v8
	v_or_b32_e32 v9, v10, v7
	v_and_b32_e32 v7, 3, v7
	v_cmp_ne_u32_e32 vcc_lo, 0, v9
	v_or3_b32 v6, v6, v8, v7
	v_lshlrev_b32_e32 v6, 8, v6
	v_cndmask_b32_e32 v98, 0, v6, vcc_lo
.LBB6_13424:                            ;   in Loop: Header=BB6_12577 Depth=3
	s_or_b32 exec_lo, exec_lo, s73
.LBB6_13425:                            ;   in Loop: Header=BB6_12577 Depth=3
	s_or_b32 exec_lo, exec_lo, s72
	v_cmp_gt_i16_sdwa s16, v11, v116 src0_sel:BYTE_0 src1_sel:DWORD
	s_mov_b32 s72, 0
	s_and_saveexec_b32 s73, s16
	s_xor_b32 s16, exec_lo, s73
	s_cbranch_execz .LBB6_14879
; %bb.13426:                            ;   in Loop: Header=BB6_12577 Depth=3
	v_cmp_eq_u16_sdwa s74, v11, v117 src0_sel:BYTE_0 src1_sel:DWORD
	s_mov_b32 s72, -1
	s_and_saveexec_b32 s73, s74
; %bb.13427:                            ;   in Loop: Header=BB6_12577 Depth=3
	s_xor_b32 s72, exec_lo, -1
; %bb.13428:                            ;   in Loop: Header=BB6_12577 Depth=3
	s_or_b32 exec_lo, exec_lo, s73
	s_and_b32 s72, s72, exec_lo
	s_or_saveexec_b32 s16, s16
	v_mov_b32_e32 v6, 0x7f800001
	s_xor_b32 exec_lo, exec_lo, s16
	s_cbranch_execnz .LBB6_14880
.LBB6_13429:                            ;   in Loop: Header=BB6_12577 Depth=3
	s_or_b32 exec_lo, exec_lo, s16
	s_and_saveexec_b32 s16, s72
	s_cbranch_execz .LBB6_13431
.LBB6_13430:                            ;   in Loop: Header=BB6_12577 Depth=3
	v_and_b32_e32 v6, 3, v11
	v_bfe_u32 v7, v11, 2, 5
	v_ffbh_u32_e32 v8, v6
	v_cmp_eq_u32_e32 vcc_lo, 0, v7
	v_min_u32_e32 v8, 32, v8
	v_subrev_nc_u32_e32 v9, 29, v8
	v_sub_nc_u32_e32 v8, 30, v8
	v_lshlrev_b32_e32 v9, v9, v11
	v_cndmask_b32_e32 v7, v7, v8, vcc_lo
	v_lshlrev_b32_e32 v8, 24, v11
	v_and_b32_e32 v9, 3, v9
	v_lshl_add_u32 v7, v7, 23, 0x37800000
	v_and_b32_e32 v8, 0x80000000, v8
	v_cndmask_b32_e32 v6, v6, v9, vcc_lo
	v_lshlrev_b32_e32 v6, 21, v6
	v_or3_b32 v6, v8, v7, v6
.LBB6_13431:                            ;   in Loop: Header=BB6_12577 Depth=3
	s_or_b32 exec_lo, exec_lo, s16
	v_mul_f32_e32 v6, s23, v6
	v_mov_b32_e32 v25, 0x80
	s_mov_b32 s72, exec_lo
	v_and_b32_e32 v7, 0x7f800000, v6
	v_cmpx_ne_u32_e32 0x7f800000, v7
	s_cbranch_execz .LBB6_13439
; %bb.13432:                            ;   in Loop: Header=BB6_12577 Depth=3
	v_mov_b32_e32 v25, 0
	s_mov_b32 s73, exec_lo
	v_cmpx_ne_u32_e32 0, v6
	s_cbranch_execz .LBB6_13438
; %bb.13433:                            ;   in Loop: Header=BB6_12577 Depth=3
	v_bfe_u32 v8, v6, 23, 8
	v_and_b32_e32 v7, 0x7fffff, v6
	v_cmp_gt_u32_e64 s16, 0x71, v8
	v_sub_nc_u32_e32 v9, 0x70, v8
	v_cmp_eq_u32_e32 vcc_lo, 0, v8
	v_or_b32_e32 v10, 0x800000, v7
	v_cndmask_b32_e64 v9, 0, v9, s16
	v_cndmask_b32_e32 v7, v10, v7, vcc_lo
	v_cndmask_b32_e64 v9, v9, 0x6f, vcc_lo
	v_lshl_add_u32 v10, 0x200000, v9, -1
	v_lshlrev_b32_e64 v14, v9, 0x100000
	v_and_b32_e32 v10, v10, v7
	v_cmp_eq_u32_e64 s16, v10, v14
	v_lshrrev_b32_e32 v10, v9, v7
	v_add_nc_u32_e32 v7, 0xffffff91, v8
	v_lshrrev_b32_e32 v8, 23, v10
	v_cndmask_b32_e64 v7, v7, 0xffffff92, vcc_lo
	v_xor_b32_e32 v8, 1, v8
	v_add_nc_u32_e32 v7, v9, v7
	v_bfe_u32 v9, v10, 21, 1
	v_add_nc_u32_e32 v9, -1, v9
	v_cndmask_b32_e64 v9, 0, v9, s16
	s_mov_b32 s16, exec_lo
	v_add_nc_u32_e32 v9, v9, v10
	v_and_b32_e32 v9, 0x1fffff, v9
	v_add_nc_u32_e32 v9, v9, v10
                                        ; implicit-def: $vgpr10
	v_cmpx_ne_u32_e64 v7, v8
	s_xor_b32 s16, exec_lo, s16
; %bb.13434:                            ;   in Loop: Header=BB6_12577 Depth=3
	v_cmp_lt_u32_e32 vcc_lo, 0xffffff, v9
	v_sub_nc_u32_e32 v7, v7, v8
	v_cndmask_b32_e64 v8, 0, 1, vcc_lo
	v_add_co_ci_u32_e64 v10, null, 0, v7, vcc_lo
	v_lshrrev_b32_e32 v9, v8, v9
; %bb.13435:                            ;   in Loop: Header=BB6_12577 Depth=3
	s_andn2_saveexec_b32 s16, s16
; %bb.13436:                            ;   in Loop: Header=BB6_12577 Depth=3
	v_bfe_u32 v10, v9, 23, 1
; %bb.13437:                            ;   in Loop: Header=BB6_12577 Depth=3
	s_or_b32 exec_lo, exec_lo, s16
	v_lshrrev_b32_e32 v7, 21, v9
	v_min_i32_e32 v8, 31, v10
	v_cmp_gt_i32_e32 vcc_lo, 32, v10
	v_and_b32_sdwa v6, v6, v117 dst_sel:DWORD dst_unused:UNUSED_PAD src0_sel:BYTE_3 src1_sel:DWORD
	v_lshlrev_b32_e32 v8, 2, v8
	v_cndmask_b32_e32 v7, 3, v7, vcc_lo
	v_and_b32_e32 v8, 0xfc, v8
	v_or_b32_e32 v9, v10, v7
	v_and_b32_e32 v7, 3, v7
	v_cmp_ne_u32_e32 vcc_lo, 0, v9
	v_or3_b32 v6, v8, v6, v7
	v_cndmask_b32_e32 v25, 0, v6, vcc_lo
.LBB6_13438:                            ;   in Loop: Header=BB6_12577 Depth=3
	s_or_b32 exec_lo, exec_lo, s73
.LBB6_13439:                            ;   in Loop: Header=BB6_12577 Depth=3
	s_or_b32 exec_lo, exec_lo, s72
	v_cmp_gt_i16_sdwa s72, v11, v116 src0_sel:BYTE_1 src1_sel:DWORD
	s_mov_b32 s16, 0
	s_and_saveexec_b32 s73, s72
	s_xor_b32 s72, exec_lo, s73
	s_cbranch_execz .LBB6_14881
; %bb.13440:                            ;   in Loop: Header=BB6_12577 Depth=3
	v_cmp_eq_u16_sdwa s74, v11, v117 src0_sel:BYTE_1 src1_sel:DWORD
	s_mov_b32 s16, -1
	s_and_saveexec_b32 s73, s74
; %bb.13441:                            ;   in Loop: Header=BB6_12577 Depth=3
	s_xor_b32 s16, exec_lo, -1
; %bb.13442:                            ;   in Loop: Header=BB6_12577 Depth=3
	s_or_b32 exec_lo, exec_lo, s73
	s_and_b32 s16, s16, exec_lo
	s_or_saveexec_b32 s72, s72
	v_mov_b32_e32 v6, 0x7f800001
	s_xor_b32 exec_lo, exec_lo, s72
	s_cbranch_execnz .LBB6_14882
.LBB6_13443:                            ;   in Loop: Header=BB6_12577 Depth=3
	s_or_b32 exec_lo, exec_lo, s72
	s_and_saveexec_b32 s72, s16
	s_cbranch_execz .LBB6_13445
.LBB6_13444:                            ;   in Loop: Header=BB6_12577 Depth=3
	v_and_b32_sdwa v6, v118, v11 dst_sel:DWORD dst_unused:UNUSED_PAD src0_sel:DWORD src1_sel:BYTE_1
	v_and_b32_e32 v7, 3, v6
	v_bfe_u32 v10, v6, 2, 5
	v_ffbh_u32_e32 v8, v7
	v_cmp_eq_u32_e32 vcc_lo, 0, v10
	v_min_u32_e32 v8, 32, v8
	v_subrev_nc_u32_e32 v9, 29, v8
	v_sub_nc_u32_e32 v8, 30, v8
	v_lshlrev_b32_e32 v6, v9, v6
	v_lshlrev_b32_sdwa v9, v119, v11 dst_sel:DWORD dst_unused:UNUSED_PAD src0_sel:DWORD src1_sel:BYTE_1
	v_cndmask_b32_e32 v8, v10, v8, vcc_lo
	v_and_b32_e32 v6, 3, v6
	v_lshl_add_u32 v8, v8, 23, 0x37800000
	v_cndmask_b32_e32 v6, v7, v6, vcc_lo
	v_and_b32_e32 v7, 0x80000000, v9
	v_lshlrev_b32_e32 v6, 21, v6
	v_or3_b32 v6, v7, v8, v6
.LBB6_13445:                            ;   in Loop: Header=BB6_12577 Depth=3
	s_or_b32 exec_lo, exec_lo, s72
	v_mul_f32_e32 v6, s23, v6
	v_mov_b32_e32 v30, 0x8000
	s_mov_b32 s72, exec_lo
	v_and_b32_e32 v7, 0x7f800000, v6
	v_cmpx_ne_u32_e32 0x7f800000, v7
	s_cbranch_execz .LBB6_13453
; %bb.13446:                            ;   in Loop: Header=BB6_12577 Depth=3
	v_mov_b32_e32 v30, 0
	s_mov_b32 s73, exec_lo
	v_cmpx_ne_u32_e32 0, v6
	s_cbranch_execz .LBB6_13452
; %bb.13447:                            ;   in Loop: Header=BB6_12577 Depth=3
	v_bfe_u32 v8, v6, 23, 8
	v_and_b32_e32 v7, 0x7fffff, v6
	v_cmp_gt_u32_e64 s16, 0x71, v8
	v_sub_nc_u32_e32 v9, 0x70, v8
	v_cmp_eq_u32_e32 vcc_lo, 0, v8
	v_or_b32_e32 v10, 0x800000, v7
	v_cndmask_b32_e64 v9, 0, v9, s16
	v_cndmask_b32_e32 v7, v10, v7, vcc_lo
	v_cndmask_b32_e64 v9, v9, 0x6f, vcc_lo
	v_lshl_add_u32 v10, 0x200000, v9, -1
	v_lshlrev_b32_e64 v14, v9, 0x100000
	v_and_b32_e32 v10, v10, v7
	v_cmp_eq_u32_e64 s16, v10, v14
	v_lshrrev_b32_e32 v10, v9, v7
	v_add_nc_u32_e32 v7, 0xffffff91, v8
	v_lshrrev_b32_e32 v8, 23, v10
	v_cndmask_b32_e64 v7, v7, 0xffffff92, vcc_lo
	v_xor_b32_e32 v8, 1, v8
	v_add_nc_u32_e32 v7, v9, v7
	v_bfe_u32 v9, v10, 21, 1
	v_add_nc_u32_e32 v9, -1, v9
	v_cndmask_b32_e64 v9, 0, v9, s16
	s_mov_b32 s16, exec_lo
	v_add_nc_u32_e32 v9, v9, v10
	v_and_b32_e32 v9, 0x1fffff, v9
	v_add_nc_u32_e32 v9, v9, v10
                                        ; implicit-def: $vgpr10
	v_cmpx_ne_u32_e64 v7, v8
	s_xor_b32 s16, exec_lo, s16
; %bb.13448:                            ;   in Loop: Header=BB6_12577 Depth=3
	v_cmp_lt_u32_e32 vcc_lo, 0xffffff, v9
	v_sub_nc_u32_e32 v7, v7, v8
	v_cndmask_b32_e64 v8, 0, 1, vcc_lo
	v_add_co_ci_u32_e64 v10, null, 0, v7, vcc_lo
	v_lshrrev_b32_e32 v9, v8, v9
; %bb.13449:                            ;   in Loop: Header=BB6_12577 Depth=3
	s_andn2_saveexec_b32 s16, s16
; %bb.13450:                            ;   in Loop: Header=BB6_12577 Depth=3
	v_bfe_u32 v10, v9, 23, 1
; %bb.13451:                            ;   in Loop: Header=BB6_12577 Depth=3
	s_or_b32 exec_lo, exec_lo, s16
	v_lshrrev_b32_e32 v7, 21, v9
	v_min_i32_e32 v8, 31, v10
	v_cmp_gt_i32_e32 vcc_lo, 32, v10
	v_and_b32_sdwa v6, v6, v117 dst_sel:DWORD dst_unused:UNUSED_PAD src0_sel:BYTE_3 src1_sel:DWORD
	v_lshlrev_b32_e32 v8, 2, v8
	v_cndmask_b32_e32 v7, 3, v7, vcc_lo
	v_and_b32_e32 v8, 0xfc, v8
	v_or_b32_e32 v9, v10, v7
	v_and_b32_e32 v7, 3, v7
	v_cmp_ne_u32_e32 vcc_lo, 0, v9
	v_or3_b32 v6, v6, v8, v7
	v_lshlrev_b32_e32 v6, 8, v6
	v_cndmask_b32_e32 v30, 0, v6, vcc_lo
.LBB6_13452:                            ;   in Loop: Header=BB6_12577 Depth=3
	s_or_b32 exec_lo, exec_lo, s73
.LBB6_13453:                            ;   in Loop: Header=BB6_12577 Depth=3
	s_or_b32 exec_lo, exec_lo, s72
	v_and_b32_sdwa v7, v11, v40 dst_sel:DWORD dst_unused:UNUSED_PAD src0_sel:WORD_1 src1_sel:DWORD
	s_mov_b32 s72, 0
	s_mov_b32 s16, exec_lo
	v_cmpx_lt_i16_e32 0x7f, v7
	s_xor_b32 s16, exec_lo, s16
	s_cbranch_execz .LBB6_14883
; %bb.13454:                            ;   in Loop: Header=BB6_12577 Depth=3
	s_mov_b32 s72, -1
	s_mov_b32 s73, exec_lo
	v_cmpx_eq_u16_e32 0x80, v7
; %bb.13455:                            ;   in Loop: Header=BB6_12577 Depth=3
	s_xor_b32 s72, exec_lo, -1
; %bb.13456:                            ;   in Loop: Header=BB6_12577 Depth=3
	s_or_b32 exec_lo, exec_lo, s73
	s_and_b32 s72, s72, exec_lo
                                        ; implicit-def: $vgpr7
	s_or_saveexec_b32 s16, s16
	v_mov_b32_e32 v6, 0x7f800001
	s_xor_b32 exec_lo, exec_lo, s16
	s_cbranch_execnz .LBB6_14884
.LBB6_13457:                            ;   in Loop: Header=BB6_12577 Depth=3
	s_or_b32 exec_lo, exec_lo, s16
	s_and_saveexec_b32 s16, s72
	s_cbranch_execz .LBB6_13459
.LBB6_13458:                            ;   in Loop: Header=BB6_12577 Depth=3
	v_bfe_u32 v6, v11, 16, 2
	v_bfe_u32 v7, v11, 18, 5
	v_ffbh_u32_e32 v8, v6
	v_cmp_eq_u32_e32 vcc_lo, 0, v7
	v_min_u32_e32 v8, 32, v8
	v_subrev_nc_u32_e32 v9, 29, v8
	v_sub_nc_u32_e32 v8, 30, v8
	v_lshlrev_b32_sdwa v9, v9, v11 dst_sel:DWORD dst_unused:UNUSED_PAD src0_sel:DWORD src1_sel:WORD_1
	v_cndmask_b32_e32 v7, v7, v8, vcc_lo
	v_lshlrev_b32_e32 v8, 8, v11
	v_and_b32_e32 v9, 3, v9
	v_lshl_add_u32 v7, v7, 23, 0x37800000
	v_and_b32_e32 v8, 0x80000000, v8
	v_cndmask_b32_e32 v6, v6, v9, vcc_lo
	v_lshlrev_b32_e32 v6, 21, v6
	v_or3_b32 v6, v8, v7, v6
.LBB6_13459:                            ;   in Loop: Header=BB6_12577 Depth=3
	s_or_b32 exec_lo, exec_lo, s16
	v_mul_f32_e32 v6, s23, v6
	v_mov_b32_e32 v24, 0x80
	s_mov_b32 s72, exec_lo
	v_and_b32_e32 v7, 0x7f800000, v6
	v_cmpx_ne_u32_e32 0x7f800000, v7
	s_cbranch_execz .LBB6_13467
; %bb.13460:                            ;   in Loop: Header=BB6_12577 Depth=3
	v_mov_b32_e32 v24, 0
	s_mov_b32 s73, exec_lo
	v_cmpx_ne_u32_e32 0, v6
	s_cbranch_execz .LBB6_13466
; %bb.13461:                            ;   in Loop: Header=BB6_12577 Depth=3
	v_bfe_u32 v8, v6, 23, 8
	v_and_b32_e32 v7, 0x7fffff, v6
	v_cmp_gt_u32_e64 s16, 0x71, v8
	v_sub_nc_u32_e32 v9, 0x70, v8
	v_cmp_eq_u32_e32 vcc_lo, 0, v8
	v_or_b32_e32 v10, 0x800000, v7
	v_cndmask_b32_e64 v9, 0, v9, s16
	v_cndmask_b32_e32 v7, v10, v7, vcc_lo
	v_cndmask_b32_e64 v9, v9, 0x6f, vcc_lo
	v_lshl_add_u32 v10, 0x200000, v9, -1
	v_lshlrev_b32_e64 v14, v9, 0x100000
	v_and_b32_e32 v10, v10, v7
	v_cmp_eq_u32_e64 s16, v10, v14
	v_lshrrev_b32_e32 v10, v9, v7
	v_add_nc_u32_e32 v7, 0xffffff91, v8
	v_lshrrev_b32_e32 v8, 23, v10
	v_cndmask_b32_e64 v7, v7, 0xffffff92, vcc_lo
	v_xor_b32_e32 v8, 1, v8
	v_add_nc_u32_e32 v7, v9, v7
	v_bfe_u32 v9, v10, 21, 1
	v_add_nc_u32_e32 v9, -1, v9
	v_cndmask_b32_e64 v9, 0, v9, s16
	s_mov_b32 s16, exec_lo
	v_add_nc_u32_e32 v9, v9, v10
	v_and_b32_e32 v9, 0x1fffff, v9
	v_add_nc_u32_e32 v9, v9, v10
                                        ; implicit-def: $vgpr10
	v_cmpx_ne_u32_e64 v7, v8
	s_xor_b32 s16, exec_lo, s16
; %bb.13462:                            ;   in Loop: Header=BB6_12577 Depth=3
	v_cmp_lt_u32_e32 vcc_lo, 0xffffff, v9
	v_sub_nc_u32_e32 v7, v7, v8
	v_cndmask_b32_e64 v8, 0, 1, vcc_lo
	v_add_co_ci_u32_e64 v10, null, 0, v7, vcc_lo
	v_lshrrev_b32_e32 v9, v8, v9
; %bb.13463:                            ;   in Loop: Header=BB6_12577 Depth=3
	s_andn2_saveexec_b32 s16, s16
; %bb.13464:                            ;   in Loop: Header=BB6_12577 Depth=3
	v_bfe_u32 v10, v9, 23, 1
; %bb.13465:                            ;   in Loop: Header=BB6_12577 Depth=3
	s_or_b32 exec_lo, exec_lo, s16
	v_lshrrev_b32_e32 v7, 21, v9
	v_min_i32_e32 v8, 31, v10
	v_cmp_gt_i32_e32 vcc_lo, 32, v10
	v_and_b32_sdwa v6, v6, v117 dst_sel:DWORD dst_unused:UNUSED_PAD src0_sel:BYTE_3 src1_sel:DWORD
	v_lshlrev_b32_e32 v8, 2, v8
	v_cndmask_b32_e32 v7, 3, v7, vcc_lo
	v_and_b32_e32 v8, 0xfc, v8
	v_or_b32_e32 v9, v10, v7
	v_and_b32_e32 v7, 3, v7
	v_cmp_ne_u32_e32 vcc_lo, 0, v9
	v_or3_b32 v6, v8, v6, v7
	v_cndmask_b32_e32 v24, 0, v6, vcc_lo
.LBB6_13466:                            ;   in Loop: Header=BB6_12577 Depth=3
	s_or_b32 exec_lo, exec_lo, s73
.LBB6_13467:                            ;   in Loop: Header=BB6_12577 Depth=3
	s_or_b32 exec_lo, exec_lo, s72
	v_cmp_gt_i16_sdwa s72, v11, v116 src0_sel:BYTE_3 src1_sel:DWORD
	s_mov_b32 s16, 0
	s_and_saveexec_b32 s73, s72
	s_xor_b32 s72, exec_lo, s73
	s_cbranch_execz .LBB6_14885
; %bb.13468:                            ;   in Loop: Header=BB6_12577 Depth=3
	v_cmp_eq_u16_sdwa s74, v11, v117 src0_sel:BYTE_3 src1_sel:DWORD
	s_mov_b32 s16, -1
	s_and_saveexec_b32 s73, s74
; %bb.13469:                            ;   in Loop: Header=BB6_12577 Depth=3
	s_xor_b32 s16, exec_lo, -1
; %bb.13470:                            ;   in Loop: Header=BB6_12577 Depth=3
	s_or_b32 exec_lo, exec_lo, s73
	s_and_b32 s16, s16, exec_lo
	s_or_saveexec_b32 s72, s72
	v_mov_b32_e32 v6, 0x7f800001
	s_xor_b32 exec_lo, exec_lo, s72
	s_cbranch_execnz .LBB6_14886
.LBB6_13471:                            ;   in Loop: Header=BB6_12577 Depth=3
	s_or_b32 exec_lo, exec_lo, s72
	s_and_saveexec_b32 s72, s16
	s_cbranch_execz .LBB6_13473
.LBB6_13472:                            ;   in Loop: Header=BB6_12577 Depth=3
	v_bfe_u32 v6, v11, 24, 2
	v_bfe_u32 v9, v11, 26, 5
	v_ffbh_u32_e32 v7, v6
	v_cmp_eq_u32_e32 vcc_lo, 0, v9
	v_min_u32_e32 v7, 32, v7
	v_subrev_nc_u32_e32 v8, 29, v7
	v_sub_nc_u32_e32 v7, 30, v7
	v_lshlrev_b32_sdwa v8, v8, v11 dst_sel:DWORD dst_unused:UNUSED_PAD src0_sel:DWORD src1_sel:BYTE_3
	v_cndmask_b32_e32 v7, v9, v7, vcc_lo
	v_and_b32_e32 v8, 3, v8
	v_lshl_add_u32 v7, v7, 23, 0x37800000
	v_cndmask_b32_e32 v6, v6, v8, vcc_lo
	v_and_b32_e32 v8, 0x80000000, v11
	v_lshlrev_b32_e32 v6, 21, v6
	v_or3_b32 v6, v8, v7, v6
.LBB6_13473:                            ;   in Loop: Header=BB6_12577 Depth=3
	s_or_b32 exec_lo, exec_lo, s72
	v_mul_f32_e32 v6, s23, v6
	v_mov_b32_e32 v28, 0x8000
	s_mov_b32 s23, exec_lo
	v_and_b32_e32 v7, 0x7f800000, v6
	v_cmpx_ne_u32_e32 0x7f800000, v7
	s_cbranch_execz .LBB6_13481
; %bb.13474:                            ;   in Loop: Header=BB6_12577 Depth=3
	v_mov_b32_e32 v28, 0
	s_mov_b32 s72, exec_lo
	v_cmpx_ne_u32_e32 0, v6
	s_cbranch_execz .LBB6_13480
; %bb.13475:                            ;   in Loop: Header=BB6_12577 Depth=3
	v_bfe_u32 v8, v6, 23, 8
	v_and_b32_e32 v7, 0x7fffff, v6
	v_cmp_gt_u32_e64 s16, 0x71, v8
	v_sub_nc_u32_e32 v9, 0x70, v8
	v_cmp_eq_u32_e32 vcc_lo, 0, v8
	v_or_b32_e32 v10, 0x800000, v7
	v_cndmask_b32_e64 v9, 0, v9, s16
	v_cndmask_b32_e32 v7, v10, v7, vcc_lo
	v_cndmask_b32_e64 v9, v9, 0x6f, vcc_lo
	v_lshl_add_u32 v10, 0x200000, v9, -1
	v_lshlrev_b32_e64 v11, v9, 0x100000
	v_and_b32_e32 v10, v10, v7
	v_cmp_eq_u32_e64 s16, v10, v11
	v_lshrrev_b32_e32 v10, v9, v7
	v_add_nc_u32_e32 v7, 0xffffff91, v8
	v_lshrrev_b32_e32 v8, 23, v10
	v_cndmask_b32_e64 v7, v7, 0xffffff92, vcc_lo
	v_xor_b32_e32 v8, 1, v8
	v_add_nc_u32_e32 v7, v9, v7
	v_bfe_u32 v9, v10, 21, 1
	v_add_nc_u32_e32 v9, -1, v9
	v_cndmask_b32_e64 v9, 0, v9, s16
	s_mov_b32 s16, exec_lo
	v_add_nc_u32_e32 v9, v9, v10
	v_and_b32_e32 v9, 0x1fffff, v9
	v_add_nc_u32_e32 v9, v9, v10
                                        ; implicit-def: $vgpr10
	v_cmpx_ne_u32_e64 v7, v8
	s_xor_b32 s16, exec_lo, s16
; %bb.13476:                            ;   in Loop: Header=BB6_12577 Depth=3
	v_cmp_lt_u32_e32 vcc_lo, 0xffffff, v9
	v_sub_nc_u32_e32 v7, v7, v8
	v_cndmask_b32_e64 v8, 0, 1, vcc_lo
	v_add_co_ci_u32_e64 v10, null, 0, v7, vcc_lo
	v_lshrrev_b32_e32 v9, v8, v9
; %bb.13477:                            ;   in Loop: Header=BB6_12577 Depth=3
	s_andn2_saveexec_b32 s16, s16
; %bb.13478:                            ;   in Loop: Header=BB6_12577 Depth=3
	v_bfe_u32 v10, v9, 23, 1
; %bb.13479:                            ;   in Loop: Header=BB6_12577 Depth=3
	s_or_b32 exec_lo, exec_lo, s16
	v_lshrrev_b32_e32 v7, 21, v9
	v_min_i32_e32 v8, 31, v10
	v_cmp_gt_i32_e32 vcc_lo, 32, v10
	v_and_b32_sdwa v6, v6, v117 dst_sel:DWORD dst_unused:UNUSED_PAD src0_sel:BYTE_3 src1_sel:DWORD
	v_lshlrev_b32_e32 v8, 2, v8
	v_cndmask_b32_e32 v7, 3, v7, vcc_lo
	v_and_b32_e32 v8, 0xfc, v8
	v_or_b32_e32 v9, v10, v7
	v_and_b32_e32 v7, 3, v7
	v_cmp_ne_u32_e32 vcc_lo, 0, v9
	v_or3_b32 v6, v6, v8, v7
	v_lshlrev_b32_e32 v6, 8, v6
	v_cndmask_b32_e32 v28, 0, v6, vcc_lo
.LBB6_13480:                            ;   in Loop: Header=BB6_12577 Depth=3
	s_or_b32 exec_lo, exec_lo, s72
.LBB6_13481:                            ;   in Loop: Header=BB6_12577 Depth=3
	s_or_b32 exec_lo, exec_lo, s23
	v_or_b32_e32 v6, v13, v12
	s_clause 0x3
	global_load_dwordx4 v[20:23], v[86:87], off slc
	global_load_dwordx4 v[16:19], v[86:87], off offset:512 slc
	global_load_dwordx4 v[12:15], v[86:87], off offset:1024 slc
	;; [unrolled: 1-line block ×3, first 2 shown]
	s_mov_b32 s23, 0
	v_cmp_gt_i16_sdwa s16, v6, v116 src0_sel:BYTE_0 src1_sel:DWORD
	s_and_saveexec_b32 s72, s16
	s_xor_b32 s16, exec_lo, s72
	s_cbranch_execz .LBB6_14887
; %bb.13482:                            ;   in Loop: Header=BB6_12577 Depth=3
	v_cmp_eq_u16_sdwa s73, v6, v117 src0_sel:BYTE_0 src1_sel:DWORD
	s_mov_b32 s23, -1
	s_and_saveexec_b32 s72, s73
; %bb.13483:                            ;   in Loop: Header=BB6_12577 Depth=3
	s_xor_b32 s23, exec_lo, -1
; %bb.13484:                            ;   in Loop: Header=BB6_12577 Depth=3
	s_or_b32 exec_lo, exec_lo, s72
	s_and_b32 s23, s23, exec_lo
	s_or_saveexec_b32 s16, s16
	v_mov_b32_e32 v7, 0x7f800001
	s_xor_b32 exec_lo, exec_lo, s16
	s_cbranch_execnz .LBB6_14888
.LBB6_13485:                            ;   in Loop: Header=BB6_12577 Depth=3
	s_or_b32 exec_lo, exec_lo, s16
	s_and_saveexec_b32 s16, s23
	s_cbranch_execz .LBB6_13487
.LBB6_13486:                            ;   in Loop: Header=BB6_12577 Depth=3
	v_and_b32_e32 v7, 3, v6
	v_bfe_u32 v26, v6, 2, 5
	v_ffbh_u32_e32 v27, v7
	v_cmp_eq_u32_e32 vcc_lo, 0, v26
	v_min_u32_e32 v27, 32, v27
	v_subrev_nc_u32_e32 v36, 29, v27
	v_sub_nc_u32_e32 v27, 30, v27
	v_lshlrev_b32_e32 v36, v36, v6
	v_cndmask_b32_e32 v26, v26, v27, vcc_lo
	v_lshlrev_b32_e32 v27, 24, v6
	v_and_b32_e32 v36, 3, v36
	v_lshl_add_u32 v26, v26, 23, 0x37800000
	v_and_b32_e32 v27, 0x80000000, v27
	v_cndmask_b32_e32 v7, v7, v36, vcc_lo
	v_lshlrev_b32_e32 v7, 21, v7
	v_or3_b32 v7, v27, v26, v7
.LBB6_13487:                            ;   in Loop: Header=BB6_12577 Depth=3
	s_or_b32 exec_lo, exec_lo, s16
	s_waitcnt vmcnt(3)
	v_cmp_gt_i16_sdwa s16, v20, v116 src0_sel:BYTE_0 src1_sel:DWORD
	s_mov_b32 s23, 0
	s_and_saveexec_b32 s72, s16
	s_xor_b32 s16, exec_lo, s72
	s_cbranch_execz .LBB6_14889
; %bb.13488:                            ;   in Loop: Header=BB6_12577 Depth=3
	v_cmp_eq_u16_sdwa s73, v20, v117 src0_sel:BYTE_0 src1_sel:DWORD
	s_mov_b32 s23, -1
	s_and_saveexec_b32 s72, s73
; %bb.13489:                            ;   in Loop: Header=BB6_12577 Depth=3
	s_xor_b32 s23, exec_lo, -1
; %bb.13490:                            ;   in Loop: Header=BB6_12577 Depth=3
	s_or_b32 exec_lo, exec_lo, s72
	s_and_b32 s23, s23, exec_lo
	s_or_saveexec_b32 s16, s16
	v_mov_b32_e32 v26, 0x7f800001
	s_xor_b32 exec_lo, exec_lo, s16
	s_cbranch_execnz .LBB6_14890
.LBB6_13491:                            ;   in Loop: Header=BB6_12577 Depth=3
	s_or_b32 exec_lo, exec_lo, s16
	s_and_saveexec_b32 s16, s23
	s_cbranch_execz .LBB6_13493
.LBB6_13492:                            ;   in Loop: Header=BB6_12577 Depth=3
	v_and_b32_e32 v26, 3, v20
	v_bfe_u32 v27, v20, 2, 5
	v_ffbh_u32_e32 v36, v26
	v_cmp_eq_u32_e32 vcc_lo, 0, v27
	v_min_u32_e32 v36, 32, v36
	v_subrev_nc_u32_e32 v37, 29, v36
	v_sub_nc_u32_e32 v36, 30, v36
	v_lshlrev_b32_e32 v37, v37, v20
	v_cndmask_b32_e32 v27, v27, v36, vcc_lo
	v_lshlrev_b32_e32 v36, 24, v20
	v_and_b32_e32 v37, 3, v37
	v_lshl_add_u32 v27, v27, 23, 0x37800000
	v_and_b32_e32 v36, 0x80000000, v36
	v_cndmask_b32_e32 v26, v26, v37, vcc_lo
	v_lshlrev_b32_e32 v26, 21, v26
	v_or3_b32 v26, v36, v27, v26
.LBB6_13493:                            ;   in Loop: Header=BB6_12577 Depth=3
	s_or_b32 exec_lo, exec_lo, s16
	v_add_f32_e32 v7, v7, v26
	v_and_b32_e32 v26, 0x7f800000, v7
	v_cmp_ne_u32_e32 vcc_lo, 0x7f800000, v26
	v_mov_b32_e32 v26, 0x80
	s_and_saveexec_b32 s23, vcc_lo
	s_cbranch_execz .LBB6_13501
; %bb.13494:                            ;   in Loop: Header=BB6_12577 Depth=3
	v_mov_b32_e32 v26, 0
	s_mov_b32 s72, exec_lo
	v_cmpx_ne_u32_e32 0, v7
	s_cbranch_execz .LBB6_13500
; %bb.13495:                            ;   in Loop: Header=BB6_12577 Depth=3
	v_bfe_u32 v27, v7, 23, 8
	v_and_b32_e32 v26, 0x7fffff, v7
	v_cmp_gt_u32_e64 s16, 0x71, v27
	v_sub_nc_u32_e32 v36, 0x70, v27
	v_cmp_eq_u32_e32 vcc_lo, 0, v27
	v_or_b32_e32 v37, 0x800000, v26
	v_cndmask_b32_e64 v36, 0, v36, s16
	v_cndmask_b32_e32 v26, v37, v26, vcc_lo
	v_cndmask_b32_e64 v36, v36, 0x6f, vcc_lo
	v_lshl_add_u32 v37, 0x200000, v36, -1
	v_lshlrev_b32_e64 v101, v36, 0x100000
	v_and_b32_e32 v37, v37, v26
	v_cmp_eq_u32_e64 s16, v37, v101
	v_lshrrev_b32_e32 v37, v36, v26
	v_add_nc_u32_e32 v26, 0xffffff91, v27
	v_lshrrev_b32_e32 v27, 23, v37
	v_cndmask_b32_e64 v26, v26, 0xffffff92, vcc_lo
	v_xor_b32_e32 v27, 1, v27
	v_add_nc_u32_e32 v26, v36, v26
	v_bfe_u32 v36, v37, 21, 1
	v_add_nc_u32_e32 v36, -1, v36
	v_cndmask_b32_e64 v36, 0, v36, s16
	s_mov_b32 s16, exec_lo
	v_add_nc_u32_e32 v36, v36, v37
	v_and_b32_e32 v36, 0x1fffff, v36
	v_add_nc_u32_e32 v36, v36, v37
                                        ; implicit-def: $vgpr37
	v_cmpx_ne_u32_e64 v26, v27
	s_xor_b32 s16, exec_lo, s16
; %bb.13496:                            ;   in Loop: Header=BB6_12577 Depth=3
	v_cmp_lt_u32_e32 vcc_lo, 0xffffff, v36
	v_sub_nc_u32_e32 v26, v26, v27
	v_cndmask_b32_e64 v27, 0, 1, vcc_lo
	v_add_co_ci_u32_e64 v37, null, 0, v26, vcc_lo
	v_lshrrev_b32_e32 v36, v27, v36
; %bb.13497:                            ;   in Loop: Header=BB6_12577 Depth=3
	s_andn2_saveexec_b32 s16, s16
; %bb.13498:                            ;   in Loop: Header=BB6_12577 Depth=3
	v_bfe_u32 v37, v36, 23, 1
; %bb.13499:                            ;   in Loop: Header=BB6_12577 Depth=3
	s_or_b32 exec_lo, exec_lo, s16
	v_lshrrev_b32_e32 v26, 21, v36
	v_min_i32_e32 v27, 31, v37
	v_cmp_gt_i32_e32 vcc_lo, 32, v37
	v_and_b32_sdwa v7, v7, v117 dst_sel:DWORD dst_unused:UNUSED_PAD src0_sel:BYTE_3 src1_sel:DWORD
	v_lshlrev_b32_e32 v27, 2, v27
	v_cndmask_b32_e32 v26, 3, v26, vcc_lo
	v_and_b32_e32 v27, 0xfc, v27
	v_or_b32_e32 v36, v37, v26
	v_and_b32_e32 v26, 3, v26
	v_cmp_ne_u32_e32 vcc_lo, 0, v36
	v_or3_b32 v7, v27, v7, v26
	v_cndmask_b32_e32 v26, 0, v7, vcc_lo
.LBB6_13500:                            ;   in Loop: Header=BB6_12577 Depth=3
	s_or_b32 exec_lo, exec_lo, s72
.LBB6_13501:                            ;   in Loop: Header=BB6_12577 Depth=3
	s_or_b32 exec_lo, exec_lo, s23
	v_cmp_gt_i16_sdwa s16, v6, v116 src0_sel:BYTE_1 src1_sel:DWORD
	s_mov_b32 s23, 0
	s_and_saveexec_b32 s72, s16
	s_xor_b32 s16, exec_lo, s72
	s_cbranch_execz .LBB6_14891
; %bb.13502:                            ;   in Loop: Header=BB6_12577 Depth=3
	v_cmp_eq_u16_sdwa s73, v6, v117 src0_sel:BYTE_1 src1_sel:DWORD
	s_mov_b32 s23, -1
	s_and_saveexec_b32 s72, s73
; %bb.13503:                            ;   in Loop: Header=BB6_12577 Depth=3
	s_xor_b32 s23, exec_lo, -1
; %bb.13504:                            ;   in Loop: Header=BB6_12577 Depth=3
	s_or_b32 exec_lo, exec_lo, s72
	s_and_b32 s23, s23, exec_lo
	s_or_saveexec_b32 s16, s16
	v_mov_b32_e32 v7, 0x7f800001
	s_xor_b32 exec_lo, exec_lo, s16
	s_cbranch_execnz .LBB6_14892
.LBB6_13505:                            ;   in Loop: Header=BB6_12577 Depth=3
	s_or_b32 exec_lo, exec_lo, s16
	s_and_saveexec_b32 s16, s23
	s_cbranch_execz .LBB6_13507
.LBB6_13506:                            ;   in Loop: Header=BB6_12577 Depth=3
	v_and_b32_sdwa v7, v118, v6 dst_sel:DWORD dst_unused:UNUSED_PAD src0_sel:DWORD src1_sel:BYTE_1
	v_and_b32_e32 v27, 3, v7
	v_bfe_u32 v101, v7, 2, 5
	v_ffbh_u32_e32 v36, v27
	v_cmp_eq_u32_e32 vcc_lo, 0, v101
	v_min_u32_e32 v36, 32, v36
	v_subrev_nc_u32_e32 v37, 29, v36
	v_sub_nc_u32_e32 v36, 30, v36
	v_lshlrev_b32_e32 v7, v37, v7
	v_lshlrev_b32_sdwa v37, v119, v6 dst_sel:DWORD dst_unused:UNUSED_PAD src0_sel:DWORD src1_sel:BYTE_1
	v_cndmask_b32_e32 v36, v101, v36, vcc_lo
	v_and_b32_e32 v7, 3, v7
	v_lshl_add_u32 v36, v36, 23, 0x37800000
	v_cndmask_b32_e32 v7, v27, v7, vcc_lo
	v_and_b32_e32 v27, 0x80000000, v37
	v_lshlrev_b32_e32 v7, 21, v7
	v_or3_b32 v7, v27, v36, v7
.LBB6_13507:                            ;   in Loop: Header=BB6_12577 Depth=3
	s_or_b32 exec_lo, exec_lo, s16
	v_cmp_gt_i16_sdwa s16, v20, v116 src0_sel:BYTE_1 src1_sel:DWORD
	s_mov_b32 s23, 0
	s_and_saveexec_b32 s72, s16
	s_xor_b32 s16, exec_lo, s72
	s_cbranch_execz .LBB6_14893
; %bb.13508:                            ;   in Loop: Header=BB6_12577 Depth=3
	v_cmp_eq_u16_sdwa s73, v20, v117 src0_sel:BYTE_1 src1_sel:DWORD
	s_mov_b32 s23, -1
	s_and_saveexec_b32 s72, s73
; %bb.13509:                            ;   in Loop: Header=BB6_12577 Depth=3
	s_xor_b32 s23, exec_lo, -1
; %bb.13510:                            ;   in Loop: Header=BB6_12577 Depth=3
	s_or_b32 exec_lo, exec_lo, s72
	s_and_b32 s23, s23, exec_lo
	s_or_saveexec_b32 s16, s16
	v_mov_b32_e32 v27, 0x7f800001
	s_xor_b32 exec_lo, exec_lo, s16
	s_cbranch_execnz .LBB6_14894
.LBB6_13511:                            ;   in Loop: Header=BB6_12577 Depth=3
	s_or_b32 exec_lo, exec_lo, s16
	s_and_saveexec_b32 s16, s23
	s_cbranch_execz .LBB6_13513
.LBB6_13512:                            ;   in Loop: Header=BB6_12577 Depth=3
	v_and_b32_sdwa v27, v118, v20 dst_sel:DWORD dst_unused:UNUSED_PAD src0_sel:DWORD src1_sel:BYTE_1
	v_and_b32_e32 v36, 3, v27
	v_bfe_u32 v42, v27, 2, 5
	v_ffbh_u32_e32 v37, v36
	v_cmp_eq_u32_e32 vcc_lo, 0, v42
	v_min_u32_e32 v37, 32, v37
	v_subrev_nc_u32_e32 v101, 29, v37
	v_sub_nc_u32_e32 v37, 30, v37
	v_lshlrev_b32_e32 v27, v101, v27
	v_lshlrev_b32_sdwa v101, v119, v20 dst_sel:DWORD dst_unused:UNUSED_PAD src0_sel:DWORD src1_sel:BYTE_1
	v_cndmask_b32_e32 v37, v42, v37, vcc_lo
	v_and_b32_e32 v27, 3, v27
	v_lshl_add_u32 v37, v37, 23, 0x37800000
	v_cndmask_b32_e32 v27, v36, v27, vcc_lo
	v_and_b32_e32 v36, 0x80000000, v101
	v_lshlrev_b32_e32 v27, 21, v27
	v_or3_b32 v27, v36, v37, v27
.LBB6_13513:                            ;   in Loop: Header=BB6_12577 Depth=3
	s_or_b32 exec_lo, exec_lo, s16
	v_add_f32_e32 v7, v7, v27
	v_and_b32_e32 v27, 0x7f800000, v7
	v_cmp_ne_u32_e32 vcc_lo, 0x7f800000, v27
	v_mov_b32_e32 v27, 0x8000
	s_and_saveexec_b32 s23, vcc_lo
	s_cbranch_execz .LBB6_13521
; %bb.13514:                            ;   in Loop: Header=BB6_12577 Depth=3
	v_mov_b32_e32 v27, 0
	s_mov_b32 s72, exec_lo
	v_cmpx_ne_u32_e32 0, v7
	s_cbranch_execz .LBB6_13520
; %bb.13515:                            ;   in Loop: Header=BB6_12577 Depth=3
	v_bfe_u32 v36, v7, 23, 8
	v_and_b32_e32 v27, 0x7fffff, v7
	v_cmp_gt_u32_e64 s16, 0x71, v36
	v_sub_nc_u32_e32 v37, 0x70, v36
	v_cmp_eq_u32_e32 vcc_lo, 0, v36
	v_or_b32_e32 v101, 0x800000, v27
	v_cndmask_b32_e64 v37, 0, v37, s16
	v_cndmask_b32_e32 v27, v101, v27, vcc_lo
	v_cndmask_b32_e64 v37, v37, 0x6f, vcc_lo
	v_lshl_add_u32 v101, 0x200000, v37, -1
	v_lshlrev_b32_e64 v42, v37, 0x100000
	v_and_b32_e32 v101, v101, v27
	v_cmp_eq_u32_e64 s16, v101, v42
	v_lshrrev_b32_e32 v101, v37, v27
	v_add_nc_u32_e32 v27, 0xffffff91, v36
	v_lshrrev_b32_e32 v36, 23, v101
	v_cndmask_b32_e64 v27, v27, 0xffffff92, vcc_lo
	v_xor_b32_e32 v36, 1, v36
	v_add_nc_u32_e32 v27, v37, v27
	v_bfe_u32 v37, v101, 21, 1
	v_add_nc_u32_e32 v37, -1, v37
	v_cndmask_b32_e64 v37, 0, v37, s16
	s_mov_b32 s16, exec_lo
	v_add_nc_u32_e32 v37, v37, v101
	v_and_b32_e32 v37, 0x1fffff, v37
	v_add_nc_u32_e32 v37, v37, v101
                                        ; implicit-def: $vgpr101
	v_cmpx_ne_u32_e64 v27, v36
	s_xor_b32 s16, exec_lo, s16
; %bb.13516:                            ;   in Loop: Header=BB6_12577 Depth=3
	v_cmp_lt_u32_e32 vcc_lo, 0xffffff, v37
	v_sub_nc_u32_e32 v27, v27, v36
	v_cndmask_b32_e64 v36, 0, 1, vcc_lo
	v_add_co_ci_u32_e64 v101, null, 0, v27, vcc_lo
	v_lshrrev_b32_e32 v37, v36, v37
; %bb.13517:                            ;   in Loop: Header=BB6_12577 Depth=3
	s_andn2_saveexec_b32 s16, s16
; %bb.13518:                            ;   in Loop: Header=BB6_12577 Depth=3
	v_bfe_u32 v101, v37, 23, 1
; %bb.13519:                            ;   in Loop: Header=BB6_12577 Depth=3
	s_or_b32 exec_lo, exec_lo, s16
	v_lshrrev_b32_e32 v27, 21, v37
	v_min_i32_e32 v36, 31, v101
	v_cmp_gt_i32_e32 vcc_lo, 32, v101
	v_and_b32_sdwa v7, v7, v117 dst_sel:DWORD dst_unused:UNUSED_PAD src0_sel:BYTE_3 src1_sel:DWORD
	v_lshlrev_b32_e32 v36, 2, v36
	v_cndmask_b32_e32 v27, 3, v27, vcc_lo
	v_and_b32_e32 v36, 0xfc, v36
	v_or_b32_e32 v37, v101, v27
	v_and_b32_e32 v27, 3, v27
	v_cmp_ne_u32_e32 vcc_lo, 0, v37
	v_or3_b32 v7, v7, v36, v27
	v_lshlrev_b32_e32 v7, 8, v7
	v_cndmask_b32_e32 v27, 0, v7, vcc_lo
.LBB6_13520:                            ;   in Loop: Header=BB6_12577 Depth=3
	s_or_b32 exec_lo, exec_lo, s72
.LBB6_13521:                            ;   in Loop: Header=BB6_12577 Depth=3
	s_or_b32 exec_lo, exec_lo, s23
	v_or_b32_e32 v36, v94, v53
	s_mov_b32 s23, 0
	v_cmp_gt_i16_sdwa s16, v36, v116 src0_sel:BYTE_0 src1_sel:DWORD
	s_and_saveexec_b32 s72, s16
	s_xor_b32 s16, exec_lo, s72
	s_cbranch_execz .LBB6_14895
; %bb.13522:                            ;   in Loop: Header=BB6_12577 Depth=3
	v_cmp_eq_u16_sdwa s73, v36, v117 src0_sel:BYTE_0 src1_sel:DWORD
	s_mov_b32 s23, -1
	s_and_saveexec_b32 s72, s73
; %bb.13523:                            ;   in Loop: Header=BB6_12577 Depth=3
	s_xor_b32 s23, exec_lo, -1
; %bb.13524:                            ;   in Loop: Header=BB6_12577 Depth=3
	s_or_b32 exec_lo, exec_lo, s72
	s_and_b32 s23, s23, exec_lo
	s_or_saveexec_b32 s16, s16
	v_mov_b32_e32 v7, 0x7f800001
	s_xor_b32 exec_lo, exec_lo, s16
	s_cbranch_execnz .LBB6_14896
.LBB6_13525:                            ;   in Loop: Header=BB6_12577 Depth=3
	s_or_b32 exec_lo, exec_lo, s16
	v_lshl_or_b32 v6, v36, 16, v6
	s_and_saveexec_b32 s16, s23
	s_cbranch_execz .LBB6_13527
.LBB6_13526:                            ;   in Loop: Header=BB6_12577 Depth=3
	v_bfe_u32 v7, v6, 16, 2
	v_bfe_u32 v36, v6, 18, 5
	v_ffbh_u32_e32 v37, v7
	v_cmp_eq_u32_e32 vcc_lo, 0, v36
	v_min_u32_e32 v37, 32, v37
	v_subrev_nc_u32_e32 v53, 29, v37
	v_sub_nc_u32_e32 v37, 30, v37
	v_lshlrev_b32_sdwa v53, v53, v6 dst_sel:DWORD dst_unused:UNUSED_PAD src0_sel:DWORD src1_sel:WORD_1
	v_cndmask_b32_e32 v36, v36, v37, vcc_lo
	v_lshlrev_b32_e32 v37, 8, v6
	v_and_b32_e32 v53, 3, v53
	v_lshl_add_u32 v36, v36, 23, 0x37800000
	v_and_b32_e32 v37, 0x80000000, v37
	v_cndmask_b32_e32 v7, v7, v53, vcc_lo
	v_lshlrev_b32_e32 v7, 21, v7
	v_or3_b32 v7, v37, v36, v7
.LBB6_13527:                            ;   in Loop: Header=BB6_12577 Depth=3
	s_or_b32 exec_lo, exec_lo, s16
	v_and_b32_sdwa v37, v20, v40 dst_sel:DWORD dst_unused:UNUSED_PAD src0_sel:WORD_1 src1_sel:DWORD
	s_mov_b32 s23, 0
	s_mov_b32 s16, exec_lo
	v_cmpx_lt_i16_e32 0x7f, v37
	s_xor_b32 s16, exec_lo, s16
	s_cbranch_execz .LBB6_14897
; %bb.13528:                            ;   in Loop: Header=BB6_12577 Depth=3
	s_mov_b32 s23, -1
	s_mov_b32 s72, exec_lo
	v_cmpx_eq_u16_e32 0x80, v37
; %bb.13529:                            ;   in Loop: Header=BB6_12577 Depth=3
	s_xor_b32 s23, exec_lo, -1
; %bb.13530:                            ;   in Loop: Header=BB6_12577 Depth=3
	s_or_b32 exec_lo, exec_lo, s72
	s_and_b32 s23, s23, exec_lo
                                        ; implicit-def: $vgpr37
	s_or_saveexec_b32 s16, s16
	v_mov_b32_e32 v36, 0x7f800001
	s_xor_b32 exec_lo, exec_lo, s16
	s_cbranch_execnz .LBB6_14898
.LBB6_13531:                            ;   in Loop: Header=BB6_12577 Depth=3
	s_or_b32 exec_lo, exec_lo, s16
	s_and_saveexec_b32 s16, s23
	s_cbranch_execz .LBB6_13533
.LBB6_13532:                            ;   in Loop: Header=BB6_12577 Depth=3
	v_bfe_u32 v36, v20, 16, 2
	v_bfe_u32 v37, v20, 18, 5
	v_ffbh_u32_e32 v53, v36
	v_cmp_eq_u32_e32 vcc_lo, 0, v37
	v_min_u32_e32 v53, 32, v53
	v_subrev_nc_u32_e32 v101, 29, v53
	v_sub_nc_u32_e32 v53, 30, v53
	v_lshlrev_b32_sdwa v101, v101, v20 dst_sel:DWORD dst_unused:UNUSED_PAD src0_sel:DWORD src1_sel:WORD_1
	v_cndmask_b32_e32 v37, v37, v53, vcc_lo
	v_lshlrev_b32_e32 v53, 8, v20
	v_and_b32_e32 v101, 3, v101
	v_lshl_add_u32 v37, v37, 23, 0x37800000
	v_and_b32_e32 v53, 0x80000000, v53
	v_cndmask_b32_e32 v36, v36, v101, vcc_lo
	v_lshlrev_b32_e32 v36, 21, v36
	v_or3_b32 v36, v53, v37, v36
.LBB6_13533:                            ;   in Loop: Header=BB6_12577 Depth=3
	s_or_b32 exec_lo, exec_lo, s16
	v_add_f32_e32 v7, v7, v36
	v_mov_b32_e32 v53, 0x80
	s_mov_b32 s23, exec_lo
	v_and_b32_e32 v36, 0x7f800000, v7
	v_cmpx_ne_u32_e32 0x7f800000, v36
	s_cbranch_execz .LBB6_13541
; %bb.13534:                            ;   in Loop: Header=BB6_12577 Depth=3
	v_mov_b32_e32 v53, 0
	s_mov_b32 s72, exec_lo
	v_cmpx_ne_u32_e32 0, v7
	s_cbranch_execz .LBB6_13540
; %bb.13535:                            ;   in Loop: Header=BB6_12577 Depth=3
	v_bfe_u32 v37, v7, 23, 8
	v_and_b32_e32 v36, 0x7fffff, v7
	v_cmp_gt_u32_e64 s16, 0x71, v37
	v_sub_nc_u32_e32 v53, 0x70, v37
	v_cmp_eq_u32_e32 vcc_lo, 0, v37
	v_or_b32_e32 v101, 0x800000, v36
	v_cndmask_b32_e64 v53, 0, v53, s16
	v_cndmask_b32_e32 v36, v101, v36, vcc_lo
	v_cndmask_b32_e64 v53, v53, 0x6f, vcc_lo
	v_lshl_add_u32 v101, 0x200000, v53, -1
	v_lshlrev_b32_e64 v42, v53, 0x100000
	v_and_b32_e32 v101, v101, v36
	v_cmp_eq_u32_e64 s16, v101, v42
	v_lshrrev_b32_e32 v101, v53, v36
	v_add_nc_u32_e32 v36, 0xffffff91, v37
	v_lshrrev_b32_e32 v37, 23, v101
	v_cndmask_b32_e64 v36, v36, 0xffffff92, vcc_lo
	v_xor_b32_e32 v37, 1, v37
	v_add_nc_u32_e32 v36, v53, v36
	v_bfe_u32 v53, v101, 21, 1
	v_add_nc_u32_e32 v53, -1, v53
	v_cndmask_b32_e64 v53, 0, v53, s16
	s_mov_b32 s16, exec_lo
	v_add_nc_u32_e32 v53, v53, v101
	v_and_b32_e32 v53, 0x1fffff, v53
	v_add_nc_u32_e32 v53, v53, v101
                                        ; implicit-def: $vgpr101
	v_cmpx_ne_u32_e64 v36, v37
	s_xor_b32 s16, exec_lo, s16
; %bb.13536:                            ;   in Loop: Header=BB6_12577 Depth=3
	v_cmp_lt_u32_e32 vcc_lo, 0xffffff, v53
	v_sub_nc_u32_e32 v36, v36, v37
	v_cndmask_b32_e64 v37, 0, 1, vcc_lo
	v_add_co_ci_u32_e64 v101, null, 0, v36, vcc_lo
	v_lshrrev_b32_e32 v53, v37, v53
; %bb.13537:                            ;   in Loop: Header=BB6_12577 Depth=3
	s_andn2_saveexec_b32 s16, s16
; %bb.13538:                            ;   in Loop: Header=BB6_12577 Depth=3
	v_bfe_u32 v101, v53, 23, 1
; %bb.13539:                            ;   in Loop: Header=BB6_12577 Depth=3
	s_or_b32 exec_lo, exec_lo, s16
	v_lshrrev_b32_e32 v36, 21, v53
	v_min_i32_e32 v37, 31, v101
	v_cmp_gt_i32_e32 vcc_lo, 32, v101
	v_and_b32_sdwa v7, v7, v117 dst_sel:DWORD dst_unused:UNUSED_PAD src0_sel:BYTE_3 src1_sel:DWORD
	v_lshlrev_b32_e32 v37, 2, v37
	v_cndmask_b32_e32 v36, 3, v36, vcc_lo
	v_and_b32_e32 v37, 0xfc, v37
	v_or_b32_e32 v53, v101, v36
	v_and_b32_e32 v36, 3, v36
	v_cmp_ne_u32_e32 vcc_lo, 0, v53
	v_or3_b32 v7, v37, v7, v36
	v_cndmask_b32_e32 v53, 0, v7, vcc_lo
.LBB6_13540:                            ;   in Loop: Header=BB6_12577 Depth=3
	s_or_b32 exec_lo, exec_lo, s72
.LBB6_13541:                            ;   in Loop: Header=BB6_12577 Depth=3
	s_or_b32 exec_lo, exec_lo, s23
	v_cmp_gt_i16_sdwa s16, v6, v116 src0_sel:BYTE_3 src1_sel:DWORD
	s_mov_b32 s23, 0
	s_and_saveexec_b32 s72, s16
	s_xor_b32 s16, exec_lo, s72
	s_cbranch_execz .LBB6_14899
; %bb.13542:                            ;   in Loop: Header=BB6_12577 Depth=3
	v_cmp_eq_u16_sdwa s73, v6, v117 src0_sel:BYTE_3 src1_sel:DWORD
	s_mov_b32 s23, -1
	s_and_saveexec_b32 s72, s73
; %bb.13543:                            ;   in Loop: Header=BB6_12577 Depth=3
	s_xor_b32 s23, exec_lo, -1
; %bb.13544:                            ;   in Loop: Header=BB6_12577 Depth=3
	s_or_b32 exec_lo, exec_lo, s72
	s_and_b32 s23, s23, exec_lo
	s_or_saveexec_b32 s16, s16
	v_mov_b32_e32 v7, 0x7f800001
	s_xor_b32 exec_lo, exec_lo, s16
	s_cbranch_execnz .LBB6_14900
.LBB6_13545:                            ;   in Loop: Header=BB6_12577 Depth=3
	s_or_b32 exec_lo, exec_lo, s16
	s_and_saveexec_b32 s16, s23
	s_cbranch_execz .LBB6_13547
.LBB6_13546:                            ;   in Loop: Header=BB6_12577 Depth=3
	v_bfe_u32 v7, v6, 24, 2
	v_bfe_u32 v101, v6, 26, 5
	v_ffbh_u32_e32 v36, v7
	v_cmp_eq_u32_e32 vcc_lo, 0, v101
	v_min_u32_e32 v36, 32, v36
	v_subrev_nc_u32_e32 v37, 29, v36
	v_sub_nc_u32_e32 v36, 30, v36
	v_lshlrev_b32_sdwa v37, v37, v6 dst_sel:DWORD dst_unused:UNUSED_PAD src0_sel:DWORD src1_sel:BYTE_3
	v_cndmask_b32_e32 v36, v101, v36, vcc_lo
	v_and_b32_e32 v6, 0x80000000, v6
	v_and_b32_e32 v37, 3, v37
	v_lshl_add_u32 v36, v36, 23, 0x37800000
	v_cndmask_b32_e32 v7, v7, v37, vcc_lo
	v_lshlrev_b32_e32 v7, 21, v7
	v_or3_b32 v7, v6, v36, v7
.LBB6_13547:                            ;   in Loop: Header=BB6_12577 Depth=3
	s_or_b32 exec_lo, exec_lo, s16
	v_cmp_gt_i16_sdwa s16, v20, v116 src0_sel:BYTE_3 src1_sel:DWORD
	s_mov_b32 s23, 0
	s_and_saveexec_b32 s72, s16
	s_xor_b32 s16, exec_lo, s72
	s_cbranch_execz .LBB6_14901
; %bb.13548:                            ;   in Loop: Header=BB6_12577 Depth=3
	v_cmp_eq_u16_sdwa s73, v20, v117 src0_sel:BYTE_3 src1_sel:DWORD
	s_mov_b32 s23, -1
	s_and_saveexec_b32 s72, s73
; %bb.13549:                            ;   in Loop: Header=BB6_12577 Depth=3
	s_xor_b32 s23, exec_lo, -1
; %bb.13550:                            ;   in Loop: Header=BB6_12577 Depth=3
	s_or_b32 exec_lo, exec_lo, s72
	s_and_b32 s23, s23, exec_lo
	s_or_saveexec_b32 s16, s16
	v_mov_b32_e32 v6, 0x7f800001
	s_xor_b32 exec_lo, exec_lo, s16
	s_cbranch_execnz .LBB6_14902
.LBB6_13551:                            ;   in Loop: Header=BB6_12577 Depth=3
	s_or_b32 exec_lo, exec_lo, s16
	s_and_saveexec_b32 s16, s23
	s_cbranch_execz .LBB6_13553
.LBB6_13552:                            ;   in Loop: Header=BB6_12577 Depth=3
	v_bfe_u32 v6, v20, 24, 2
	v_bfe_u32 v101, v20, 26, 5
	v_ffbh_u32_e32 v36, v6
	v_cmp_eq_u32_e32 vcc_lo, 0, v101
	v_min_u32_e32 v36, 32, v36
	v_subrev_nc_u32_e32 v37, 29, v36
	v_sub_nc_u32_e32 v36, 30, v36
	v_lshlrev_b32_sdwa v37, v37, v20 dst_sel:DWORD dst_unused:UNUSED_PAD src0_sel:DWORD src1_sel:BYTE_3
	v_cndmask_b32_e32 v36, v101, v36, vcc_lo
	v_and_b32_e32 v20, 0x80000000, v20
	v_and_b32_e32 v37, 3, v37
	v_lshl_add_u32 v36, v36, 23, 0x37800000
	v_cndmask_b32_e32 v6, v6, v37, vcc_lo
	v_lshlrev_b32_e32 v6, 21, v6
	v_or3_b32 v6, v20, v36, v6
.LBB6_13553:                            ;   in Loop: Header=BB6_12577 Depth=3
	s_or_b32 exec_lo, exec_lo, s16
	v_add_f32_e32 v6, v7, v6
	v_mov_b32_e32 v20, 0x8000
	s_mov_b32 s23, exec_lo
	v_and_b32_e32 v7, 0x7f800000, v6
	v_cmpx_ne_u32_e32 0x7f800000, v7
	s_cbranch_execz .LBB6_13561
; %bb.13554:                            ;   in Loop: Header=BB6_12577 Depth=3
	v_mov_b32_e32 v20, 0
	s_mov_b32 s72, exec_lo
	v_cmpx_ne_u32_e32 0, v6
	s_cbranch_execz .LBB6_13560
; %bb.13555:                            ;   in Loop: Header=BB6_12577 Depth=3
	v_bfe_u32 v20, v6, 23, 8
	v_and_b32_e32 v7, 0x7fffff, v6
	v_cmp_gt_u32_e64 s16, 0x71, v20
	v_sub_nc_u32_e32 v36, 0x70, v20
	v_cmp_eq_u32_e32 vcc_lo, 0, v20
	v_or_b32_e32 v37, 0x800000, v7
	v_cndmask_b32_e64 v36, 0, v36, s16
	v_cndmask_b32_e32 v7, v37, v7, vcc_lo
	v_cndmask_b32_e64 v36, v36, 0x6f, vcc_lo
	v_lshl_add_u32 v37, 0x200000, v36, -1
	v_lshlrev_b32_e64 v101, v36, 0x100000
	v_and_b32_e32 v37, v37, v7
	v_cmp_eq_u32_e64 s16, v37, v101
	v_lshrrev_b32_e32 v37, v36, v7
	v_add_nc_u32_e32 v7, 0xffffff91, v20
	v_lshrrev_b32_e32 v20, 23, v37
	v_cndmask_b32_e64 v7, v7, 0xffffff92, vcc_lo
	v_xor_b32_e32 v20, 1, v20
	v_add_nc_u32_e32 v7, v36, v7
	v_bfe_u32 v36, v37, 21, 1
	v_add_nc_u32_e32 v36, -1, v36
	v_cndmask_b32_e64 v36, 0, v36, s16
	s_mov_b32 s16, exec_lo
	v_add_nc_u32_e32 v36, v36, v37
	v_and_b32_e32 v36, 0x1fffff, v36
	v_add_nc_u32_e32 v36, v36, v37
                                        ; implicit-def: $vgpr37
	v_cmpx_ne_u32_e64 v7, v20
	s_xor_b32 s16, exec_lo, s16
; %bb.13556:                            ;   in Loop: Header=BB6_12577 Depth=3
	v_cmp_lt_u32_e32 vcc_lo, 0xffffff, v36
	v_sub_nc_u32_e32 v7, v7, v20
	v_cndmask_b32_e64 v20, 0, 1, vcc_lo
	v_add_co_ci_u32_e64 v37, null, 0, v7, vcc_lo
	v_lshrrev_b32_e32 v36, v20, v36
; %bb.13557:                            ;   in Loop: Header=BB6_12577 Depth=3
	s_andn2_saveexec_b32 s16, s16
; %bb.13558:                            ;   in Loop: Header=BB6_12577 Depth=3
	v_bfe_u32 v37, v36, 23, 1
; %bb.13559:                            ;   in Loop: Header=BB6_12577 Depth=3
	s_or_b32 exec_lo, exec_lo, s16
	v_lshrrev_b32_e32 v7, 21, v36
	v_min_i32_e32 v20, 31, v37
	v_cmp_gt_i32_e32 vcc_lo, 32, v37
	v_and_b32_sdwa v6, v6, v117 dst_sel:DWORD dst_unused:UNUSED_PAD src0_sel:BYTE_3 src1_sel:DWORD
	v_lshlrev_b32_e32 v20, 2, v20
	v_cndmask_b32_e32 v7, 3, v7, vcc_lo
	v_and_b32_e32 v20, 0xfc, v20
	v_or_b32_e32 v36, v37, v7
	v_and_b32_e32 v7, 3, v7
	v_cmp_ne_u32_e32 vcc_lo, 0, v36
	v_or3_b32 v6, v6, v20, v7
	v_lshlrev_b32_e32 v6, 8, v6
	v_cndmask_b32_e32 v20, 0, v6, vcc_lo
.LBB6_13560:                            ;   in Loop: Header=BB6_12577 Depth=3
	s_or_b32 exec_lo, exec_lo, s72
.LBB6_13561:                            ;   in Loop: Header=BB6_12577 Depth=3
	s_or_b32 exec_lo, exec_lo, s23
	v_or_b32_e32 v6, v91, v115
	s_mov_b32 s23, 0
	v_cmp_gt_i16_sdwa s16, v6, v116 src0_sel:BYTE_0 src1_sel:DWORD
	s_and_saveexec_b32 s72, s16
	s_xor_b32 s16, exec_lo, s72
	s_cbranch_execz .LBB6_14903
; %bb.13562:                            ;   in Loop: Header=BB6_12577 Depth=3
	v_cmp_eq_u16_sdwa s73, v6, v117 src0_sel:BYTE_0 src1_sel:DWORD
	s_mov_b32 s23, -1
	s_and_saveexec_b32 s72, s73
; %bb.13563:                            ;   in Loop: Header=BB6_12577 Depth=3
	s_xor_b32 s23, exec_lo, -1
; %bb.13564:                            ;   in Loop: Header=BB6_12577 Depth=3
	s_or_b32 exec_lo, exec_lo, s72
	s_and_b32 s23, s23, exec_lo
	s_or_saveexec_b32 s16, s16
	v_mov_b32_e32 v7, 0x7f800001
	s_xor_b32 exec_lo, exec_lo, s16
	s_cbranch_execnz .LBB6_14904
.LBB6_13565:                            ;   in Loop: Header=BB6_12577 Depth=3
	s_or_b32 exec_lo, exec_lo, s16
	s_and_saveexec_b32 s16, s23
	s_cbranch_execz .LBB6_13567
.LBB6_13566:                            ;   in Loop: Header=BB6_12577 Depth=3
	v_and_b32_e32 v7, 3, v6
	v_bfe_u32 v36, v6, 2, 5
	v_ffbh_u32_e32 v37, v7
	v_cmp_eq_u32_e32 vcc_lo, 0, v36
	v_min_u32_e32 v37, 32, v37
	v_subrev_nc_u32_e32 v101, 29, v37
	v_sub_nc_u32_e32 v37, 30, v37
	v_lshlrev_b32_e32 v101, v101, v6
	v_cndmask_b32_e32 v36, v36, v37, vcc_lo
	v_lshlrev_b32_e32 v37, 24, v6
	v_and_b32_e32 v101, 3, v101
	v_lshl_add_u32 v36, v36, 23, 0x37800000
	v_and_b32_e32 v37, 0x80000000, v37
	v_cndmask_b32_e32 v7, v7, v101, vcc_lo
	v_lshlrev_b32_e32 v7, 21, v7
	v_or3_b32 v7, v37, v36, v7
.LBB6_13567:                            ;   in Loop: Header=BB6_12577 Depth=3
	s_or_b32 exec_lo, exec_lo, s16
	v_cmp_gt_i16_sdwa s16, v21, v116 src0_sel:BYTE_0 src1_sel:DWORD
	s_mov_b32 s23, 0
	s_and_saveexec_b32 s72, s16
	s_xor_b32 s16, exec_lo, s72
	s_cbranch_execz .LBB6_14905
; %bb.13568:                            ;   in Loop: Header=BB6_12577 Depth=3
	v_cmp_eq_u16_sdwa s73, v21, v117 src0_sel:BYTE_0 src1_sel:DWORD
	s_mov_b32 s23, -1
	s_and_saveexec_b32 s72, s73
; %bb.13569:                            ;   in Loop: Header=BB6_12577 Depth=3
	s_xor_b32 s23, exec_lo, -1
; %bb.13570:                            ;   in Loop: Header=BB6_12577 Depth=3
	s_or_b32 exec_lo, exec_lo, s72
	s_and_b32 s23, s23, exec_lo
	s_or_saveexec_b32 s16, s16
	v_mov_b32_e32 v36, 0x7f800001
	s_xor_b32 exec_lo, exec_lo, s16
	s_cbranch_execnz .LBB6_14906
.LBB6_13571:                            ;   in Loop: Header=BB6_12577 Depth=3
	s_or_b32 exec_lo, exec_lo, s16
	s_and_saveexec_b32 s16, s23
	s_cbranch_execz .LBB6_13573
.LBB6_13572:                            ;   in Loop: Header=BB6_12577 Depth=3
	v_and_b32_e32 v36, 3, v21
	v_bfe_u32 v37, v21, 2, 5
	v_ffbh_u32_e32 v101, v36
	v_cmp_eq_u32_e32 vcc_lo, 0, v37
	v_min_u32_e32 v101, 32, v101
	v_subrev_nc_u32_e32 v115, 29, v101
	v_sub_nc_u32_e32 v101, 30, v101
	v_lshlrev_b32_e32 v115, v115, v21
	v_cndmask_b32_e32 v37, v37, v101, vcc_lo
	v_lshlrev_b32_e32 v101, 24, v21
	v_and_b32_e32 v115, 3, v115
	v_lshl_add_u32 v37, v37, 23, 0x37800000
	v_and_b32_e32 v101, 0x80000000, v101
	v_cndmask_b32_e32 v36, v36, v115, vcc_lo
	v_lshlrev_b32_e32 v36, 21, v36
	v_or3_b32 v36, v101, v37, v36
.LBB6_13573:                            ;   in Loop: Header=BB6_12577 Depth=3
	s_or_b32 exec_lo, exec_lo, s16
	v_add_f32_e32 v7, v7, v36
	v_mov_b32_e32 v91, 0x80
	s_mov_b32 s23, exec_lo
	v_and_b32_e32 v36, 0x7f800000, v7
	v_cmpx_ne_u32_e32 0x7f800000, v36
	s_cbranch_execz .LBB6_13581
; %bb.13574:                            ;   in Loop: Header=BB6_12577 Depth=3
	v_mov_b32_e32 v91, 0
	s_mov_b32 s72, exec_lo
	v_cmpx_ne_u32_e32 0, v7
	s_cbranch_execz .LBB6_13580
; %bb.13575:                            ;   in Loop: Header=BB6_12577 Depth=3
	v_bfe_u32 v37, v7, 23, 8
	v_and_b32_e32 v36, 0x7fffff, v7
	v_cmp_gt_u32_e64 s16, 0x71, v37
	v_sub_nc_u32_e32 v101, 0x70, v37
	v_cmp_eq_u32_e32 vcc_lo, 0, v37
	v_or_b32_e32 v115, 0x800000, v36
	v_cndmask_b32_e64 v101, 0, v101, s16
	v_cndmask_b32_e32 v36, v115, v36, vcc_lo
	v_cndmask_b32_e64 v101, v101, 0x6f, vcc_lo
	v_lshl_add_u32 v115, 0x200000, v101, -1
	v_lshlrev_b32_e64 v42, v101, 0x100000
	v_and_b32_e32 v115, v115, v36
	v_cmp_eq_u32_e64 s16, v115, v42
	v_lshrrev_b32_e32 v115, v101, v36
	v_add_nc_u32_e32 v36, 0xffffff91, v37
	v_lshrrev_b32_e32 v37, 23, v115
	v_cndmask_b32_e64 v36, v36, 0xffffff92, vcc_lo
	v_xor_b32_e32 v37, 1, v37
	v_add_nc_u32_e32 v36, v101, v36
	v_bfe_u32 v101, v115, 21, 1
	v_add_nc_u32_e32 v101, -1, v101
	v_cndmask_b32_e64 v101, 0, v101, s16
	s_mov_b32 s16, exec_lo
	v_add_nc_u32_e32 v101, v101, v115
	v_and_b32_e32 v101, 0x1fffff, v101
	v_add_nc_u32_e32 v101, v101, v115
                                        ; implicit-def: $vgpr115
	v_cmpx_ne_u32_e64 v36, v37
	s_xor_b32 s16, exec_lo, s16
; %bb.13576:                            ;   in Loop: Header=BB6_12577 Depth=3
	v_cmp_lt_u32_e32 vcc_lo, 0xffffff, v101
	v_sub_nc_u32_e32 v36, v36, v37
	v_cndmask_b32_e64 v37, 0, 1, vcc_lo
	v_add_co_ci_u32_e64 v115, null, 0, v36, vcc_lo
	v_lshrrev_b32_e32 v101, v37, v101
; %bb.13577:                            ;   in Loop: Header=BB6_12577 Depth=3
	s_andn2_saveexec_b32 s16, s16
; %bb.13578:                            ;   in Loop: Header=BB6_12577 Depth=3
	v_bfe_u32 v115, v101, 23, 1
; %bb.13579:                            ;   in Loop: Header=BB6_12577 Depth=3
	s_or_b32 exec_lo, exec_lo, s16
	v_lshrrev_b32_e32 v36, 21, v101
	v_min_i32_e32 v37, 31, v115
	v_cmp_gt_i32_e32 vcc_lo, 32, v115
	v_and_b32_sdwa v7, v7, v117 dst_sel:DWORD dst_unused:UNUSED_PAD src0_sel:BYTE_3 src1_sel:DWORD
	v_lshlrev_b32_e32 v37, 2, v37
	v_cndmask_b32_e32 v36, 3, v36, vcc_lo
	v_and_b32_e32 v37, 0xfc, v37
	v_or_b32_e32 v101, v115, v36
	v_and_b32_e32 v36, 3, v36
	v_cmp_ne_u32_e32 vcc_lo, 0, v101
	v_or3_b32 v7, v37, v7, v36
	v_cndmask_b32_e32 v91, 0, v7, vcc_lo
.LBB6_13580:                            ;   in Loop: Header=BB6_12577 Depth=3
	s_or_b32 exec_lo, exec_lo, s72
.LBB6_13581:                            ;   in Loop: Header=BB6_12577 Depth=3
	s_or_b32 exec_lo, exec_lo, s23
	v_cmp_gt_i16_sdwa s16, v6, v116 src0_sel:BYTE_1 src1_sel:DWORD
	s_mov_b32 s23, 0
	s_and_saveexec_b32 s72, s16
	s_xor_b32 s16, exec_lo, s72
	s_cbranch_execz .LBB6_14907
; %bb.13582:                            ;   in Loop: Header=BB6_12577 Depth=3
	v_cmp_eq_u16_sdwa s73, v6, v117 src0_sel:BYTE_1 src1_sel:DWORD
	s_mov_b32 s23, -1
	s_and_saveexec_b32 s72, s73
; %bb.13583:                            ;   in Loop: Header=BB6_12577 Depth=3
	s_xor_b32 s23, exec_lo, -1
; %bb.13584:                            ;   in Loop: Header=BB6_12577 Depth=3
	s_or_b32 exec_lo, exec_lo, s72
	s_and_b32 s23, s23, exec_lo
	s_or_saveexec_b32 s16, s16
	v_mov_b32_e32 v7, 0x7f800001
	s_xor_b32 exec_lo, exec_lo, s16
	s_cbranch_execnz .LBB6_14908
.LBB6_13585:                            ;   in Loop: Header=BB6_12577 Depth=3
	s_or_b32 exec_lo, exec_lo, s16
	s_and_saveexec_b32 s16, s23
	s_cbranch_execz .LBB6_13587
.LBB6_13586:                            ;   in Loop: Header=BB6_12577 Depth=3
	v_and_b32_sdwa v7, v118, v6 dst_sel:DWORD dst_unused:UNUSED_PAD src0_sel:DWORD src1_sel:BYTE_1
	v_and_b32_e32 v36, 3, v7
	v_bfe_u32 v115, v7, 2, 5
	v_ffbh_u32_e32 v37, v36
	v_cmp_eq_u32_e32 vcc_lo, 0, v115
	v_min_u32_e32 v37, 32, v37
	v_subrev_nc_u32_e32 v101, 29, v37
	v_sub_nc_u32_e32 v37, 30, v37
	v_lshlrev_b32_e32 v7, v101, v7
	v_lshlrev_b32_sdwa v101, v119, v6 dst_sel:DWORD dst_unused:UNUSED_PAD src0_sel:DWORD src1_sel:BYTE_1
	v_cndmask_b32_e32 v37, v115, v37, vcc_lo
	v_and_b32_e32 v7, 3, v7
	v_lshl_add_u32 v37, v37, 23, 0x37800000
	v_cndmask_b32_e32 v7, v36, v7, vcc_lo
	v_and_b32_e32 v36, 0x80000000, v101
	v_lshlrev_b32_e32 v7, 21, v7
	v_or3_b32 v7, v36, v37, v7
.LBB6_13587:                            ;   in Loop: Header=BB6_12577 Depth=3
	s_or_b32 exec_lo, exec_lo, s16
	v_cmp_gt_i16_sdwa s16, v21, v116 src0_sel:BYTE_1 src1_sel:DWORD
	s_mov_b32 s23, 0
	s_and_saveexec_b32 s72, s16
	s_xor_b32 s16, exec_lo, s72
	s_cbranch_execz .LBB6_14909
; %bb.13588:                            ;   in Loop: Header=BB6_12577 Depth=3
	v_cmp_eq_u16_sdwa s73, v21, v117 src0_sel:BYTE_1 src1_sel:DWORD
	s_mov_b32 s23, -1
	s_and_saveexec_b32 s72, s73
; %bb.13589:                            ;   in Loop: Header=BB6_12577 Depth=3
	s_xor_b32 s23, exec_lo, -1
; %bb.13590:                            ;   in Loop: Header=BB6_12577 Depth=3
	s_or_b32 exec_lo, exec_lo, s72
	s_and_b32 s23, s23, exec_lo
	s_or_saveexec_b32 s16, s16
	v_mov_b32_e32 v36, 0x7f800001
	s_xor_b32 exec_lo, exec_lo, s16
	s_cbranch_execnz .LBB6_14910
.LBB6_13591:                            ;   in Loop: Header=BB6_12577 Depth=3
	s_or_b32 exec_lo, exec_lo, s16
	s_and_saveexec_b32 s16, s23
	s_cbranch_execz .LBB6_13593
.LBB6_13592:                            ;   in Loop: Header=BB6_12577 Depth=3
	v_and_b32_sdwa v36, v118, v21 dst_sel:DWORD dst_unused:UNUSED_PAD src0_sel:DWORD src1_sel:BYTE_1
	v_and_b32_e32 v37, 3, v36
	v_bfe_u32 v42, v36, 2, 5
	v_ffbh_u32_e32 v101, v37
	v_cmp_eq_u32_e32 vcc_lo, 0, v42
	v_min_u32_e32 v101, 32, v101
	v_subrev_nc_u32_e32 v115, 29, v101
	v_sub_nc_u32_e32 v101, 30, v101
	v_lshlrev_b32_e32 v36, v115, v36
	v_lshlrev_b32_sdwa v115, v119, v21 dst_sel:DWORD dst_unused:UNUSED_PAD src0_sel:DWORD src1_sel:BYTE_1
	v_cndmask_b32_e32 v101, v42, v101, vcc_lo
	v_and_b32_e32 v36, 3, v36
	v_lshl_add_u32 v101, v101, 23, 0x37800000
	v_cndmask_b32_e32 v36, v37, v36, vcc_lo
	v_and_b32_e32 v37, 0x80000000, v115
	v_lshlrev_b32_e32 v36, 21, v36
	v_or3_b32 v36, v37, v101, v36
.LBB6_13593:                            ;   in Loop: Header=BB6_12577 Depth=3
	s_or_b32 exec_lo, exec_lo, s16
	v_add_f32_e32 v7, v7, v36
	v_mov_b32_e32 v94, 0x8000
	s_mov_b32 s23, exec_lo
	v_and_b32_e32 v36, 0x7f800000, v7
	v_cmpx_ne_u32_e32 0x7f800000, v36
	s_cbranch_execz .LBB6_13601
; %bb.13594:                            ;   in Loop: Header=BB6_12577 Depth=3
	v_mov_b32_e32 v94, 0
	s_mov_b32 s72, exec_lo
	v_cmpx_ne_u32_e32 0, v7
	s_cbranch_execz .LBB6_13600
; %bb.13595:                            ;   in Loop: Header=BB6_12577 Depth=3
	v_bfe_u32 v37, v7, 23, 8
	v_and_b32_e32 v36, 0x7fffff, v7
	v_cmp_gt_u32_e64 s16, 0x71, v37
	v_sub_nc_u32_e32 v101, 0x70, v37
	v_cmp_eq_u32_e32 vcc_lo, 0, v37
	v_or_b32_e32 v115, 0x800000, v36
	v_cndmask_b32_e64 v101, 0, v101, s16
	v_cndmask_b32_e32 v36, v115, v36, vcc_lo
	v_cndmask_b32_e64 v101, v101, 0x6f, vcc_lo
	v_lshl_add_u32 v115, 0x200000, v101, -1
	v_lshlrev_b32_e64 v42, v101, 0x100000
	v_and_b32_e32 v115, v115, v36
	v_cmp_eq_u32_e64 s16, v115, v42
	v_lshrrev_b32_e32 v115, v101, v36
	v_add_nc_u32_e32 v36, 0xffffff91, v37
	v_lshrrev_b32_e32 v37, 23, v115
	v_cndmask_b32_e64 v36, v36, 0xffffff92, vcc_lo
	v_xor_b32_e32 v37, 1, v37
	v_add_nc_u32_e32 v36, v101, v36
	v_bfe_u32 v101, v115, 21, 1
	v_add_nc_u32_e32 v101, -1, v101
	v_cndmask_b32_e64 v101, 0, v101, s16
	s_mov_b32 s16, exec_lo
	v_add_nc_u32_e32 v101, v101, v115
	v_and_b32_e32 v101, 0x1fffff, v101
	v_add_nc_u32_e32 v101, v101, v115
                                        ; implicit-def: $vgpr115
	v_cmpx_ne_u32_e64 v36, v37
	s_xor_b32 s16, exec_lo, s16
; %bb.13596:                            ;   in Loop: Header=BB6_12577 Depth=3
	v_cmp_lt_u32_e32 vcc_lo, 0xffffff, v101
	v_sub_nc_u32_e32 v36, v36, v37
	v_cndmask_b32_e64 v37, 0, 1, vcc_lo
	v_add_co_ci_u32_e64 v115, null, 0, v36, vcc_lo
	v_lshrrev_b32_e32 v101, v37, v101
; %bb.13597:                            ;   in Loop: Header=BB6_12577 Depth=3
	s_andn2_saveexec_b32 s16, s16
; %bb.13598:                            ;   in Loop: Header=BB6_12577 Depth=3
	v_bfe_u32 v115, v101, 23, 1
; %bb.13599:                            ;   in Loop: Header=BB6_12577 Depth=3
	s_or_b32 exec_lo, exec_lo, s16
	v_lshrrev_b32_e32 v36, 21, v101
	v_min_i32_e32 v37, 31, v115
	v_cmp_gt_i32_e32 vcc_lo, 32, v115
	v_and_b32_sdwa v7, v7, v117 dst_sel:DWORD dst_unused:UNUSED_PAD src0_sel:BYTE_3 src1_sel:DWORD
	v_lshlrev_b32_e32 v37, 2, v37
	v_cndmask_b32_e32 v36, 3, v36, vcc_lo
	v_and_b32_e32 v37, 0xfc, v37
	v_or_b32_e32 v101, v115, v36
	v_and_b32_e32 v36, 3, v36
	v_cmp_ne_u32_e32 vcc_lo, 0, v101
	v_or3_b32 v7, v7, v37, v36
	v_lshlrev_b32_e32 v7, 8, v7
	v_cndmask_b32_e32 v94, 0, v7, vcc_lo
.LBB6_13600:                            ;   in Loop: Header=BB6_12577 Depth=3
	s_or_b32 exec_lo, exec_lo, s72
.LBB6_13601:                            ;   in Loop: Header=BB6_12577 Depth=3
	s_or_b32 exec_lo, exec_lo, s23
	v_or_b32_e32 v36, v107, v78
	s_mov_b32 s23, 0
	v_cmp_gt_i16_sdwa s16, v36, v116 src0_sel:BYTE_0 src1_sel:DWORD
	s_and_saveexec_b32 s72, s16
	s_xor_b32 s16, exec_lo, s72
	s_cbranch_execz .LBB6_14911
; %bb.13602:                            ;   in Loop: Header=BB6_12577 Depth=3
	v_cmp_eq_u16_sdwa s73, v36, v117 src0_sel:BYTE_0 src1_sel:DWORD
	s_mov_b32 s23, -1
	s_and_saveexec_b32 s72, s73
; %bb.13603:                            ;   in Loop: Header=BB6_12577 Depth=3
	s_xor_b32 s23, exec_lo, -1
; %bb.13604:                            ;   in Loop: Header=BB6_12577 Depth=3
	s_or_b32 exec_lo, exec_lo, s72
	s_and_b32 s23, s23, exec_lo
	s_or_saveexec_b32 s16, s16
	v_mov_b32_e32 v7, 0x7f800001
	s_xor_b32 exec_lo, exec_lo, s16
	s_cbranch_execnz .LBB6_14912
.LBB6_13605:                            ;   in Loop: Header=BB6_12577 Depth=3
	s_or_b32 exec_lo, exec_lo, s16
	v_lshl_or_b32 v6, v36, 16, v6
	s_and_saveexec_b32 s16, s23
	s_cbranch_execz .LBB6_13607
.LBB6_13606:                            ;   in Loop: Header=BB6_12577 Depth=3
	v_bfe_u32 v7, v6, 16, 2
	v_bfe_u32 v36, v6, 18, 5
	v_ffbh_u32_e32 v37, v7
	v_cmp_eq_u32_e32 vcc_lo, 0, v36
	v_min_u32_e32 v37, 32, v37
	v_subrev_nc_u32_e32 v101, 29, v37
	v_sub_nc_u32_e32 v37, 30, v37
	v_lshlrev_b32_sdwa v101, v101, v6 dst_sel:DWORD dst_unused:UNUSED_PAD src0_sel:DWORD src1_sel:WORD_1
	v_cndmask_b32_e32 v36, v36, v37, vcc_lo
	v_lshlrev_b32_e32 v37, 8, v6
	v_and_b32_e32 v101, 3, v101
	v_lshl_add_u32 v36, v36, 23, 0x37800000
	v_and_b32_e32 v37, 0x80000000, v37
	v_cndmask_b32_e32 v7, v7, v101, vcc_lo
	v_lshlrev_b32_e32 v7, 21, v7
	v_or3_b32 v7, v37, v36, v7
.LBB6_13607:                            ;   in Loop: Header=BB6_12577 Depth=3
	s_or_b32 exec_lo, exec_lo, s16
	v_and_b32_sdwa v37, v21, v40 dst_sel:DWORD dst_unused:UNUSED_PAD src0_sel:WORD_1 src1_sel:DWORD
	s_mov_b32 s23, 0
	s_mov_b32 s16, exec_lo
	v_cmpx_lt_i16_e32 0x7f, v37
	s_xor_b32 s16, exec_lo, s16
	s_cbranch_execz .LBB6_14913
; %bb.13608:                            ;   in Loop: Header=BB6_12577 Depth=3
	s_mov_b32 s23, -1
	s_mov_b32 s72, exec_lo
	v_cmpx_eq_u16_e32 0x80, v37
; %bb.13609:                            ;   in Loop: Header=BB6_12577 Depth=3
	s_xor_b32 s23, exec_lo, -1
; %bb.13610:                            ;   in Loop: Header=BB6_12577 Depth=3
	s_or_b32 exec_lo, exec_lo, s72
	s_and_b32 s23, s23, exec_lo
                                        ; implicit-def: $vgpr37
	s_or_saveexec_b32 s16, s16
	v_mov_b32_e32 v36, 0x7f800001
	s_xor_b32 exec_lo, exec_lo, s16
	s_cbranch_execnz .LBB6_14914
.LBB6_13611:                            ;   in Loop: Header=BB6_12577 Depth=3
	s_or_b32 exec_lo, exec_lo, s16
	s_and_saveexec_b32 s16, s23
	s_cbranch_execz .LBB6_13613
.LBB6_13612:                            ;   in Loop: Header=BB6_12577 Depth=3
	v_bfe_u32 v36, v21, 16, 2
	v_bfe_u32 v37, v21, 18, 5
	v_ffbh_u32_e32 v101, v36
	v_cmp_eq_u32_e32 vcc_lo, 0, v37
	v_min_u32_e32 v101, 32, v101
	v_subrev_nc_u32_e32 v115, 29, v101
	v_sub_nc_u32_e32 v101, 30, v101
	v_lshlrev_b32_sdwa v115, v115, v21 dst_sel:DWORD dst_unused:UNUSED_PAD src0_sel:DWORD src1_sel:WORD_1
	v_cndmask_b32_e32 v37, v37, v101, vcc_lo
	v_lshlrev_b32_e32 v101, 8, v21
	v_and_b32_e32 v115, 3, v115
	v_lshl_add_u32 v37, v37, 23, 0x37800000
	v_and_b32_e32 v101, 0x80000000, v101
	v_cndmask_b32_e32 v36, v36, v115, vcc_lo
	v_lshlrev_b32_e32 v36, 21, v36
	v_or3_b32 v36, v101, v37, v36
.LBB6_13613:                            ;   in Loop: Header=BB6_12577 Depth=3
	s_or_b32 exec_lo, exec_lo, s16
	v_add_f32_e32 v7, v7, v36
	v_mov_b32_e32 v107, 0x80
	s_mov_b32 s23, exec_lo
	v_and_b32_e32 v36, 0x7f800000, v7
	v_cmpx_ne_u32_e32 0x7f800000, v36
	s_cbranch_execz .LBB6_13621
; %bb.13614:                            ;   in Loop: Header=BB6_12577 Depth=3
	v_mov_b32_e32 v107, 0
	s_mov_b32 s72, exec_lo
	v_cmpx_ne_u32_e32 0, v7
	s_cbranch_execz .LBB6_13620
; %bb.13615:                            ;   in Loop: Header=BB6_12577 Depth=3
	v_bfe_u32 v37, v7, 23, 8
	v_and_b32_e32 v36, 0x7fffff, v7
	v_cmp_gt_u32_e64 s16, 0x71, v37
	v_sub_nc_u32_e32 v101, 0x70, v37
	v_cmp_eq_u32_e32 vcc_lo, 0, v37
	v_or_b32_e32 v115, 0x800000, v36
	v_cndmask_b32_e64 v101, 0, v101, s16
	v_cndmask_b32_e32 v36, v115, v36, vcc_lo
	v_cndmask_b32_e64 v101, v101, 0x6f, vcc_lo
	v_lshl_add_u32 v115, 0x200000, v101, -1
	v_lshlrev_b32_e64 v42, v101, 0x100000
	v_and_b32_e32 v115, v115, v36
	v_cmp_eq_u32_e64 s16, v115, v42
	v_lshrrev_b32_e32 v115, v101, v36
	v_add_nc_u32_e32 v36, 0xffffff91, v37
	v_lshrrev_b32_e32 v37, 23, v115
	v_cndmask_b32_e64 v36, v36, 0xffffff92, vcc_lo
	v_xor_b32_e32 v37, 1, v37
	v_add_nc_u32_e32 v36, v101, v36
	v_bfe_u32 v101, v115, 21, 1
	v_add_nc_u32_e32 v101, -1, v101
	v_cndmask_b32_e64 v101, 0, v101, s16
	s_mov_b32 s16, exec_lo
	v_add_nc_u32_e32 v101, v101, v115
	v_and_b32_e32 v101, 0x1fffff, v101
	v_add_nc_u32_e32 v101, v101, v115
                                        ; implicit-def: $vgpr115
	v_cmpx_ne_u32_e64 v36, v37
	s_xor_b32 s16, exec_lo, s16
; %bb.13616:                            ;   in Loop: Header=BB6_12577 Depth=3
	v_cmp_lt_u32_e32 vcc_lo, 0xffffff, v101
	v_sub_nc_u32_e32 v36, v36, v37
	v_cndmask_b32_e64 v37, 0, 1, vcc_lo
	v_add_co_ci_u32_e64 v115, null, 0, v36, vcc_lo
	v_lshrrev_b32_e32 v101, v37, v101
; %bb.13617:                            ;   in Loop: Header=BB6_12577 Depth=3
	s_andn2_saveexec_b32 s16, s16
; %bb.13618:                            ;   in Loop: Header=BB6_12577 Depth=3
	v_bfe_u32 v115, v101, 23, 1
; %bb.13619:                            ;   in Loop: Header=BB6_12577 Depth=3
	s_or_b32 exec_lo, exec_lo, s16
	v_lshrrev_b32_e32 v36, 21, v101
	v_min_i32_e32 v37, 31, v115
	v_cmp_gt_i32_e32 vcc_lo, 32, v115
	v_and_b32_sdwa v7, v7, v117 dst_sel:DWORD dst_unused:UNUSED_PAD src0_sel:BYTE_3 src1_sel:DWORD
	v_lshlrev_b32_e32 v37, 2, v37
	v_cndmask_b32_e32 v36, 3, v36, vcc_lo
	v_and_b32_e32 v37, 0xfc, v37
	v_or_b32_e32 v101, v115, v36
	v_and_b32_e32 v36, 3, v36
	v_cmp_ne_u32_e32 vcc_lo, 0, v101
	v_or3_b32 v7, v37, v7, v36
	v_cndmask_b32_e32 v107, 0, v7, vcc_lo
.LBB6_13620:                            ;   in Loop: Header=BB6_12577 Depth=3
	s_or_b32 exec_lo, exec_lo, s72
.LBB6_13621:                            ;   in Loop: Header=BB6_12577 Depth=3
	s_or_b32 exec_lo, exec_lo, s23
	v_cmp_gt_i16_sdwa s16, v6, v116 src0_sel:BYTE_3 src1_sel:DWORD
	s_mov_b32 s23, 0
	s_and_saveexec_b32 s72, s16
	s_xor_b32 s16, exec_lo, s72
	s_cbranch_execz .LBB6_14915
; %bb.13622:                            ;   in Loop: Header=BB6_12577 Depth=3
	v_cmp_eq_u16_sdwa s73, v6, v117 src0_sel:BYTE_3 src1_sel:DWORD
	s_mov_b32 s23, -1
	s_and_saveexec_b32 s72, s73
; %bb.13623:                            ;   in Loop: Header=BB6_12577 Depth=3
	s_xor_b32 s23, exec_lo, -1
; %bb.13624:                            ;   in Loop: Header=BB6_12577 Depth=3
	s_or_b32 exec_lo, exec_lo, s72
	s_and_b32 s23, s23, exec_lo
	s_or_saveexec_b32 s16, s16
	v_mov_b32_e32 v7, 0x7f800001
	s_xor_b32 exec_lo, exec_lo, s16
	s_cbranch_execnz .LBB6_14916
.LBB6_13625:                            ;   in Loop: Header=BB6_12577 Depth=3
	s_or_b32 exec_lo, exec_lo, s16
	s_and_saveexec_b32 s16, s23
	s_cbranch_execz .LBB6_13627
.LBB6_13626:                            ;   in Loop: Header=BB6_12577 Depth=3
	v_bfe_u32 v7, v6, 24, 2
	v_bfe_u32 v101, v6, 26, 5
	v_ffbh_u32_e32 v36, v7
	v_cmp_eq_u32_e32 vcc_lo, 0, v101
	v_min_u32_e32 v36, 32, v36
	v_subrev_nc_u32_e32 v37, 29, v36
	v_sub_nc_u32_e32 v36, 30, v36
	v_lshlrev_b32_sdwa v37, v37, v6 dst_sel:DWORD dst_unused:UNUSED_PAD src0_sel:DWORD src1_sel:BYTE_3
	v_cndmask_b32_e32 v36, v101, v36, vcc_lo
	v_and_b32_e32 v6, 0x80000000, v6
	v_and_b32_e32 v37, 3, v37
	v_lshl_add_u32 v36, v36, 23, 0x37800000
	v_cndmask_b32_e32 v7, v7, v37, vcc_lo
	v_lshlrev_b32_e32 v7, 21, v7
	v_or3_b32 v7, v6, v36, v7
.LBB6_13627:                            ;   in Loop: Header=BB6_12577 Depth=3
	s_or_b32 exec_lo, exec_lo, s16
	v_cmp_gt_i16_sdwa s16, v21, v116 src0_sel:BYTE_3 src1_sel:DWORD
	s_mov_b32 s23, 0
	s_and_saveexec_b32 s72, s16
	s_xor_b32 s16, exec_lo, s72
	s_cbranch_execz .LBB6_14917
; %bb.13628:                            ;   in Loop: Header=BB6_12577 Depth=3
	v_cmp_eq_u16_sdwa s73, v21, v117 src0_sel:BYTE_3 src1_sel:DWORD
	s_mov_b32 s23, -1
	s_and_saveexec_b32 s72, s73
; %bb.13629:                            ;   in Loop: Header=BB6_12577 Depth=3
	s_xor_b32 s23, exec_lo, -1
; %bb.13630:                            ;   in Loop: Header=BB6_12577 Depth=3
	s_or_b32 exec_lo, exec_lo, s72
	s_and_b32 s23, s23, exec_lo
	s_or_saveexec_b32 s16, s16
	v_mov_b32_e32 v6, 0x7f800001
	s_xor_b32 exec_lo, exec_lo, s16
	s_cbranch_execnz .LBB6_14918
.LBB6_13631:                            ;   in Loop: Header=BB6_12577 Depth=3
	s_or_b32 exec_lo, exec_lo, s16
	s_and_saveexec_b32 s16, s23
	s_cbranch_execz .LBB6_13633
.LBB6_13632:                            ;   in Loop: Header=BB6_12577 Depth=3
	v_bfe_u32 v6, v21, 24, 2
	v_bfe_u32 v101, v21, 26, 5
	v_ffbh_u32_e32 v36, v6
	v_cmp_eq_u32_e32 vcc_lo, 0, v101
	v_min_u32_e32 v36, 32, v36
	v_subrev_nc_u32_e32 v37, 29, v36
	v_sub_nc_u32_e32 v36, 30, v36
	v_lshlrev_b32_sdwa v37, v37, v21 dst_sel:DWORD dst_unused:UNUSED_PAD src0_sel:DWORD src1_sel:BYTE_3
	v_cndmask_b32_e32 v36, v101, v36, vcc_lo
	v_and_b32_e32 v21, 0x80000000, v21
	v_and_b32_e32 v37, 3, v37
	v_lshl_add_u32 v36, v36, 23, 0x37800000
	v_cndmask_b32_e32 v6, v6, v37, vcc_lo
	v_lshlrev_b32_e32 v6, 21, v6
	v_or3_b32 v6, v21, v36, v6
.LBB6_13633:                            ;   in Loop: Header=BB6_12577 Depth=3
	s_or_b32 exec_lo, exec_lo, s16
	v_add_f32_e32 v6, v7, v6
	v_mov_b32_e32 v21, 0x8000
	s_mov_b32 s23, exec_lo
	v_and_b32_e32 v7, 0x7f800000, v6
	v_cmpx_ne_u32_e32 0x7f800000, v7
	s_cbranch_execz .LBB6_13641
; %bb.13634:                            ;   in Loop: Header=BB6_12577 Depth=3
	v_mov_b32_e32 v21, 0
	s_mov_b32 s72, exec_lo
	v_cmpx_ne_u32_e32 0, v6
	s_cbranch_execz .LBB6_13640
; %bb.13635:                            ;   in Loop: Header=BB6_12577 Depth=3
	v_bfe_u32 v21, v6, 23, 8
	v_and_b32_e32 v7, 0x7fffff, v6
	v_cmp_gt_u32_e64 s16, 0x71, v21
	v_sub_nc_u32_e32 v36, 0x70, v21
	v_cmp_eq_u32_e32 vcc_lo, 0, v21
	v_or_b32_e32 v37, 0x800000, v7
	v_cndmask_b32_e64 v36, 0, v36, s16
	v_cndmask_b32_e32 v7, v37, v7, vcc_lo
	v_cndmask_b32_e64 v36, v36, 0x6f, vcc_lo
	v_lshl_add_u32 v37, 0x200000, v36, -1
	v_lshlrev_b32_e64 v101, v36, 0x100000
	v_and_b32_e32 v37, v37, v7
	v_cmp_eq_u32_e64 s16, v37, v101
	v_lshrrev_b32_e32 v37, v36, v7
	v_add_nc_u32_e32 v7, 0xffffff91, v21
	v_lshrrev_b32_e32 v21, 23, v37
	v_cndmask_b32_e64 v7, v7, 0xffffff92, vcc_lo
	v_xor_b32_e32 v21, 1, v21
	v_add_nc_u32_e32 v7, v36, v7
	v_bfe_u32 v36, v37, 21, 1
	v_add_nc_u32_e32 v36, -1, v36
	v_cndmask_b32_e64 v36, 0, v36, s16
	s_mov_b32 s16, exec_lo
	v_add_nc_u32_e32 v36, v36, v37
	v_and_b32_e32 v36, 0x1fffff, v36
	v_add_nc_u32_e32 v36, v36, v37
                                        ; implicit-def: $vgpr37
	v_cmpx_ne_u32_e64 v7, v21
	s_xor_b32 s16, exec_lo, s16
; %bb.13636:                            ;   in Loop: Header=BB6_12577 Depth=3
	v_cmp_lt_u32_e32 vcc_lo, 0xffffff, v36
	v_sub_nc_u32_e32 v7, v7, v21
	v_cndmask_b32_e64 v21, 0, 1, vcc_lo
	v_add_co_ci_u32_e64 v37, null, 0, v7, vcc_lo
	v_lshrrev_b32_e32 v36, v21, v36
; %bb.13637:                            ;   in Loop: Header=BB6_12577 Depth=3
	s_andn2_saveexec_b32 s16, s16
; %bb.13638:                            ;   in Loop: Header=BB6_12577 Depth=3
	v_bfe_u32 v37, v36, 23, 1
; %bb.13639:                            ;   in Loop: Header=BB6_12577 Depth=3
	s_or_b32 exec_lo, exec_lo, s16
	v_lshrrev_b32_e32 v7, 21, v36
	v_min_i32_e32 v21, 31, v37
	v_cmp_gt_i32_e32 vcc_lo, 32, v37
	v_and_b32_sdwa v6, v6, v117 dst_sel:DWORD dst_unused:UNUSED_PAD src0_sel:BYTE_3 src1_sel:DWORD
	v_lshlrev_b32_e32 v21, 2, v21
	v_cndmask_b32_e32 v7, 3, v7, vcc_lo
	v_and_b32_e32 v21, 0xfc, v21
	v_or_b32_e32 v36, v37, v7
	v_and_b32_e32 v7, 3, v7
	v_cmp_ne_u32_e32 vcc_lo, 0, v36
	v_or3_b32 v6, v6, v21, v7
	v_lshlrev_b32_e32 v6, 8, v6
	v_cndmask_b32_e32 v21, 0, v6, vcc_lo
.LBB6_13640:                            ;   in Loop: Header=BB6_12577 Depth=3
	s_or_b32 exec_lo, exec_lo, s72
.LBB6_13641:                            ;   in Loop: Header=BB6_12577 Depth=3
	s_or_b32 exec_lo, exec_lo, s23
	v_or_b32_e32 v6, v75, v63
	s_mov_b32 s23, 0
	v_cmp_gt_i16_sdwa s16, v6, v116 src0_sel:BYTE_0 src1_sel:DWORD
	s_and_saveexec_b32 s72, s16
	s_xor_b32 s16, exec_lo, s72
	s_cbranch_execz .LBB6_14919
; %bb.13642:                            ;   in Loop: Header=BB6_12577 Depth=3
	v_cmp_eq_u16_sdwa s73, v6, v117 src0_sel:BYTE_0 src1_sel:DWORD
	s_mov_b32 s23, -1
	s_and_saveexec_b32 s72, s73
; %bb.13643:                            ;   in Loop: Header=BB6_12577 Depth=3
	s_xor_b32 s23, exec_lo, -1
; %bb.13644:                            ;   in Loop: Header=BB6_12577 Depth=3
	s_or_b32 exec_lo, exec_lo, s72
	s_and_b32 s23, s23, exec_lo
	s_or_saveexec_b32 s16, s16
	v_mov_b32_e32 v7, 0x7f800001
	s_xor_b32 exec_lo, exec_lo, s16
	s_cbranch_execnz .LBB6_14920
.LBB6_13645:                            ;   in Loop: Header=BB6_12577 Depth=3
	s_or_b32 exec_lo, exec_lo, s16
	s_and_saveexec_b32 s16, s23
	s_cbranch_execz .LBB6_13647
.LBB6_13646:                            ;   in Loop: Header=BB6_12577 Depth=3
	v_and_b32_e32 v7, 3, v6
	v_bfe_u32 v36, v6, 2, 5
	v_ffbh_u32_e32 v37, v7
	v_cmp_eq_u32_e32 vcc_lo, 0, v36
	v_min_u32_e32 v37, 32, v37
	v_subrev_nc_u32_e32 v101, 29, v37
	v_sub_nc_u32_e32 v37, 30, v37
	v_lshlrev_b32_e32 v101, v101, v6
	v_cndmask_b32_e32 v36, v36, v37, vcc_lo
	v_lshlrev_b32_e32 v37, 24, v6
	v_and_b32_e32 v101, 3, v101
	v_lshl_add_u32 v36, v36, 23, 0x37800000
	v_and_b32_e32 v37, 0x80000000, v37
	v_cndmask_b32_e32 v7, v7, v101, vcc_lo
	v_lshlrev_b32_e32 v7, 21, v7
	v_or3_b32 v7, v37, v36, v7
.LBB6_13647:                            ;   in Loop: Header=BB6_12577 Depth=3
	s_or_b32 exec_lo, exec_lo, s16
	v_cmp_gt_i16_sdwa s16, v22, v116 src0_sel:BYTE_0 src1_sel:DWORD
	s_mov_b32 s23, 0
	s_and_saveexec_b32 s72, s16
	s_xor_b32 s16, exec_lo, s72
	s_cbranch_execz .LBB6_14921
; %bb.13648:                            ;   in Loop: Header=BB6_12577 Depth=3
	v_cmp_eq_u16_sdwa s73, v22, v117 src0_sel:BYTE_0 src1_sel:DWORD
	s_mov_b32 s23, -1
	s_and_saveexec_b32 s72, s73
; %bb.13649:                            ;   in Loop: Header=BB6_12577 Depth=3
	s_xor_b32 s23, exec_lo, -1
; %bb.13650:                            ;   in Loop: Header=BB6_12577 Depth=3
	s_or_b32 exec_lo, exec_lo, s72
	s_and_b32 s23, s23, exec_lo
	s_or_saveexec_b32 s16, s16
	v_mov_b32_e32 v36, 0x7f800001
	s_xor_b32 exec_lo, exec_lo, s16
	s_cbranch_execnz .LBB6_14922
.LBB6_13651:                            ;   in Loop: Header=BB6_12577 Depth=3
	s_or_b32 exec_lo, exec_lo, s16
	s_and_saveexec_b32 s16, s23
	s_cbranch_execz .LBB6_13653
.LBB6_13652:                            ;   in Loop: Header=BB6_12577 Depth=3
	v_and_b32_e32 v36, 3, v22
	v_bfe_u32 v37, v22, 2, 5
	v_ffbh_u32_e32 v101, v36
	v_cmp_eq_u32_e32 vcc_lo, 0, v37
	v_min_u32_e32 v101, 32, v101
	v_subrev_nc_u32_e32 v115, 29, v101
	v_sub_nc_u32_e32 v101, 30, v101
	v_lshlrev_b32_e32 v115, v115, v22
	v_cndmask_b32_e32 v37, v37, v101, vcc_lo
	v_lshlrev_b32_e32 v101, 24, v22
	v_and_b32_e32 v115, 3, v115
	v_lshl_add_u32 v37, v37, 23, 0x37800000
	v_and_b32_e32 v101, 0x80000000, v101
	v_cndmask_b32_e32 v36, v36, v115, vcc_lo
	v_lshlrev_b32_e32 v36, 21, v36
	v_or3_b32 v36, v101, v37, v36
.LBB6_13653:                            ;   in Loop: Header=BB6_12577 Depth=3
	s_or_b32 exec_lo, exec_lo, s16
	v_add_f32_e32 v7, v7, v36
	v_mov_b32_e32 v121, 0x80
	s_mov_b32 s23, exec_lo
	v_and_b32_e32 v36, 0x7f800000, v7
	v_cmpx_ne_u32_e32 0x7f800000, v36
	s_cbranch_execz .LBB6_13661
; %bb.13654:                            ;   in Loop: Header=BB6_12577 Depth=3
	v_mov_b32_e32 v121, 0
	s_mov_b32 s72, exec_lo
	v_cmpx_ne_u32_e32 0, v7
	s_cbranch_execz .LBB6_13660
; %bb.13655:                            ;   in Loop: Header=BB6_12577 Depth=3
	v_bfe_u32 v37, v7, 23, 8
	v_and_b32_e32 v36, 0x7fffff, v7
	v_cmp_gt_u32_e64 s16, 0x71, v37
	v_sub_nc_u32_e32 v101, 0x70, v37
	v_cmp_eq_u32_e32 vcc_lo, 0, v37
	v_or_b32_e32 v115, 0x800000, v36
	v_cndmask_b32_e64 v101, 0, v101, s16
	v_cndmask_b32_e32 v36, v115, v36, vcc_lo
	v_cndmask_b32_e64 v101, v101, 0x6f, vcc_lo
	v_lshl_add_u32 v115, 0x200000, v101, -1
	v_lshlrev_b32_e64 v42, v101, 0x100000
	v_and_b32_e32 v115, v115, v36
	v_cmp_eq_u32_e64 s16, v115, v42
	v_lshrrev_b32_e32 v115, v101, v36
	v_add_nc_u32_e32 v36, 0xffffff91, v37
	v_lshrrev_b32_e32 v37, 23, v115
	v_cndmask_b32_e64 v36, v36, 0xffffff92, vcc_lo
	v_xor_b32_e32 v37, 1, v37
	v_add_nc_u32_e32 v36, v101, v36
	v_bfe_u32 v101, v115, 21, 1
	v_add_nc_u32_e32 v101, -1, v101
	v_cndmask_b32_e64 v101, 0, v101, s16
	s_mov_b32 s16, exec_lo
	v_add_nc_u32_e32 v101, v101, v115
	v_and_b32_e32 v101, 0x1fffff, v101
	v_add_nc_u32_e32 v101, v101, v115
                                        ; implicit-def: $vgpr115
	v_cmpx_ne_u32_e64 v36, v37
	s_xor_b32 s16, exec_lo, s16
; %bb.13656:                            ;   in Loop: Header=BB6_12577 Depth=3
	v_cmp_lt_u32_e32 vcc_lo, 0xffffff, v101
	v_sub_nc_u32_e32 v36, v36, v37
	v_cndmask_b32_e64 v37, 0, 1, vcc_lo
	v_add_co_ci_u32_e64 v115, null, 0, v36, vcc_lo
	v_lshrrev_b32_e32 v101, v37, v101
; %bb.13657:                            ;   in Loop: Header=BB6_12577 Depth=3
	s_andn2_saveexec_b32 s16, s16
; %bb.13658:                            ;   in Loop: Header=BB6_12577 Depth=3
	v_bfe_u32 v115, v101, 23, 1
; %bb.13659:                            ;   in Loop: Header=BB6_12577 Depth=3
	s_or_b32 exec_lo, exec_lo, s16
	v_lshrrev_b32_e32 v36, 21, v101
	v_min_i32_e32 v37, 31, v115
	v_cmp_gt_i32_e32 vcc_lo, 32, v115
	v_and_b32_sdwa v7, v7, v117 dst_sel:DWORD dst_unused:UNUSED_PAD src0_sel:BYTE_3 src1_sel:DWORD
	v_lshlrev_b32_e32 v37, 2, v37
	v_cndmask_b32_e32 v36, 3, v36, vcc_lo
	v_and_b32_e32 v37, 0xfc, v37
	v_or_b32_e32 v101, v115, v36
	v_and_b32_e32 v36, 3, v36
	v_cmp_ne_u32_e32 vcc_lo, 0, v101
	v_or3_b32 v7, v37, v7, v36
	v_cndmask_b32_e32 v121, 0, v7, vcc_lo
.LBB6_13660:                            ;   in Loop: Header=BB6_12577 Depth=3
	s_or_b32 exec_lo, exec_lo, s72
.LBB6_13661:                            ;   in Loop: Header=BB6_12577 Depth=3
	s_or_b32 exec_lo, exec_lo, s23
	v_cmp_gt_i16_sdwa s16, v6, v116 src0_sel:BYTE_1 src1_sel:DWORD
	s_mov_b32 s23, 0
	s_and_saveexec_b32 s72, s16
	s_xor_b32 s16, exec_lo, s72
	s_cbranch_execz .LBB6_14923
; %bb.13662:                            ;   in Loop: Header=BB6_12577 Depth=3
	v_cmp_eq_u16_sdwa s73, v6, v117 src0_sel:BYTE_1 src1_sel:DWORD
	s_mov_b32 s23, -1
	s_and_saveexec_b32 s72, s73
; %bb.13663:                            ;   in Loop: Header=BB6_12577 Depth=3
	s_xor_b32 s23, exec_lo, -1
; %bb.13664:                            ;   in Loop: Header=BB6_12577 Depth=3
	s_or_b32 exec_lo, exec_lo, s72
	s_and_b32 s23, s23, exec_lo
	s_or_saveexec_b32 s16, s16
	v_mov_b32_e32 v7, 0x7f800001
	s_xor_b32 exec_lo, exec_lo, s16
	s_cbranch_execnz .LBB6_14924
.LBB6_13665:                            ;   in Loop: Header=BB6_12577 Depth=3
	s_or_b32 exec_lo, exec_lo, s16
	s_and_saveexec_b32 s16, s23
	s_cbranch_execz .LBB6_13667
.LBB6_13666:                            ;   in Loop: Header=BB6_12577 Depth=3
	v_and_b32_sdwa v7, v118, v6 dst_sel:DWORD dst_unused:UNUSED_PAD src0_sel:DWORD src1_sel:BYTE_1
	v_and_b32_e32 v36, 3, v7
	v_bfe_u32 v115, v7, 2, 5
	v_ffbh_u32_e32 v37, v36
	v_cmp_eq_u32_e32 vcc_lo, 0, v115
	v_min_u32_e32 v37, 32, v37
	v_subrev_nc_u32_e32 v101, 29, v37
	v_sub_nc_u32_e32 v37, 30, v37
	v_lshlrev_b32_e32 v7, v101, v7
	v_lshlrev_b32_sdwa v101, v119, v6 dst_sel:DWORD dst_unused:UNUSED_PAD src0_sel:DWORD src1_sel:BYTE_1
	v_cndmask_b32_e32 v37, v115, v37, vcc_lo
	v_and_b32_e32 v7, 3, v7
	v_lshl_add_u32 v37, v37, 23, 0x37800000
	v_cndmask_b32_e32 v7, v36, v7, vcc_lo
	v_and_b32_e32 v36, 0x80000000, v101
	v_lshlrev_b32_e32 v7, 21, v7
	v_or3_b32 v7, v36, v37, v7
.LBB6_13667:                            ;   in Loop: Header=BB6_12577 Depth=3
	s_or_b32 exec_lo, exec_lo, s16
	v_cmp_gt_i16_sdwa s16, v22, v116 src0_sel:BYTE_1 src1_sel:DWORD
	s_mov_b32 s23, 0
	s_and_saveexec_b32 s72, s16
	s_xor_b32 s16, exec_lo, s72
	s_cbranch_execz .LBB6_14925
; %bb.13668:                            ;   in Loop: Header=BB6_12577 Depth=3
	v_cmp_eq_u16_sdwa s73, v22, v117 src0_sel:BYTE_1 src1_sel:DWORD
	s_mov_b32 s23, -1
	s_and_saveexec_b32 s72, s73
; %bb.13669:                            ;   in Loop: Header=BB6_12577 Depth=3
	s_xor_b32 s23, exec_lo, -1
; %bb.13670:                            ;   in Loop: Header=BB6_12577 Depth=3
	s_or_b32 exec_lo, exec_lo, s72
	s_and_b32 s23, s23, exec_lo
	s_or_saveexec_b32 s16, s16
	v_mov_b32_e32 v36, 0x7f800001
	s_xor_b32 exec_lo, exec_lo, s16
	s_cbranch_execnz .LBB6_14926
.LBB6_13671:                            ;   in Loop: Header=BB6_12577 Depth=3
	s_or_b32 exec_lo, exec_lo, s16
	s_and_saveexec_b32 s16, s23
	s_cbranch_execz .LBB6_13673
.LBB6_13672:                            ;   in Loop: Header=BB6_12577 Depth=3
	v_and_b32_sdwa v36, v118, v22 dst_sel:DWORD dst_unused:UNUSED_PAD src0_sel:DWORD src1_sel:BYTE_1
	v_and_b32_e32 v37, 3, v36
	v_bfe_u32 v42, v36, 2, 5
	v_ffbh_u32_e32 v101, v37
	v_cmp_eq_u32_e32 vcc_lo, 0, v42
	v_min_u32_e32 v101, 32, v101
	v_subrev_nc_u32_e32 v115, 29, v101
	v_sub_nc_u32_e32 v101, 30, v101
	v_lshlrev_b32_e32 v36, v115, v36
	v_lshlrev_b32_sdwa v115, v119, v22 dst_sel:DWORD dst_unused:UNUSED_PAD src0_sel:DWORD src1_sel:BYTE_1
	v_cndmask_b32_e32 v101, v42, v101, vcc_lo
	v_and_b32_e32 v36, 3, v36
	v_lshl_add_u32 v101, v101, 23, 0x37800000
	v_cndmask_b32_e32 v36, v37, v36, vcc_lo
	v_and_b32_e32 v37, 0x80000000, v115
	v_lshlrev_b32_e32 v36, 21, v36
	v_or3_b32 v36, v37, v101, v36
.LBB6_13673:                            ;   in Loop: Header=BB6_12577 Depth=3
	s_or_b32 exec_lo, exec_lo, s16
	v_add_f32_e32 v7, v7, v36
	v_mov_b32_e32 v124, 0x8000
	s_mov_b32 s23, exec_lo
	v_and_b32_e32 v36, 0x7f800000, v7
	v_cmpx_ne_u32_e32 0x7f800000, v36
	s_cbranch_execz .LBB6_13681
; %bb.13674:                            ;   in Loop: Header=BB6_12577 Depth=3
	v_mov_b32_e32 v124, 0
	s_mov_b32 s72, exec_lo
	v_cmpx_ne_u32_e32 0, v7
	s_cbranch_execz .LBB6_13680
; %bb.13675:                            ;   in Loop: Header=BB6_12577 Depth=3
	v_bfe_u32 v37, v7, 23, 8
	v_and_b32_e32 v36, 0x7fffff, v7
	v_cmp_gt_u32_e64 s16, 0x71, v37
	v_sub_nc_u32_e32 v101, 0x70, v37
	v_cmp_eq_u32_e32 vcc_lo, 0, v37
	v_or_b32_e32 v115, 0x800000, v36
	v_cndmask_b32_e64 v101, 0, v101, s16
	v_cndmask_b32_e32 v36, v115, v36, vcc_lo
	v_cndmask_b32_e64 v101, v101, 0x6f, vcc_lo
	v_lshl_add_u32 v115, 0x200000, v101, -1
	v_lshlrev_b32_e64 v42, v101, 0x100000
	v_and_b32_e32 v115, v115, v36
	v_cmp_eq_u32_e64 s16, v115, v42
	v_lshrrev_b32_e32 v115, v101, v36
	v_add_nc_u32_e32 v36, 0xffffff91, v37
	v_lshrrev_b32_e32 v37, 23, v115
	v_cndmask_b32_e64 v36, v36, 0xffffff92, vcc_lo
	v_xor_b32_e32 v37, 1, v37
	v_add_nc_u32_e32 v36, v101, v36
	v_bfe_u32 v101, v115, 21, 1
	v_add_nc_u32_e32 v101, -1, v101
	v_cndmask_b32_e64 v101, 0, v101, s16
	s_mov_b32 s16, exec_lo
	v_add_nc_u32_e32 v101, v101, v115
	v_and_b32_e32 v101, 0x1fffff, v101
	v_add_nc_u32_e32 v101, v101, v115
                                        ; implicit-def: $vgpr115
	v_cmpx_ne_u32_e64 v36, v37
	s_xor_b32 s16, exec_lo, s16
; %bb.13676:                            ;   in Loop: Header=BB6_12577 Depth=3
	v_cmp_lt_u32_e32 vcc_lo, 0xffffff, v101
	v_sub_nc_u32_e32 v36, v36, v37
	v_cndmask_b32_e64 v37, 0, 1, vcc_lo
	v_add_co_ci_u32_e64 v115, null, 0, v36, vcc_lo
	v_lshrrev_b32_e32 v101, v37, v101
; %bb.13677:                            ;   in Loop: Header=BB6_12577 Depth=3
	s_andn2_saveexec_b32 s16, s16
; %bb.13678:                            ;   in Loop: Header=BB6_12577 Depth=3
	v_bfe_u32 v115, v101, 23, 1
; %bb.13679:                            ;   in Loop: Header=BB6_12577 Depth=3
	s_or_b32 exec_lo, exec_lo, s16
	v_lshrrev_b32_e32 v36, 21, v101
	v_min_i32_e32 v37, 31, v115
	v_cmp_gt_i32_e32 vcc_lo, 32, v115
	v_and_b32_sdwa v7, v7, v117 dst_sel:DWORD dst_unused:UNUSED_PAD src0_sel:BYTE_3 src1_sel:DWORD
	v_lshlrev_b32_e32 v37, 2, v37
	v_cndmask_b32_e32 v36, 3, v36, vcc_lo
	v_and_b32_e32 v37, 0xfc, v37
	v_or_b32_e32 v101, v115, v36
	v_and_b32_e32 v36, 3, v36
	v_cmp_ne_u32_e32 vcc_lo, 0, v101
	v_or3_b32 v7, v7, v37, v36
	v_lshlrev_b32_e32 v7, 8, v7
	v_cndmask_b32_e32 v124, 0, v7, vcc_lo
.LBB6_13680:                            ;   in Loop: Header=BB6_12577 Depth=3
	s_or_b32 exec_lo, exec_lo, s72
.LBB6_13681:                            ;   in Loop: Header=BB6_12577 Depth=3
	s_or_b32 exec_lo, exec_lo, s23
	v_or_b32_e32 v36, v74, v66
	s_mov_b32 s23, 0
	v_cmp_gt_i16_sdwa s16, v36, v116 src0_sel:BYTE_0 src1_sel:DWORD
	s_and_saveexec_b32 s72, s16
	s_xor_b32 s16, exec_lo, s72
	s_cbranch_execz .LBB6_14927
; %bb.13682:                            ;   in Loop: Header=BB6_12577 Depth=3
	v_cmp_eq_u16_sdwa s73, v36, v117 src0_sel:BYTE_0 src1_sel:DWORD
	s_mov_b32 s23, -1
	s_and_saveexec_b32 s72, s73
; %bb.13683:                            ;   in Loop: Header=BB6_12577 Depth=3
	s_xor_b32 s23, exec_lo, -1
; %bb.13684:                            ;   in Loop: Header=BB6_12577 Depth=3
	s_or_b32 exec_lo, exec_lo, s72
	s_and_b32 s23, s23, exec_lo
	s_or_saveexec_b32 s16, s16
	v_mov_b32_e32 v7, 0x7f800001
	s_xor_b32 exec_lo, exec_lo, s16
	s_cbranch_execnz .LBB6_14928
.LBB6_13685:                            ;   in Loop: Header=BB6_12577 Depth=3
	s_or_b32 exec_lo, exec_lo, s16
	v_lshl_or_b32 v6, v36, 16, v6
	s_and_saveexec_b32 s16, s23
	s_cbranch_execz .LBB6_13687
.LBB6_13686:                            ;   in Loop: Header=BB6_12577 Depth=3
	v_bfe_u32 v7, v6, 16, 2
	v_bfe_u32 v36, v6, 18, 5
	v_ffbh_u32_e32 v37, v7
	v_cmp_eq_u32_e32 vcc_lo, 0, v36
	v_min_u32_e32 v37, 32, v37
	v_subrev_nc_u32_e32 v66, 29, v37
	v_sub_nc_u32_e32 v37, 30, v37
	v_lshlrev_b32_sdwa v66, v66, v6 dst_sel:DWORD dst_unused:UNUSED_PAD src0_sel:DWORD src1_sel:WORD_1
	v_cndmask_b32_e32 v36, v36, v37, vcc_lo
	v_lshlrev_b32_e32 v37, 8, v6
	v_and_b32_e32 v66, 3, v66
	v_lshl_add_u32 v36, v36, 23, 0x37800000
	v_and_b32_e32 v37, 0x80000000, v37
	v_cndmask_b32_e32 v7, v7, v66, vcc_lo
	v_lshlrev_b32_e32 v7, 21, v7
	v_or3_b32 v7, v37, v36, v7
.LBB6_13687:                            ;   in Loop: Header=BB6_12577 Depth=3
	s_or_b32 exec_lo, exec_lo, s16
	v_and_b32_sdwa v37, v22, v40 dst_sel:DWORD dst_unused:UNUSED_PAD src0_sel:WORD_1 src1_sel:DWORD
	s_mov_b32 s23, 0
	s_mov_b32 s16, exec_lo
	v_cmpx_lt_i16_e32 0x7f, v37
	s_xor_b32 s16, exec_lo, s16
	s_cbranch_execz .LBB6_14929
; %bb.13688:                            ;   in Loop: Header=BB6_12577 Depth=3
	s_mov_b32 s23, -1
	s_mov_b32 s72, exec_lo
	v_cmpx_eq_u16_e32 0x80, v37
; %bb.13689:                            ;   in Loop: Header=BB6_12577 Depth=3
	s_xor_b32 s23, exec_lo, -1
; %bb.13690:                            ;   in Loop: Header=BB6_12577 Depth=3
	s_or_b32 exec_lo, exec_lo, s72
	s_and_b32 s23, s23, exec_lo
                                        ; implicit-def: $vgpr37
	s_or_saveexec_b32 s16, s16
	v_mov_b32_e32 v36, 0x7f800001
	s_xor_b32 exec_lo, exec_lo, s16
	s_cbranch_execnz .LBB6_14930
.LBB6_13691:                            ;   in Loop: Header=BB6_12577 Depth=3
	s_or_b32 exec_lo, exec_lo, s16
	s_and_saveexec_b32 s16, s23
	s_cbranch_execz .LBB6_13693
.LBB6_13692:                            ;   in Loop: Header=BB6_12577 Depth=3
	v_bfe_u32 v36, v22, 16, 2
	v_bfe_u32 v37, v22, 18, 5
	v_ffbh_u32_e32 v66, v36
	v_cmp_eq_u32_e32 vcc_lo, 0, v37
	v_min_u32_e32 v66, 32, v66
	v_subrev_nc_u32_e32 v101, 29, v66
	v_sub_nc_u32_e32 v66, 30, v66
	v_lshlrev_b32_sdwa v101, v101, v22 dst_sel:DWORD dst_unused:UNUSED_PAD src0_sel:DWORD src1_sel:WORD_1
	v_cndmask_b32_e32 v37, v37, v66, vcc_lo
	v_lshlrev_b32_e32 v66, 8, v22
	v_and_b32_e32 v101, 3, v101
	v_lshl_add_u32 v37, v37, 23, 0x37800000
	v_and_b32_e32 v66, 0x80000000, v66
	v_cndmask_b32_e32 v36, v36, v101, vcc_lo
	v_lshlrev_b32_e32 v36, 21, v36
	v_or3_b32 v36, v66, v37, v36
.LBB6_13693:                            ;   in Loop: Header=BB6_12577 Depth=3
	s_or_b32 exec_lo, exec_lo, s16
	v_add_f32_e32 v7, v7, v36
	v_mov_b32_e32 v66, 0x80
	s_mov_b32 s23, exec_lo
	v_and_b32_e32 v36, 0x7f800000, v7
	v_cmpx_ne_u32_e32 0x7f800000, v36
	s_cbranch_execz .LBB6_13701
; %bb.13694:                            ;   in Loop: Header=BB6_12577 Depth=3
	v_mov_b32_e32 v66, 0
	s_mov_b32 s72, exec_lo
	v_cmpx_ne_u32_e32 0, v7
	s_cbranch_execz .LBB6_13700
; %bb.13695:                            ;   in Loop: Header=BB6_12577 Depth=3
	v_bfe_u32 v37, v7, 23, 8
	v_and_b32_e32 v36, 0x7fffff, v7
	v_cmp_gt_u32_e64 s16, 0x71, v37
	v_sub_nc_u32_e32 v66, 0x70, v37
	v_cmp_eq_u32_e32 vcc_lo, 0, v37
	v_or_b32_e32 v101, 0x800000, v36
	v_cndmask_b32_e64 v66, 0, v66, s16
	v_cndmask_b32_e32 v36, v101, v36, vcc_lo
	v_cndmask_b32_e64 v66, v66, 0x6f, vcc_lo
	v_lshl_add_u32 v101, 0x200000, v66, -1
	v_lshlrev_b32_e64 v115, v66, 0x100000
	v_and_b32_e32 v101, v101, v36
	v_cmp_eq_u32_e64 s16, v101, v115
	v_lshrrev_b32_e32 v101, v66, v36
	v_add_nc_u32_e32 v36, 0xffffff91, v37
	v_lshrrev_b32_e32 v37, 23, v101
	v_cndmask_b32_e64 v36, v36, 0xffffff92, vcc_lo
	v_xor_b32_e32 v37, 1, v37
	v_add_nc_u32_e32 v36, v66, v36
	v_bfe_u32 v66, v101, 21, 1
	v_add_nc_u32_e32 v66, -1, v66
	v_cndmask_b32_e64 v66, 0, v66, s16
	s_mov_b32 s16, exec_lo
	v_add_nc_u32_e32 v66, v66, v101
	v_and_b32_e32 v66, 0x1fffff, v66
	v_add_nc_u32_e32 v66, v66, v101
                                        ; implicit-def: $vgpr101
	v_cmpx_ne_u32_e64 v36, v37
	s_xor_b32 s16, exec_lo, s16
; %bb.13696:                            ;   in Loop: Header=BB6_12577 Depth=3
	v_cmp_lt_u32_e32 vcc_lo, 0xffffff, v66
	v_sub_nc_u32_e32 v36, v36, v37
	v_cndmask_b32_e64 v37, 0, 1, vcc_lo
	v_add_co_ci_u32_e64 v101, null, 0, v36, vcc_lo
	v_lshrrev_b32_e32 v66, v37, v66
; %bb.13697:                            ;   in Loop: Header=BB6_12577 Depth=3
	s_andn2_saveexec_b32 s16, s16
; %bb.13698:                            ;   in Loop: Header=BB6_12577 Depth=3
	v_bfe_u32 v101, v66, 23, 1
; %bb.13699:                            ;   in Loop: Header=BB6_12577 Depth=3
	s_or_b32 exec_lo, exec_lo, s16
	v_lshrrev_b32_e32 v36, 21, v66
	v_min_i32_e32 v37, 31, v101
	v_cmp_gt_i32_e32 vcc_lo, 32, v101
	v_and_b32_sdwa v7, v7, v117 dst_sel:DWORD dst_unused:UNUSED_PAD src0_sel:BYTE_3 src1_sel:DWORD
	v_lshlrev_b32_e32 v37, 2, v37
	v_cndmask_b32_e32 v36, 3, v36, vcc_lo
	v_and_b32_e32 v37, 0xfc, v37
	v_or_b32_e32 v66, v101, v36
	v_and_b32_e32 v36, 3, v36
	v_cmp_ne_u32_e32 vcc_lo, 0, v66
	v_or3_b32 v7, v37, v7, v36
	v_cndmask_b32_e32 v66, 0, v7, vcc_lo
.LBB6_13700:                            ;   in Loop: Header=BB6_12577 Depth=3
	s_or_b32 exec_lo, exec_lo, s72
.LBB6_13701:                            ;   in Loop: Header=BB6_12577 Depth=3
	s_or_b32 exec_lo, exec_lo, s23
	v_cmp_gt_i16_sdwa s16, v6, v116 src0_sel:BYTE_3 src1_sel:DWORD
	s_mov_b32 s23, 0
	s_and_saveexec_b32 s72, s16
	s_xor_b32 s16, exec_lo, s72
	s_cbranch_execz .LBB6_14931
; %bb.13702:                            ;   in Loop: Header=BB6_12577 Depth=3
	v_cmp_eq_u16_sdwa s73, v6, v117 src0_sel:BYTE_3 src1_sel:DWORD
	s_mov_b32 s23, -1
	s_and_saveexec_b32 s72, s73
; %bb.13703:                            ;   in Loop: Header=BB6_12577 Depth=3
	s_xor_b32 s23, exec_lo, -1
; %bb.13704:                            ;   in Loop: Header=BB6_12577 Depth=3
	s_or_b32 exec_lo, exec_lo, s72
	s_and_b32 s23, s23, exec_lo
	s_or_saveexec_b32 s16, s16
	v_mov_b32_e32 v7, 0x7f800001
	s_xor_b32 exec_lo, exec_lo, s16
	s_cbranch_execnz .LBB6_14932
.LBB6_13705:                            ;   in Loop: Header=BB6_12577 Depth=3
	s_or_b32 exec_lo, exec_lo, s16
	s_and_saveexec_b32 s16, s23
	s_cbranch_execz .LBB6_13707
.LBB6_13706:                            ;   in Loop: Header=BB6_12577 Depth=3
	v_bfe_u32 v7, v6, 24, 2
	v_bfe_u32 v101, v6, 26, 5
	v_ffbh_u32_e32 v36, v7
	v_cmp_eq_u32_e32 vcc_lo, 0, v101
	v_min_u32_e32 v36, 32, v36
	v_subrev_nc_u32_e32 v37, 29, v36
	v_sub_nc_u32_e32 v36, 30, v36
	v_lshlrev_b32_sdwa v37, v37, v6 dst_sel:DWORD dst_unused:UNUSED_PAD src0_sel:DWORD src1_sel:BYTE_3
	v_cndmask_b32_e32 v36, v101, v36, vcc_lo
	v_and_b32_e32 v6, 0x80000000, v6
	v_and_b32_e32 v37, 3, v37
	v_lshl_add_u32 v36, v36, 23, 0x37800000
	v_cndmask_b32_e32 v7, v7, v37, vcc_lo
	v_lshlrev_b32_e32 v7, 21, v7
	v_or3_b32 v7, v6, v36, v7
.LBB6_13707:                            ;   in Loop: Header=BB6_12577 Depth=3
	s_or_b32 exec_lo, exec_lo, s16
	v_cmp_gt_i16_sdwa s16, v22, v116 src0_sel:BYTE_3 src1_sel:DWORD
	s_mov_b32 s23, 0
	s_and_saveexec_b32 s72, s16
	s_xor_b32 s16, exec_lo, s72
	s_cbranch_execz .LBB6_14933
; %bb.13708:                            ;   in Loop: Header=BB6_12577 Depth=3
	v_cmp_eq_u16_sdwa s73, v22, v117 src0_sel:BYTE_3 src1_sel:DWORD
	s_mov_b32 s23, -1
	s_and_saveexec_b32 s72, s73
; %bb.13709:                            ;   in Loop: Header=BB6_12577 Depth=3
	s_xor_b32 s23, exec_lo, -1
; %bb.13710:                            ;   in Loop: Header=BB6_12577 Depth=3
	s_or_b32 exec_lo, exec_lo, s72
	s_and_b32 s23, s23, exec_lo
	s_or_saveexec_b32 s16, s16
	v_mov_b32_e32 v6, 0x7f800001
	s_xor_b32 exec_lo, exec_lo, s16
	s_cbranch_execnz .LBB6_14934
.LBB6_13711:                            ;   in Loop: Header=BB6_12577 Depth=3
	s_or_b32 exec_lo, exec_lo, s16
	s_and_saveexec_b32 s16, s23
	s_cbranch_execz .LBB6_13713
.LBB6_13712:                            ;   in Loop: Header=BB6_12577 Depth=3
	v_bfe_u32 v6, v22, 24, 2
	v_bfe_u32 v101, v22, 26, 5
	v_ffbh_u32_e32 v36, v6
	v_cmp_eq_u32_e32 vcc_lo, 0, v101
	v_min_u32_e32 v36, 32, v36
	v_subrev_nc_u32_e32 v37, 29, v36
	v_sub_nc_u32_e32 v36, 30, v36
	v_lshlrev_b32_sdwa v37, v37, v22 dst_sel:DWORD dst_unused:UNUSED_PAD src0_sel:DWORD src1_sel:BYTE_3
	v_cndmask_b32_e32 v36, v101, v36, vcc_lo
	v_and_b32_e32 v22, 0x80000000, v22
	v_and_b32_e32 v37, 3, v37
	v_lshl_add_u32 v36, v36, 23, 0x37800000
	v_cndmask_b32_e32 v6, v6, v37, vcc_lo
	v_lshlrev_b32_e32 v6, 21, v6
	v_or3_b32 v6, v22, v36, v6
.LBB6_13713:                            ;   in Loop: Header=BB6_12577 Depth=3
	s_or_b32 exec_lo, exec_lo, s16
	v_add_f32_e32 v6, v7, v6
	v_mov_b32_e32 v22, 0x8000
	s_mov_b32 s23, exec_lo
	v_and_b32_e32 v7, 0x7f800000, v6
	v_cmpx_ne_u32_e32 0x7f800000, v7
	s_cbranch_execz .LBB6_13721
; %bb.13714:                            ;   in Loop: Header=BB6_12577 Depth=3
	v_mov_b32_e32 v22, 0
	s_mov_b32 s72, exec_lo
	v_cmpx_ne_u32_e32 0, v6
	s_cbranch_execz .LBB6_13720
; %bb.13715:                            ;   in Loop: Header=BB6_12577 Depth=3
	v_bfe_u32 v22, v6, 23, 8
	v_and_b32_e32 v7, 0x7fffff, v6
	v_cmp_gt_u32_e64 s16, 0x71, v22
	v_sub_nc_u32_e32 v36, 0x70, v22
	v_cmp_eq_u32_e32 vcc_lo, 0, v22
	v_or_b32_e32 v37, 0x800000, v7
	v_cndmask_b32_e64 v36, 0, v36, s16
	v_cndmask_b32_e32 v7, v37, v7, vcc_lo
	v_cndmask_b32_e64 v36, v36, 0x6f, vcc_lo
	v_lshl_add_u32 v37, 0x200000, v36, -1
	v_lshlrev_b32_e64 v101, v36, 0x100000
	v_and_b32_e32 v37, v37, v7
	v_cmp_eq_u32_e64 s16, v37, v101
	v_lshrrev_b32_e32 v37, v36, v7
	v_add_nc_u32_e32 v7, 0xffffff91, v22
	v_lshrrev_b32_e32 v22, 23, v37
	v_cndmask_b32_e64 v7, v7, 0xffffff92, vcc_lo
	v_xor_b32_e32 v22, 1, v22
	v_add_nc_u32_e32 v7, v36, v7
	v_bfe_u32 v36, v37, 21, 1
	v_add_nc_u32_e32 v36, -1, v36
	v_cndmask_b32_e64 v36, 0, v36, s16
	s_mov_b32 s16, exec_lo
	v_add_nc_u32_e32 v36, v36, v37
	v_and_b32_e32 v36, 0x1fffff, v36
	v_add_nc_u32_e32 v36, v36, v37
                                        ; implicit-def: $vgpr37
	v_cmpx_ne_u32_e64 v7, v22
	s_xor_b32 s16, exec_lo, s16
; %bb.13716:                            ;   in Loop: Header=BB6_12577 Depth=3
	v_cmp_lt_u32_e32 vcc_lo, 0xffffff, v36
	v_sub_nc_u32_e32 v7, v7, v22
	v_cndmask_b32_e64 v22, 0, 1, vcc_lo
	v_add_co_ci_u32_e64 v37, null, 0, v7, vcc_lo
	v_lshrrev_b32_e32 v36, v22, v36
; %bb.13717:                            ;   in Loop: Header=BB6_12577 Depth=3
	s_andn2_saveexec_b32 s16, s16
; %bb.13718:                            ;   in Loop: Header=BB6_12577 Depth=3
	v_bfe_u32 v37, v36, 23, 1
; %bb.13719:                            ;   in Loop: Header=BB6_12577 Depth=3
	s_or_b32 exec_lo, exec_lo, s16
	v_lshrrev_b32_e32 v7, 21, v36
	v_min_i32_e32 v22, 31, v37
	v_cmp_gt_i32_e32 vcc_lo, 32, v37
	v_and_b32_sdwa v6, v6, v117 dst_sel:DWORD dst_unused:UNUSED_PAD src0_sel:BYTE_3 src1_sel:DWORD
	v_lshlrev_b32_e32 v22, 2, v22
	v_cndmask_b32_e32 v7, 3, v7, vcc_lo
	v_and_b32_e32 v22, 0xfc, v22
	v_or_b32_e32 v36, v37, v7
	v_and_b32_e32 v7, 3, v7
	v_cmp_ne_u32_e32 vcc_lo, 0, v36
	v_or3_b32 v6, v6, v22, v7
	v_lshlrev_b32_e32 v6, 8, v6
	v_cndmask_b32_e32 v22, 0, v6, vcc_lo
.LBB6_13720:                            ;   in Loop: Header=BB6_12577 Depth=3
	s_or_b32 exec_lo, exec_lo, s72
.LBB6_13721:                            ;   in Loop: Header=BB6_12577 Depth=3
	s_or_b32 exec_lo, exec_lo, s23
	v_or_b32_e32 v6, v62, v102
	s_mov_b32 s23, 0
	v_cmp_gt_i16_sdwa s16, v6, v116 src0_sel:BYTE_0 src1_sel:DWORD
	s_and_saveexec_b32 s72, s16
	s_xor_b32 s16, exec_lo, s72
	s_cbranch_execz .LBB6_14935
; %bb.13722:                            ;   in Loop: Header=BB6_12577 Depth=3
	v_cmp_eq_u16_sdwa s73, v6, v117 src0_sel:BYTE_0 src1_sel:DWORD
	s_mov_b32 s23, -1
	s_and_saveexec_b32 s72, s73
; %bb.13723:                            ;   in Loop: Header=BB6_12577 Depth=3
	s_xor_b32 s23, exec_lo, -1
; %bb.13724:                            ;   in Loop: Header=BB6_12577 Depth=3
	s_or_b32 exec_lo, exec_lo, s72
	s_and_b32 s23, s23, exec_lo
	s_or_saveexec_b32 s16, s16
	v_mov_b32_e32 v7, 0x7f800001
	s_xor_b32 exec_lo, exec_lo, s16
	s_cbranch_execnz .LBB6_14936
.LBB6_13725:                            ;   in Loop: Header=BB6_12577 Depth=3
	s_or_b32 exec_lo, exec_lo, s16
	s_and_saveexec_b32 s16, s23
	s_cbranch_execz .LBB6_13727
.LBB6_13726:                            ;   in Loop: Header=BB6_12577 Depth=3
	v_and_b32_e32 v7, 3, v6
	v_bfe_u32 v36, v6, 2, 5
	v_ffbh_u32_e32 v37, v7
	v_cmp_eq_u32_e32 vcc_lo, 0, v36
	v_min_u32_e32 v37, 32, v37
	v_subrev_nc_u32_e32 v101, 29, v37
	v_sub_nc_u32_e32 v37, 30, v37
	v_lshlrev_b32_e32 v101, v101, v6
	v_cndmask_b32_e32 v36, v36, v37, vcc_lo
	v_lshlrev_b32_e32 v37, 24, v6
	v_and_b32_e32 v101, 3, v101
	v_lshl_add_u32 v36, v36, 23, 0x37800000
	v_and_b32_e32 v37, 0x80000000, v37
	v_cndmask_b32_e32 v7, v7, v101, vcc_lo
	v_lshlrev_b32_e32 v7, 21, v7
	v_or3_b32 v7, v37, v36, v7
.LBB6_13727:                            ;   in Loop: Header=BB6_12577 Depth=3
	s_or_b32 exec_lo, exec_lo, s16
	v_cmp_gt_i16_sdwa s16, v23, v116 src0_sel:BYTE_0 src1_sel:DWORD
	s_mov_b32 s23, 0
	s_and_saveexec_b32 s72, s16
	s_xor_b32 s16, exec_lo, s72
	s_cbranch_execz .LBB6_14937
; %bb.13728:                            ;   in Loop: Header=BB6_12577 Depth=3
	v_cmp_eq_u16_sdwa s73, v23, v117 src0_sel:BYTE_0 src1_sel:DWORD
	s_mov_b32 s23, -1
	s_and_saveexec_b32 s72, s73
; %bb.13729:                            ;   in Loop: Header=BB6_12577 Depth=3
	s_xor_b32 s23, exec_lo, -1
; %bb.13730:                            ;   in Loop: Header=BB6_12577 Depth=3
	s_or_b32 exec_lo, exec_lo, s72
	s_and_b32 s23, s23, exec_lo
	s_or_saveexec_b32 s16, s16
	v_mov_b32_e32 v36, 0x7f800001
	s_xor_b32 exec_lo, exec_lo, s16
	s_cbranch_execnz .LBB6_14938
.LBB6_13731:                            ;   in Loop: Header=BB6_12577 Depth=3
	s_or_b32 exec_lo, exec_lo, s16
	s_and_saveexec_b32 s16, s23
	s_cbranch_execz .LBB6_13733
.LBB6_13732:                            ;   in Loop: Header=BB6_12577 Depth=3
	v_and_b32_e32 v36, 3, v23
	v_bfe_u32 v37, v23, 2, 5
	v_ffbh_u32_e32 v101, v36
	v_cmp_eq_u32_e32 vcc_lo, 0, v37
	v_min_u32_e32 v101, 32, v101
	v_subrev_nc_u32_e32 v102, 29, v101
	v_sub_nc_u32_e32 v101, 30, v101
	v_lshlrev_b32_e32 v102, v102, v23
	v_cndmask_b32_e32 v37, v37, v101, vcc_lo
	v_lshlrev_b32_e32 v101, 24, v23
	v_and_b32_e32 v102, 3, v102
	v_lshl_add_u32 v37, v37, 23, 0x37800000
	v_and_b32_e32 v101, 0x80000000, v101
	v_cndmask_b32_e32 v36, v36, v102, vcc_lo
	v_lshlrev_b32_e32 v36, 21, v36
	v_or3_b32 v36, v101, v37, v36
.LBB6_13733:                            ;   in Loop: Header=BB6_12577 Depth=3
	s_or_b32 exec_lo, exec_lo, s16
	v_add_f32_e32 v7, v7, v36
	v_mov_b32_e32 v102, 0x80
	s_mov_b32 s23, exec_lo
	v_and_b32_e32 v36, 0x7f800000, v7
	v_cmpx_ne_u32_e32 0x7f800000, v36
	s_cbranch_execz .LBB6_13741
; %bb.13734:                            ;   in Loop: Header=BB6_12577 Depth=3
	v_mov_b32_e32 v102, 0
	s_mov_b32 s72, exec_lo
	v_cmpx_ne_u32_e32 0, v7
	s_cbranch_execz .LBB6_13740
; %bb.13735:                            ;   in Loop: Header=BB6_12577 Depth=3
	v_bfe_u32 v37, v7, 23, 8
	v_and_b32_e32 v36, 0x7fffff, v7
	v_cmp_gt_u32_e64 s16, 0x71, v37
	v_sub_nc_u32_e32 v101, 0x70, v37
	v_cmp_eq_u32_e32 vcc_lo, 0, v37
	v_or_b32_e32 v102, 0x800000, v36
	v_cndmask_b32_e64 v101, 0, v101, s16
	v_cndmask_b32_e32 v36, v102, v36, vcc_lo
	v_cndmask_b32_e64 v101, v101, 0x6f, vcc_lo
	v_lshl_add_u32 v102, 0x200000, v101, -1
	v_lshlrev_b32_e64 v115, v101, 0x100000
	v_and_b32_e32 v102, v102, v36
	v_cmp_eq_u32_e64 s16, v102, v115
	v_lshrrev_b32_e32 v102, v101, v36
	v_add_nc_u32_e32 v36, 0xffffff91, v37
	v_lshrrev_b32_e32 v37, 23, v102
	v_cndmask_b32_e64 v36, v36, 0xffffff92, vcc_lo
	v_xor_b32_e32 v37, 1, v37
	v_add_nc_u32_e32 v36, v101, v36
	v_bfe_u32 v101, v102, 21, 1
	v_add_nc_u32_e32 v101, -1, v101
	v_cndmask_b32_e64 v101, 0, v101, s16
	s_mov_b32 s16, exec_lo
	v_add_nc_u32_e32 v101, v101, v102
	v_and_b32_e32 v101, 0x1fffff, v101
	v_add_nc_u32_e32 v101, v101, v102
                                        ; implicit-def: $vgpr102
	v_cmpx_ne_u32_e64 v36, v37
	s_xor_b32 s16, exec_lo, s16
; %bb.13736:                            ;   in Loop: Header=BB6_12577 Depth=3
	v_cmp_lt_u32_e32 vcc_lo, 0xffffff, v101
	v_sub_nc_u32_e32 v36, v36, v37
	v_cndmask_b32_e64 v37, 0, 1, vcc_lo
	v_add_co_ci_u32_e64 v102, null, 0, v36, vcc_lo
	v_lshrrev_b32_e32 v101, v37, v101
; %bb.13737:                            ;   in Loop: Header=BB6_12577 Depth=3
	s_andn2_saveexec_b32 s16, s16
; %bb.13738:                            ;   in Loop: Header=BB6_12577 Depth=3
	v_bfe_u32 v102, v101, 23, 1
; %bb.13739:                            ;   in Loop: Header=BB6_12577 Depth=3
	s_or_b32 exec_lo, exec_lo, s16
	v_lshrrev_b32_e32 v36, 21, v101
	v_min_i32_e32 v37, 31, v102
	v_cmp_gt_i32_e32 vcc_lo, 32, v102
	v_and_b32_sdwa v7, v7, v117 dst_sel:DWORD dst_unused:UNUSED_PAD src0_sel:BYTE_3 src1_sel:DWORD
	v_lshlrev_b32_e32 v37, 2, v37
	v_cndmask_b32_e32 v36, 3, v36, vcc_lo
	v_and_b32_e32 v37, 0xfc, v37
	v_or_b32_e32 v101, v102, v36
	v_and_b32_e32 v36, 3, v36
	v_cmp_ne_u32_e32 vcc_lo, 0, v101
	v_or3_b32 v7, v37, v7, v36
	v_cndmask_b32_e32 v102, 0, v7, vcc_lo
.LBB6_13740:                            ;   in Loop: Header=BB6_12577 Depth=3
	s_or_b32 exec_lo, exec_lo, s72
.LBB6_13741:                            ;   in Loop: Header=BB6_12577 Depth=3
	s_or_b32 exec_lo, exec_lo, s23
	v_cmp_gt_i16_sdwa s16, v6, v116 src0_sel:BYTE_1 src1_sel:DWORD
	s_mov_b32 s23, 0
	s_and_saveexec_b32 s72, s16
	s_xor_b32 s16, exec_lo, s72
	s_cbranch_execz .LBB6_14939
; %bb.13742:                            ;   in Loop: Header=BB6_12577 Depth=3
	v_cmp_eq_u16_sdwa s73, v6, v117 src0_sel:BYTE_1 src1_sel:DWORD
	s_mov_b32 s23, -1
	s_and_saveexec_b32 s72, s73
; %bb.13743:                            ;   in Loop: Header=BB6_12577 Depth=3
	s_xor_b32 s23, exec_lo, -1
; %bb.13744:                            ;   in Loop: Header=BB6_12577 Depth=3
	s_or_b32 exec_lo, exec_lo, s72
	s_and_b32 s23, s23, exec_lo
	s_or_saveexec_b32 s16, s16
	v_mov_b32_e32 v7, 0x7f800001
	s_xor_b32 exec_lo, exec_lo, s16
	s_cbranch_execnz .LBB6_14940
.LBB6_13745:                            ;   in Loop: Header=BB6_12577 Depth=3
	s_or_b32 exec_lo, exec_lo, s16
	s_and_saveexec_b32 s16, s23
	s_cbranch_execz .LBB6_13747
.LBB6_13746:                            ;   in Loop: Header=BB6_12577 Depth=3
	v_and_b32_sdwa v7, v118, v6 dst_sel:DWORD dst_unused:UNUSED_PAD src0_sel:DWORD src1_sel:BYTE_1
	v_and_b32_e32 v36, 3, v7
	v_bfe_u32 v115, v7, 2, 5
	v_ffbh_u32_e32 v37, v36
	v_cmp_eq_u32_e32 vcc_lo, 0, v115
	v_min_u32_e32 v37, 32, v37
	v_subrev_nc_u32_e32 v101, 29, v37
	v_sub_nc_u32_e32 v37, 30, v37
	v_lshlrev_b32_e32 v7, v101, v7
	v_lshlrev_b32_sdwa v101, v119, v6 dst_sel:DWORD dst_unused:UNUSED_PAD src0_sel:DWORD src1_sel:BYTE_1
	v_cndmask_b32_e32 v37, v115, v37, vcc_lo
	v_and_b32_e32 v7, 3, v7
	v_lshl_add_u32 v37, v37, 23, 0x37800000
	v_cndmask_b32_e32 v7, v36, v7, vcc_lo
	v_and_b32_e32 v36, 0x80000000, v101
	v_lshlrev_b32_e32 v7, 21, v7
	v_or3_b32 v7, v36, v37, v7
.LBB6_13747:                            ;   in Loop: Header=BB6_12577 Depth=3
	s_or_b32 exec_lo, exec_lo, s16
	v_cmp_gt_i16_sdwa s16, v23, v116 src0_sel:BYTE_1 src1_sel:DWORD
	s_mov_b32 s23, 0
	s_and_saveexec_b32 s72, s16
	s_xor_b32 s16, exec_lo, s72
	s_cbranch_execz .LBB6_14941
; %bb.13748:                            ;   in Loop: Header=BB6_12577 Depth=3
	v_cmp_eq_u16_sdwa s73, v23, v117 src0_sel:BYTE_1 src1_sel:DWORD
	s_mov_b32 s23, -1
	s_and_saveexec_b32 s72, s73
; %bb.13749:                            ;   in Loop: Header=BB6_12577 Depth=3
	s_xor_b32 s23, exec_lo, -1
; %bb.13750:                            ;   in Loop: Header=BB6_12577 Depth=3
	s_or_b32 exec_lo, exec_lo, s72
	s_and_b32 s23, s23, exec_lo
	s_or_saveexec_b32 s16, s16
	v_mov_b32_e32 v36, 0x7f800001
	s_xor_b32 exec_lo, exec_lo, s16
	s_cbranch_execnz .LBB6_14942
.LBB6_13751:                            ;   in Loop: Header=BB6_12577 Depth=3
	s_or_b32 exec_lo, exec_lo, s16
	s_and_saveexec_b32 s16, s23
	s_cbranch_execz .LBB6_13753
.LBB6_13752:                            ;   in Loop: Header=BB6_12577 Depth=3
	v_and_b32_sdwa v36, v118, v23 dst_sel:DWORD dst_unused:UNUSED_PAD src0_sel:DWORD src1_sel:BYTE_1
	v_and_b32_e32 v37, 3, v36
	v_bfe_u32 v42, v36, 2, 5
	v_ffbh_u32_e32 v101, v37
	v_cmp_eq_u32_e32 vcc_lo, 0, v42
	v_min_u32_e32 v101, 32, v101
	v_subrev_nc_u32_e32 v115, 29, v101
	v_sub_nc_u32_e32 v101, 30, v101
	v_lshlrev_b32_e32 v36, v115, v36
	v_lshlrev_b32_sdwa v115, v119, v23 dst_sel:DWORD dst_unused:UNUSED_PAD src0_sel:DWORD src1_sel:BYTE_1
	v_cndmask_b32_e32 v101, v42, v101, vcc_lo
	v_and_b32_e32 v36, 3, v36
	v_lshl_add_u32 v101, v101, 23, 0x37800000
	v_cndmask_b32_e32 v36, v37, v36, vcc_lo
	v_and_b32_e32 v37, 0x80000000, v115
	v_lshlrev_b32_e32 v36, 21, v36
	v_or3_b32 v36, v37, v101, v36
.LBB6_13753:                            ;   in Loop: Header=BB6_12577 Depth=3
	s_or_b32 exec_lo, exec_lo, s16
	v_add_f32_e32 v7, v7, v36
	v_mov_b32_e32 v74, 0x8000
	s_mov_b32 s23, exec_lo
	v_and_b32_e32 v36, 0x7f800000, v7
	v_cmpx_ne_u32_e32 0x7f800000, v36
	s_cbranch_execz .LBB6_13761
; %bb.13754:                            ;   in Loop: Header=BB6_12577 Depth=3
	v_mov_b32_e32 v74, 0
	s_mov_b32 s72, exec_lo
	v_cmpx_ne_u32_e32 0, v7
	s_cbranch_execz .LBB6_13760
; %bb.13755:                            ;   in Loop: Header=BB6_12577 Depth=3
	v_bfe_u32 v37, v7, 23, 8
	v_and_b32_e32 v36, 0x7fffff, v7
	v_cmp_gt_u32_e64 s16, 0x71, v37
	v_sub_nc_u32_e32 v101, 0x70, v37
	v_cmp_eq_u32_e32 vcc_lo, 0, v37
	v_or_b32_e32 v115, 0x800000, v36
	v_cndmask_b32_e64 v101, 0, v101, s16
	v_cndmask_b32_e32 v36, v115, v36, vcc_lo
	v_cndmask_b32_e64 v101, v101, 0x6f, vcc_lo
	v_lshl_add_u32 v115, 0x200000, v101, -1
	v_lshlrev_b32_e64 v42, v101, 0x100000
	v_and_b32_e32 v115, v115, v36
	v_cmp_eq_u32_e64 s16, v115, v42
	v_lshrrev_b32_e32 v115, v101, v36
	v_add_nc_u32_e32 v36, 0xffffff91, v37
	v_lshrrev_b32_e32 v37, 23, v115
	v_cndmask_b32_e64 v36, v36, 0xffffff92, vcc_lo
	v_xor_b32_e32 v37, 1, v37
	v_add_nc_u32_e32 v36, v101, v36
	v_bfe_u32 v101, v115, 21, 1
	v_add_nc_u32_e32 v101, -1, v101
	v_cndmask_b32_e64 v101, 0, v101, s16
	s_mov_b32 s16, exec_lo
	v_add_nc_u32_e32 v101, v101, v115
	v_and_b32_e32 v101, 0x1fffff, v101
	v_add_nc_u32_e32 v101, v101, v115
                                        ; implicit-def: $vgpr115
	v_cmpx_ne_u32_e64 v36, v37
	s_xor_b32 s16, exec_lo, s16
; %bb.13756:                            ;   in Loop: Header=BB6_12577 Depth=3
	v_cmp_lt_u32_e32 vcc_lo, 0xffffff, v101
	v_sub_nc_u32_e32 v36, v36, v37
	v_cndmask_b32_e64 v37, 0, 1, vcc_lo
	v_add_co_ci_u32_e64 v115, null, 0, v36, vcc_lo
	v_lshrrev_b32_e32 v101, v37, v101
; %bb.13757:                            ;   in Loop: Header=BB6_12577 Depth=3
	s_andn2_saveexec_b32 s16, s16
; %bb.13758:                            ;   in Loop: Header=BB6_12577 Depth=3
	v_bfe_u32 v115, v101, 23, 1
; %bb.13759:                            ;   in Loop: Header=BB6_12577 Depth=3
	s_or_b32 exec_lo, exec_lo, s16
	v_lshrrev_b32_e32 v36, 21, v101
	v_min_i32_e32 v37, 31, v115
	v_cmp_gt_i32_e32 vcc_lo, 32, v115
	v_and_b32_sdwa v7, v7, v117 dst_sel:DWORD dst_unused:UNUSED_PAD src0_sel:BYTE_3 src1_sel:DWORD
	v_lshlrev_b32_e32 v37, 2, v37
	v_cndmask_b32_e32 v36, 3, v36, vcc_lo
	v_and_b32_e32 v37, 0xfc, v37
	v_or_b32_e32 v101, v115, v36
	v_and_b32_e32 v36, 3, v36
	v_cmp_ne_u32_e32 vcc_lo, 0, v101
	v_or3_b32 v7, v7, v37, v36
	v_lshlrev_b32_e32 v7, 8, v7
	v_cndmask_b32_e32 v74, 0, v7, vcc_lo
.LBB6_13760:                            ;   in Loop: Header=BB6_12577 Depth=3
	s_or_b32 exec_lo, exec_lo, s72
.LBB6_13761:                            ;   in Loop: Header=BB6_12577 Depth=3
	s_or_b32 exec_lo, exec_lo, s23
	v_or_b32_e32 v36, v61, v56
	s_mov_b32 s23, 0
	v_cmp_gt_i16_sdwa s16, v36, v116 src0_sel:BYTE_0 src1_sel:DWORD
	s_and_saveexec_b32 s72, s16
	s_xor_b32 s16, exec_lo, s72
	s_cbranch_execz .LBB6_14943
; %bb.13762:                            ;   in Loop: Header=BB6_12577 Depth=3
	v_cmp_eq_u16_sdwa s73, v36, v117 src0_sel:BYTE_0 src1_sel:DWORD
	s_mov_b32 s23, -1
	s_and_saveexec_b32 s72, s73
; %bb.13763:                            ;   in Loop: Header=BB6_12577 Depth=3
	s_xor_b32 s23, exec_lo, -1
; %bb.13764:                            ;   in Loop: Header=BB6_12577 Depth=3
	s_or_b32 exec_lo, exec_lo, s72
	s_and_b32 s23, s23, exec_lo
	s_or_saveexec_b32 s16, s16
	v_mov_b32_e32 v7, 0x7f800001
	s_xor_b32 exec_lo, exec_lo, s16
	s_cbranch_execnz .LBB6_14944
.LBB6_13765:                            ;   in Loop: Header=BB6_12577 Depth=3
	s_or_b32 exec_lo, exec_lo, s16
	v_lshl_or_b32 v6, v36, 16, v6
	s_and_saveexec_b32 s16, s23
	s_cbranch_execz .LBB6_13767
.LBB6_13766:                            ;   in Loop: Header=BB6_12577 Depth=3
	v_bfe_u32 v7, v6, 16, 2
	v_bfe_u32 v36, v6, 18, 5
	v_ffbh_u32_e32 v37, v7
	v_cmp_eq_u32_e32 vcc_lo, 0, v36
	v_min_u32_e32 v37, 32, v37
	v_subrev_nc_u32_e32 v101, 29, v37
	v_sub_nc_u32_e32 v37, 30, v37
	v_lshlrev_b32_sdwa v101, v101, v6 dst_sel:DWORD dst_unused:UNUSED_PAD src0_sel:DWORD src1_sel:WORD_1
	v_cndmask_b32_e32 v36, v36, v37, vcc_lo
	v_lshlrev_b32_e32 v37, 8, v6
	v_and_b32_e32 v101, 3, v101
	v_lshl_add_u32 v36, v36, 23, 0x37800000
	v_and_b32_e32 v37, 0x80000000, v37
	v_cndmask_b32_e32 v7, v7, v101, vcc_lo
	v_lshlrev_b32_e32 v7, 21, v7
	v_or3_b32 v7, v37, v36, v7
.LBB6_13767:                            ;   in Loop: Header=BB6_12577 Depth=3
	s_or_b32 exec_lo, exec_lo, s16
	v_and_b32_sdwa v37, v23, v40 dst_sel:DWORD dst_unused:UNUSED_PAD src0_sel:WORD_1 src1_sel:DWORD
	s_mov_b32 s23, 0
	s_mov_b32 s16, exec_lo
	v_cmpx_lt_i16_e32 0x7f, v37
	s_xor_b32 s16, exec_lo, s16
	s_cbranch_execz .LBB6_14945
; %bb.13768:                            ;   in Loop: Header=BB6_12577 Depth=3
	s_mov_b32 s23, -1
	s_mov_b32 s72, exec_lo
	v_cmpx_eq_u16_e32 0x80, v37
; %bb.13769:                            ;   in Loop: Header=BB6_12577 Depth=3
	s_xor_b32 s23, exec_lo, -1
; %bb.13770:                            ;   in Loop: Header=BB6_12577 Depth=3
	s_or_b32 exec_lo, exec_lo, s72
	s_and_b32 s23, s23, exec_lo
                                        ; implicit-def: $vgpr37
	s_or_saveexec_b32 s16, s16
	v_mov_b32_e32 v36, 0x7f800001
	s_xor_b32 exec_lo, exec_lo, s16
	s_cbranch_execnz .LBB6_14946
.LBB6_13771:                            ;   in Loop: Header=BB6_12577 Depth=3
	s_or_b32 exec_lo, exec_lo, s16
	s_and_saveexec_b32 s16, s23
	s_cbranch_execz .LBB6_13773
.LBB6_13772:                            ;   in Loop: Header=BB6_12577 Depth=3
	v_bfe_u32 v36, v23, 16, 2
	v_bfe_u32 v37, v23, 18, 5
	v_ffbh_u32_e32 v101, v36
	v_cmp_eq_u32_e32 vcc_lo, 0, v37
	v_min_u32_e32 v101, 32, v101
	v_subrev_nc_u32_e32 v115, 29, v101
	v_sub_nc_u32_e32 v101, 30, v101
	v_lshlrev_b32_sdwa v115, v115, v23 dst_sel:DWORD dst_unused:UNUSED_PAD src0_sel:DWORD src1_sel:WORD_1
	v_cndmask_b32_e32 v37, v37, v101, vcc_lo
	v_lshlrev_b32_e32 v101, 8, v23
	v_and_b32_e32 v115, 3, v115
	v_lshl_add_u32 v37, v37, 23, 0x37800000
	v_and_b32_e32 v101, 0x80000000, v101
	v_cndmask_b32_e32 v36, v36, v115, vcc_lo
	v_lshlrev_b32_e32 v36, 21, v36
	v_or3_b32 v36, v101, v37, v36
.LBB6_13773:                            ;   in Loop: Header=BB6_12577 Depth=3
	s_or_b32 exec_lo, exec_lo, s16
	v_add_f32_e32 v7, v7, v36
	v_mov_b32_e32 v61, 0x80
	s_mov_b32 s23, exec_lo
	v_and_b32_e32 v36, 0x7f800000, v7
	v_cmpx_ne_u32_e32 0x7f800000, v36
	s_cbranch_execz .LBB6_13781
; %bb.13774:                            ;   in Loop: Header=BB6_12577 Depth=3
	v_mov_b32_e32 v61, 0
	s_mov_b32 s72, exec_lo
	v_cmpx_ne_u32_e32 0, v7
	s_cbranch_execz .LBB6_13780
; %bb.13775:                            ;   in Loop: Header=BB6_12577 Depth=3
	v_bfe_u32 v37, v7, 23, 8
	v_and_b32_e32 v36, 0x7fffff, v7
	v_cmp_gt_u32_e64 s16, 0x71, v37
	v_sub_nc_u32_e32 v101, 0x70, v37
	v_cmp_eq_u32_e32 vcc_lo, 0, v37
	v_or_b32_e32 v115, 0x800000, v36
	v_cndmask_b32_e64 v101, 0, v101, s16
	v_cndmask_b32_e32 v36, v115, v36, vcc_lo
	v_cndmask_b32_e64 v101, v101, 0x6f, vcc_lo
	v_lshl_add_u32 v115, 0x200000, v101, -1
	v_lshlrev_b32_e64 v42, v101, 0x100000
	v_and_b32_e32 v115, v115, v36
	v_cmp_eq_u32_e64 s16, v115, v42
	v_lshrrev_b32_e32 v115, v101, v36
	v_add_nc_u32_e32 v36, 0xffffff91, v37
	v_lshrrev_b32_e32 v37, 23, v115
	v_cndmask_b32_e64 v36, v36, 0xffffff92, vcc_lo
	v_xor_b32_e32 v37, 1, v37
	v_add_nc_u32_e32 v36, v101, v36
	v_bfe_u32 v101, v115, 21, 1
	v_add_nc_u32_e32 v101, -1, v101
	v_cndmask_b32_e64 v101, 0, v101, s16
	s_mov_b32 s16, exec_lo
	v_add_nc_u32_e32 v101, v101, v115
	v_and_b32_e32 v101, 0x1fffff, v101
	v_add_nc_u32_e32 v101, v101, v115
                                        ; implicit-def: $vgpr115
	v_cmpx_ne_u32_e64 v36, v37
	s_xor_b32 s16, exec_lo, s16
; %bb.13776:                            ;   in Loop: Header=BB6_12577 Depth=3
	v_cmp_lt_u32_e32 vcc_lo, 0xffffff, v101
	v_sub_nc_u32_e32 v36, v36, v37
	v_cndmask_b32_e64 v37, 0, 1, vcc_lo
	v_add_co_ci_u32_e64 v115, null, 0, v36, vcc_lo
	v_lshrrev_b32_e32 v101, v37, v101
; %bb.13777:                            ;   in Loop: Header=BB6_12577 Depth=3
	s_andn2_saveexec_b32 s16, s16
; %bb.13778:                            ;   in Loop: Header=BB6_12577 Depth=3
	v_bfe_u32 v115, v101, 23, 1
; %bb.13779:                            ;   in Loop: Header=BB6_12577 Depth=3
	s_or_b32 exec_lo, exec_lo, s16
	v_lshrrev_b32_e32 v36, 21, v101
	v_min_i32_e32 v37, 31, v115
	v_cmp_gt_i32_e32 vcc_lo, 32, v115
	v_and_b32_sdwa v7, v7, v117 dst_sel:DWORD dst_unused:UNUSED_PAD src0_sel:BYTE_3 src1_sel:DWORD
	v_lshlrev_b32_e32 v37, 2, v37
	v_cndmask_b32_e32 v36, 3, v36, vcc_lo
	v_and_b32_e32 v37, 0xfc, v37
	v_or_b32_e32 v101, v115, v36
	v_and_b32_e32 v36, 3, v36
	v_cmp_ne_u32_e32 vcc_lo, 0, v101
	v_or3_b32 v7, v37, v7, v36
	v_cndmask_b32_e32 v61, 0, v7, vcc_lo
.LBB6_13780:                            ;   in Loop: Header=BB6_12577 Depth=3
	s_or_b32 exec_lo, exec_lo, s72
.LBB6_13781:                            ;   in Loop: Header=BB6_12577 Depth=3
	s_or_b32 exec_lo, exec_lo, s23
	v_cmp_gt_i16_sdwa s16, v6, v116 src0_sel:BYTE_3 src1_sel:DWORD
	s_mov_b32 s23, 0
	s_and_saveexec_b32 s72, s16
	s_xor_b32 s16, exec_lo, s72
	s_cbranch_execz .LBB6_14947
; %bb.13782:                            ;   in Loop: Header=BB6_12577 Depth=3
	v_cmp_eq_u16_sdwa s73, v6, v117 src0_sel:BYTE_3 src1_sel:DWORD
	s_mov_b32 s23, -1
	s_and_saveexec_b32 s72, s73
; %bb.13783:                            ;   in Loop: Header=BB6_12577 Depth=3
	s_xor_b32 s23, exec_lo, -1
; %bb.13784:                            ;   in Loop: Header=BB6_12577 Depth=3
	s_or_b32 exec_lo, exec_lo, s72
	s_and_b32 s23, s23, exec_lo
	s_or_saveexec_b32 s16, s16
	v_mov_b32_e32 v7, 0x7f800001
	s_xor_b32 exec_lo, exec_lo, s16
	s_cbranch_execnz .LBB6_14948
.LBB6_13785:                            ;   in Loop: Header=BB6_12577 Depth=3
	s_or_b32 exec_lo, exec_lo, s16
	s_and_saveexec_b32 s16, s23
	s_cbranch_execz .LBB6_13787
.LBB6_13786:                            ;   in Loop: Header=BB6_12577 Depth=3
	v_bfe_u32 v7, v6, 24, 2
	v_bfe_u32 v101, v6, 26, 5
	v_ffbh_u32_e32 v36, v7
	v_cmp_eq_u32_e32 vcc_lo, 0, v101
	v_min_u32_e32 v36, 32, v36
	v_subrev_nc_u32_e32 v37, 29, v36
	v_sub_nc_u32_e32 v36, 30, v36
	v_lshlrev_b32_sdwa v37, v37, v6 dst_sel:DWORD dst_unused:UNUSED_PAD src0_sel:DWORD src1_sel:BYTE_3
	v_cndmask_b32_e32 v36, v101, v36, vcc_lo
	v_and_b32_e32 v6, 0x80000000, v6
	v_and_b32_e32 v37, 3, v37
	v_lshl_add_u32 v36, v36, 23, 0x37800000
	v_cndmask_b32_e32 v7, v7, v37, vcc_lo
	v_lshlrev_b32_e32 v7, 21, v7
	v_or3_b32 v7, v6, v36, v7
.LBB6_13787:                            ;   in Loop: Header=BB6_12577 Depth=3
	s_or_b32 exec_lo, exec_lo, s16
	v_cmp_gt_i16_sdwa s16, v23, v116 src0_sel:BYTE_3 src1_sel:DWORD
	s_mov_b32 s23, 0
	s_and_saveexec_b32 s72, s16
	s_xor_b32 s16, exec_lo, s72
	s_cbranch_execz .LBB6_14949
; %bb.13788:                            ;   in Loop: Header=BB6_12577 Depth=3
	v_cmp_eq_u16_sdwa s73, v23, v117 src0_sel:BYTE_3 src1_sel:DWORD
	s_mov_b32 s23, -1
	s_and_saveexec_b32 s72, s73
; %bb.13789:                            ;   in Loop: Header=BB6_12577 Depth=3
	s_xor_b32 s23, exec_lo, -1
; %bb.13790:                            ;   in Loop: Header=BB6_12577 Depth=3
	s_or_b32 exec_lo, exec_lo, s72
	s_and_b32 s23, s23, exec_lo
	s_or_saveexec_b32 s16, s16
	v_mov_b32_e32 v6, 0x7f800001
	s_xor_b32 exec_lo, exec_lo, s16
	s_cbranch_execnz .LBB6_14950
.LBB6_13791:                            ;   in Loop: Header=BB6_12577 Depth=3
	s_or_b32 exec_lo, exec_lo, s16
	s_and_saveexec_b32 s16, s23
	s_cbranch_execz .LBB6_13793
.LBB6_13792:                            ;   in Loop: Header=BB6_12577 Depth=3
	v_bfe_u32 v6, v23, 24, 2
	v_bfe_u32 v101, v23, 26, 5
	v_ffbh_u32_e32 v36, v6
	v_cmp_eq_u32_e32 vcc_lo, 0, v101
	v_min_u32_e32 v36, 32, v36
	v_subrev_nc_u32_e32 v37, 29, v36
	v_sub_nc_u32_e32 v36, 30, v36
	v_lshlrev_b32_sdwa v37, v37, v23 dst_sel:DWORD dst_unused:UNUSED_PAD src0_sel:DWORD src1_sel:BYTE_3
	v_cndmask_b32_e32 v36, v101, v36, vcc_lo
	v_and_b32_e32 v23, 0x80000000, v23
	v_and_b32_e32 v37, 3, v37
	v_lshl_add_u32 v36, v36, 23, 0x37800000
	v_cndmask_b32_e32 v6, v6, v37, vcc_lo
	v_lshlrev_b32_e32 v6, 21, v6
	v_or3_b32 v6, v23, v36, v6
.LBB6_13793:                            ;   in Loop: Header=BB6_12577 Depth=3
	s_or_b32 exec_lo, exec_lo, s16
	v_add_f32_e32 v6, v7, v6
	v_mov_b32_e32 v23, 0x8000
	s_mov_b32 s23, exec_lo
	v_and_b32_e32 v7, 0x7f800000, v6
	v_cmpx_ne_u32_e32 0x7f800000, v7
	s_cbranch_execz .LBB6_13801
; %bb.13794:                            ;   in Loop: Header=BB6_12577 Depth=3
	v_mov_b32_e32 v23, 0
	s_mov_b32 s72, exec_lo
	v_cmpx_ne_u32_e32 0, v6
	s_cbranch_execz .LBB6_13800
; %bb.13795:                            ;   in Loop: Header=BB6_12577 Depth=3
	v_bfe_u32 v23, v6, 23, 8
	v_and_b32_e32 v7, 0x7fffff, v6
	v_cmp_gt_u32_e64 s16, 0x71, v23
	v_sub_nc_u32_e32 v36, 0x70, v23
	v_cmp_eq_u32_e32 vcc_lo, 0, v23
	v_or_b32_e32 v37, 0x800000, v7
	v_cndmask_b32_e64 v36, 0, v36, s16
	v_cndmask_b32_e32 v7, v37, v7, vcc_lo
	v_cndmask_b32_e64 v36, v36, 0x6f, vcc_lo
	v_lshl_add_u32 v37, 0x200000, v36, -1
	v_lshlrev_b32_e64 v101, v36, 0x100000
	v_and_b32_e32 v37, v37, v7
	v_cmp_eq_u32_e64 s16, v37, v101
	v_lshrrev_b32_e32 v37, v36, v7
	v_add_nc_u32_e32 v7, 0xffffff91, v23
	v_lshrrev_b32_e32 v23, 23, v37
	v_cndmask_b32_e64 v7, v7, 0xffffff92, vcc_lo
	v_xor_b32_e32 v23, 1, v23
	v_add_nc_u32_e32 v7, v36, v7
	v_bfe_u32 v36, v37, 21, 1
	v_add_nc_u32_e32 v36, -1, v36
	v_cndmask_b32_e64 v36, 0, v36, s16
	s_mov_b32 s16, exec_lo
	v_add_nc_u32_e32 v36, v36, v37
	v_and_b32_e32 v36, 0x1fffff, v36
	v_add_nc_u32_e32 v36, v36, v37
                                        ; implicit-def: $vgpr37
	v_cmpx_ne_u32_e64 v7, v23
	s_xor_b32 s16, exec_lo, s16
; %bb.13796:                            ;   in Loop: Header=BB6_12577 Depth=3
	v_cmp_lt_u32_e32 vcc_lo, 0xffffff, v36
	v_sub_nc_u32_e32 v7, v7, v23
	v_cndmask_b32_e64 v23, 0, 1, vcc_lo
	v_add_co_ci_u32_e64 v37, null, 0, v7, vcc_lo
	v_lshrrev_b32_e32 v36, v23, v36
; %bb.13797:                            ;   in Loop: Header=BB6_12577 Depth=3
	s_andn2_saveexec_b32 s16, s16
; %bb.13798:                            ;   in Loop: Header=BB6_12577 Depth=3
	v_bfe_u32 v37, v36, 23, 1
; %bb.13799:                            ;   in Loop: Header=BB6_12577 Depth=3
	s_or_b32 exec_lo, exec_lo, s16
	v_lshrrev_b32_e32 v7, 21, v36
	v_min_i32_e32 v23, 31, v37
	v_cmp_gt_i32_e32 vcc_lo, 32, v37
	v_and_b32_sdwa v6, v6, v117 dst_sel:DWORD dst_unused:UNUSED_PAD src0_sel:BYTE_3 src1_sel:DWORD
	v_lshlrev_b32_e32 v23, 2, v23
	v_cndmask_b32_e32 v7, 3, v7, vcc_lo
	v_and_b32_e32 v23, 0xfc, v23
	v_or_b32_e32 v36, v37, v7
	v_and_b32_e32 v7, 3, v7
	v_cmp_ne_u32_e32 vcc_lo, 0, v36
	v_or3_b32 v6, v6, v23, v7
	v_lshlrev_b32_e32 v6, 8, v6
	v_cndmask_b32_e32 v23, 0, v6, vcc_lo
.LBB6_13800:                            ;   in Loop: Header=BB6_12577 Depth=3
	s_or_b32 exec_lo, exec_lo, s72
.LBB6_13801:                            ;   in Loop: Header=BB6_12577 Depth=3
	s_or_b32 exec_lo, exec_lo, s23
	v_or_b32_e32 v6, v0, v59
	s_mov_b32 s23, 0
	v_cmp_gt_i16_sdwa s16, v6, v116 src0_sel:BYTE_0 src1_sel:DWORD
	s_and_saveexec_b32 s72, s16
	s_xor_b32 s16, exec_lo, s72
	s_cbranch_execz .LBB6_14951
; %bb.13802:                            ;   in Loop: Header=BB6_12577 Depth=3
	v_cmp_eq_u16_sdwa s73, v6, v117 src0_sel:BYTE_0 src1_sel:DWORD
	s_mov_b32 s23, -1
	s_and_saveexec_b32 s72, s73
; %bb.13803:                            ;   in Loop: Header=BB6_12577 Depth=3
	s_xor_b32 s23, exec_lo, -1
; %bb.13804:                            ;   in Loop: Header=BB6_12577 Depth=3
	s_or_b32 exec_lo, exec_lo, s72
	s_and_b32 s23, s23, exec_lo
	s_or_saveexec_b32 s16, s16
	v_mov_b32_e32 v0, 0x7f800001
	s_xor_b32 exec_lo, exec_lo, s16
	s_cbranch_execnz .LBB6_14952
.LBB6_13805:                            ;   in Loop: Header=BB6_12577 Depth=3
	s_or_b32 exec_lo, exec_lo, s16
	s_and_saveexec_b32 s16, s23
	s_cbranch_execz .LBB6_13807
.LBB6_13806:                            ;   in Loop: Header=BB6_12577 Depth=3
	v_and_b32_e32 v0, 3, v6
	v_bfe_u32 v7, v6, 2, 5
	v_ffbh_u32_e32 v36, v0
	v_cmp_eq_u32_e32 vcc_lo, 0, v7
	v_min_u32_e32 v36, 32, v36
	v_subrev_nc_u32_e32 v37, 29, v36
	v_sub_nc_u32_e32 v36, 30, v36
	v_lshlrev_b32_e32 v37, v37, v6
	v_cndmask_b32_e32 v7, v7, v36, vcc_lo
	v_lshlrev_b32_e32 v36, 24, v6
	v_and_b32_e32 v37, 3, v37
	v_lshl_add_u32 v7, v7, 23, 0x37800000
	v_and_b32_e32 v36, 0x80000000, v36
	v_cndmask_b32_e32 v0, v0, v37, vcc_lo
	v_lshlrev_b32_e32 v0, 21, v0
	v_or3_b32 v0, v36, v7, v0
.LBB6_13807:                            ;   in Loop: Header=BB6_12577 Depth=3
	s_or_b32 exec_lo, exec_lo, s16
	s_waitcnt vmcnt(2)
	v_cmp_gt_i16_sdwa s16, v16, v116 src0_sel:BYTE_0 src1_sel:DWORD
	s_mov_b32 s23, 0
	s_and_saveexec_b32 s72, s16
	s_xor_b32 s16, exec_lo, s72
	s_cbranch_execz .LBB6_14953
; %bb.13808:                            ;   in Loop: Header=BB6_12577 Depth=3
	v_cmp_eq_u16_sdwa s73, v16, v117 src0_sel:BYTE_0 src1_sel:DWORD
	s_mov_b32 s23, -1
	s_and_saveexec_b32 s72, s73
; %bb.13809:                            ;   in Loop: Header=BB6_12577 Depth=3
	s_xor_b32 s23, exec_lo, -1
; %bb.13810:                            ;   in Loop: Header=BB6_12577 Depth=3
	s_or_b32 exec_lo, exec_lo, s72
	s_and_b32 s23, s23, exec_lo
	s_or_saveexec_b32 s16, s16
	v_mov_b32_e32 v7, 0x7f800001
	s_xor_b32 exec_lo, exec_lo, s16
	s_cbranch_execnz .LBB6_14954
.LBB6_13811:                            ;   in Loop: Header=BB6_12577 Depth=3
	s_or_b32 exec_lo, exec_lo, s16
	s_and_saveexec_b32 s16, s23
	s_cbranch_execz .LBB6_13813
.LBB6_13812:                            ;   in Loop: Header=BB6_12577 Depth=3
	v_and_b32_e32 v7, 3, v16
	v_bfe_u32 v36, v16, 2, 5
	v_ffbh_u32_e32 v37, v7
	v_cmp_eq_u32_e32 vcc_lo, 0, v36
	v_min_u32_e32 v37, 32, v37
	v_subrev_nc_u32_e32 v101, 29, v37
	v_sub_nc_u32_e32 v37, 30, v37
	v_lshlrev_b32_e32 v101, v101, v16
	v_cndmask_b32_e32 v36, v36, v37, vcc_lo
	v_lshlrev_b32_e32 v37, 24, v16
	v_and_b32_e32 v101, 3, v101
	v_lshl_add_u32 v36, v36, 23, 0x37800000
	v_and_b32_e32 v37, 0x80000000, v37
	v_cndmask_b32_e32 v7, v7, v101, vcc_lo
	v_lshlrev_b32_e32 v7, 21, v7
	v_or3_b32 v7, v37, v36, v7
.LBB6_13813:                            ;   in Loop: Header=BB6_12577 Depth=3
	s_or_b32 exec_lo, exec_lo, s16
	v_add_f32_e32 v7, v0, v7
	v_and_b32_e32 v0, 0x7f800000, v7
	v_cmp_ne_u32_e32 vcc_lo, 0x7f800000, v0
	v_mov_b32_e32 v0, 0x80
	s_and_saveexec_b32 s23, vcc_lo
	s_cbranch_execz .LBB6_13821
; %bb.13814:                            ;   in Loop: Header=BB6_12577 Depth=3
	v_mov_b32_e32 v0, 0
	s_mov_b32 s72, exec_lo
	v_cmpx_ne_u32_e32 0, v7
	s_cbranch_execz .LBB6_13820
; %bb.13815:                            ;   in Loop: Header=BB6_12577 Depth=3
	v_bfe_u32 v36, v7, 23, 8
	v_and_b32_e32 v0, 0x7fffff, v7
	v_cmp_gt_u32_e64 s16, 0x71, v36
	v_sub_nc_u32_e32 v37, 0x70, v36
	v_cmp_eq_u32_e32 vcc_lo, 0, v36
	v_or_b32_e32 v101, 0x800000, v0
	v_cndmask_b32_e64 v37, 0, v37, s16
	v_cndmask_b32_e32 v0, v101, v0, vcc_lo
	v_cndmask_b32_e64 v37, v37, 0x6f, vcc_lo
	v_lshl_add_u32 v101, 0x200000, v37, -1
	v_lshlrev_b32_e64 v115, v37, 0x100000
	v_and_b32_e32 v101, v101, v0
	v_cmp_eq_u32_e64 s16, v101, v115
	v_lshrrev_b32_e32 v101, v37, v0
	v_add_nc_u32_e32 v0, 0xffffff91, v36
	v_lshrrev_b32_e32 v36, 23, v101
	v_cndmask_b32_e64 v0, v0, 0xffffff92, vcc_lo
	v_xor_b32_e32 v36, 1, v36
	v_add_nc_u32_e32 v0, v37, v0
	v_bfe_u32 v37, v101, 21, 1
	v_add_nc_u32_e32 v37, -1, v37
	v_cndmask_b32_e64 v37, 0, v37, s16
	s_mov_b32 s16, exec_lo
	v_add_nc_u32_e32 v37, v37, v101
	v_and_b32_e32 v37, 0x1fffff, v37
	v_add_nc_u32_e32 v37, v37, v101
                                        ; implicit-def: $vgpr101
	v_cmpx_ne_u32_e64 v0, v36
	s_xor_b32 s16, exec_lo, s16
; %bb.13816:                            ;   in Loop: Header=BB6_12577 Depth=3
	v_cmp_lt_u32_e32 vcc_lo, 0xffffff, v37
	v_sub_nc_u32_e32 v0, v0, v36
	v_cndmask_b32_e64 v36, 0, 1, vcc_lo
	v_add_co_ci_u32_e64 v101, null, 0, v0, vcc_lo
	v_lshrrev_b32_e32 v37, v36, v37
; %bb.13817:                            ;   in Loop: Header=BB6_12577 Depth=3
	s_andn2_saveexec_b32 s16, s16
; %bb.13818:                            ;   in Loop: Header=BB6_12577 Depth=3
	v_bfe_u32 v101, v37, 23, 1
; %bb.13819:                            ;   in Loop: Header=BB6_12577 Depth=3
	s_or_b32 exec_lo, exec_lo, s16
	v_and_b32_sdwa v0, v7, v117 dst_sel:DWORD dst_unused:UNUSED_PAD src0_sel:BYTE_3 src1_sel:DWORD
	v_lshrrev_b32_e32 v7, 21, v37
	v_min_i32_e32 v36, 31, v101
	v_cmp_gt_i32_e32 vcc_lo, 32, v101
	v_lshlrev_b32_e32 v36, 2, v36
	v_cndmask_b32_e32 v7, 3, v7, vcc_lo
	v_and_b32_e32 v36, 0xfc, v36
	v_or_b32_e32 v37, v101, v7
	v_and_b32_e32 v7, 3, v7
	v_cmp_ne_u32_e32 vcc_lo, 0, v37
	v_or3_b32 v0, v36, v0, v7
	v_cndmask_b32_e32 v0, 0, v0, vcc_lo
.LBB6_13820:                            ;   in Loop: Header=BB6_12577 Depth=3
	s_or_b32 exec_lo, exec_lo, s72
.LBB6_13821:                            ;   in Loop: Header=BB6_12577 Depth=3
	s_or_b32 exec_lo, exec_lo, s23
	v_cmp_gt_i16_sdwa s23, v6, v116 src0_sel:BYTE_1 src1_sel:DWORD
	s_mov_b32 s16, 0
	s_and_saveexec_b32 s72, s23
	s_xor_b32 s23, exec_lo, s72
	s_cbranch_execz .LBB6_14955
; %bb.13822:                            ;   in Loop: Header=BB6_12577 Depth=3
	v_cmp_eq_u16_sdwa s73, v6, v117 src0_sel:BYTE_1 src1_sel:DWORD
	s_mov_b32 s16, -1
	s_and_saveexec_b32 s72, s73
; %bb.13823:                            ;   in Loop: Header=BB6_12577 Depth=3
	s_xor_b32 s16, exec_lo, -1
; %bb.13824:                            ;   in Loop: Header=BB6_12577 Depth=3
	s_or_b32 exec_lo, exec_lo, s72
	s_and_b32 s16, s16, exec_lo
	s_or_saveexec_b32 s23, s23
	v_mov_b32_e32 v7, 0x7f800001
	s_xor_b32 exec_lo, exec_lo, s23
	s_cbranch_execnz .LBB6_14956
.LBB6_13825:                            ;   in Loop: Header=BB6_12577 Depth=3
	s_or_b32 exec_lo, exec_lo, s23
	s_and_saveexec_b32 s23, s16
	s_cbranch_execz .LBB6_13827
.LBB6_13826:                            ;   in Loop: Header=BB6_12577 Depth=3
	v_and_b32_sdwa v7, v118, v6 dst_sel:DWORD dst_unused:UNUSED_PAD src0_sel:DWORD src1_sel:BYTE_1
	v_and_b32_e32 v36, 3, v7
	v_bfe_u32 v115, v7, 2, 5
	v_ffbh_u32_e32 v37, v36
	v_cmp_eq_u32_e32 vcc_lo, 0, v115
	v_min_u32_e32 v37, 32, v37
	v_subrev_nc_u32_e32 v101, 29, v37
	v_sub_nc_u32_e32 v37, 30, v37
	v_lshlrev_b32_e32 v7, v101, v7
	v_lshlrev_b32_sdwa v101, v119, v6 dst_sel:DWORD dst_unused:UNUSED_PAD src0_sel:DWORD src1_sel:BYTE_1
	v_cndmask_b32_e32 v37, v115, v37, vcc_lo
	v_and_b32_e32 v7, 3, v7
	v_lshl_add_u32 v37, v37, 23, 0x37800000
	v_cndmask_b32_e32 v7, v36, v7, vcc_lo
	v_and_b32_e32 v36, 0x80000000, v101
	v_lshlrev_b32_e32 v7, 21, v7
	v_or3_b32 v7, v36, v37, v7
.LBB6_13827:                            ;   in Loop: Header=BB6_12577 Depth=3
	s_or_b32 exec_lo, exec_lo, s23
	v_cmp_gt_i16_sdwa s23, v16, v116 src0_sel:BYTE_1 src1_sel:DWORD
	s_mov_b32 s16, 0
	s_and_saveexec_b32 s72, s23
	s_xor_b32 s23, exec_lo, s72
	s_cbranch_execz .LBB6_14957
; %bb.13828:                            ;   in Loop: Header=BB6_12577 Depth=3
	v_cmp_eq_u16_sdwa s73, v16, v117 src0_sel:BYTE_1 src1_sel:DWORD
	s_mov_b32 s16, -1
	s_and_saveexec_b32 s72, s73
; %bb.13829:                            ;   in Loop: Header=BB6_12577 Depth=3
	s_xor_b32 s16, exec_lo, -1
; %bb.13830:                            ;   in Loop: Header=BB6_12577 Depth=3
	s_or_b32 exec_lo, exec_lo, s72
	s_and_b32 s16, s16, exec_lo
	s_or_saveexec_b32 s23, s23
	v_mov_b32_e32 v36, 0x7f800001
	s_xor_b32 exec_lo, exec_lo, s23
	s_cbranch_execnz .LBB6_14958
.LBB6_13831:                            ;   in Loop: Header=BB6_12577 Depth=3
	s_or_b32 exec_lo, exec_lo, s23
	s_and_saveexec_b32 s23, s16
	s_cbranch_execz .LBB6_13833
.LBB6_13832:                            ;   in Loop: Header=BB6_12577 Depth=3
	v_and_b32_sdwa v36, v118, v16 dst_sel:DWORD dst_unused:UNUSED_PAD src0_sel:DWORD src1_sel:BYTE_1
	v_and_b32_e32 v37, 3, v36
	v_bfe_u32 v42, v36, 2, 5
	v_ffbh_u32_e32 v101, v37
	v_cmp_eq_u32_e32 vcc_lo, 0, v42
	v_min_u32_e32 v101, 32, v101
	v_subrev_nc_u32_e32 v115, 29, v101
	v_sub_nc_u32_e32 v101, 30, v101
	v_lshlrev_b32_e32 v36, v115, v36
	v_lshlrev_b32_sdwa v115, v119, v16 dst_sel:DWORD dst_unused:UNUSED_PAD src0_sel:DWORD src1_sel:BYTE_1
	v_cndmask_b32_e32 v101, v42, v101, vcc_lo
	v_and_b32_e32 v36, 3, v36
	v_lshl_add_u32 v101, v101, 23, 0x37800000
	v_cndmask_b32_e32 v36, v37, v36, vcc_lo
	v_and_b32_e32 v37, 0x80000000, v115
	v_lshlrev_b32_e32 v36, 21, v36
	v_or3_b32 v36, v37, v101, v36
.LBB6_13833:                            ;   in Loop: Header=BB6_12577 Depth=3
	s_or_b32 exec_lo, exec_lo, s23
	v_add_f32_e32 v7, v7, v36
	v_mov_b32_e32 v56, 0x8000
	s_mov_b32 s23, exec_lo
	v_and_b32_e32 v36, 0x7f800000, v7
	v_cmpx_ne_u32_e32 0x7f800000, v36
	s_cbranch_execz .LBB6_13841
; %bb.13834:                            ;   in Loop: Header=BB6_12577 Depth=3
	v_mov_b32_e32 v56, 0
	s_mov_b32 s72, exec_lo
	v_cmpx_ne_u32_e32 0, v7
	s_cbranch_execz .LBB6_13840
; %bb.13835:                            ;   in Loop: Header=BB6_12577 Depth=3
	v_bfe_u32 v37, v7, 23, 8
	v_and_b32_e32 v36, 0x7fffff, v7
	v_cmp_gt_u32_e64 s16, 0x71, v37
	v_sub_nc_u32_e32 v101, 0x70, v37
	v_cmp_eq_u32_e32 vcc_lo, 0, v37
	v_or_b32_e32 v115, 0x800000, v36
	v_cndmask_b32_e64 v101, 0, v101, s16
	v_cndmask_b32_e32 v36, v115, v36, vcc_lo
	v_cndmask_b32_e64 v101, v101, 0x6f, vcc_lo
	v_lshl_add_u32 v115, 0x200000, v101, -1
	v_lshlrev_b32_e64 v42, v101, 0x100000
	v_and_b32_e32 v115, v115, v36
	v_cmp_eq_u32_e64 s16, v115, v42
	v_lshrrev_b32_e32 v115, v101, v36
	v_add_nc_u32_e32 v36, 0xffffff91, v37
	v_lshrrev_b32_e32 v37, 23, v115
	v_cndmask_b32_e64 v36, v36, 0xffffff92, vcc_lo
	v_xor_b32_e32 v37, 1, v37
	v_add_nc_u32_e32 v36, v101, v36
	v_bfe_u32 v101, v115, 21, 1
	v_add_nc_u32_e32 v101, -1, v101
	v_cndmask_b32_e64 v101, 0, v101, s16
	s_mov_b32 s16, exec_lo
	v_add_nc_u32_e32 v101, v101, v115
	v_and_b32_e32 v101, 0x1fffff, v101
	v_add_nc_u32_e32 v101, v101, v115
                                        ; implicit-def: $vgpr115
	v_cmpx_ne_u32_e64 v36, v37
	s_xor_b32 s16, exec_lo, s16
; %bb.13836:                            ;   in Loop: Header=BB6_12577 Depth=3
	v_cmp_lt_u32_e32 vcc_lo, 0xffffff, v101
	v_sub_nc_u32_e32 v36, v36, v37
	v_cndmask_b32_e64 v37, 0, 1, vcc_lo
	v_add_co_ci_u32_e64 v115, null, 0, v36, vcc_lo
	v_lshrrev_b32_e32 v101, v37, v101
; %bb.13837:                            ;   in Loop: Header=BB6_12577 Depth=3
	s_andn2_saveexec_b32 s16, s16
; %bb.13838:                            ;   in Loop: Header=BB6_12577 Depth=3
	v_bfe_u32 v115, v101, 23, 1
; %bb.13839:                            ;   in Loop: Header=BB6_12577 Depth=3
	s_or_b32 exec_lo, exec_lo, s16
	v_lshrrev_b32_e32 v36, 21, v101
	v_min_i32_e32 v37, 31, v115
	v_cmp_gt_i32_e32 vcc_lo, 32, v115
	v_and_b32_sdwa v7, v7, v117 dst_sel:DWORD dst_unused:UNUSED_PAD src0_sel:BYTE_3 src1_sel:DWORD
	v_lshlrev_b32_e32 v37, 2, v37
	v_cndmask_b32_e32 v36, 3, v36, vcc_lo
	v_and_b32_e32 v37, 0xfc, v37
	v_or_b32_e32 v101, v115, v36
	v_and_b32_e32 v36, 3, v36
	v_cmp_ne_u32_e32 vcc_lo, 0, v101
	v_or3_b32 v7, v7, v37, v36
	v_lshlrev_b32_e32 v7, 8, v7
	v_cndmask_b32_e32 v56, 0, v7, vcc_lo
.LBB6_13840:                            ;   in Loop: Header=BB6_12577 Depth=3
	s_or_b32 exec_lo, exec_lo, s72
.LBB6_13841:                            ;   in Loop: Header=BB6_12577 Depth=3
	s_or_b32 exec_lo, exec_lo, s23
	v_or_b32_e32 v36, v73, v72
	s_mov_b32 s23, 0
	v_cmp_gt_i16_sdwa s16, v36, v116 src0_sel:BYTE_0 src1_sel:DWORD
	s_and_saveexec_b32 s72, s16
	s_xor_b32 s16, exec_lo, s72
	s_cbranch_execz .LBB6_14959
; %bb.13842:                            ;   in Loop: Header=BB6_12577 Depth=3
	v_cmp_eq_u16_sdwa s73, v36, v117 src0_sel:BYTE_0 src1_sel:DWORD
	s_mov_b32 s23, -1
	s_and_saveexec_b32 s72, s73
; %bb.13843:                            ;   in Loop: Header=BB6_12577 Depth=3
	s_xor_b32 s23, exec_lo, -1
; %bb.13844:                            ;   in Loop: Header=BB6_12577 Depth=3
	s_or_b32 exec_lo, exec_lo, s72
	s_and_b32 s23, s23, exec_lo
	s_or_saveexec_b32 s16, s16
	v_mov_b32_e32 v7, 0x7f800001
	s_xor_b32 exec_lo, exec_lo, s16
	s_cbranch_execnz .LBB6_14960
.LBB6_13845:                            ;   in Loop: Header=BB6_12577 Depth=3
	s_or_b32 exec_lo, exec_lo, s16
	v_lshl_or_b32 v6, v36, 16, v6
	s_and_saveexec_b32 s16, s23
	s_cbranch_execz .LBB6_13847
.LBB6_13846:                            ;   in Loop: Header=BB6_12577 Depth=3
	v_bfe_u32 v7, v6, 16, 2
	v_bfe_u32 v36, v6, 18, 5
	v_ffbh_u32_e32 v37, v7
	v_cmp_eq_u32_e32 vcc_lo, 0, v36
	v_min_u32_e32 v37, 32, v37
	v_subrev_nc_u32_e32 v101, 29, v37
	v_sub_nc_u32_e32 v37, 30, v37
	v_lshlrev_b32_sdwa v101, v101, v6 dst_sel:DWORD dst_unused:UNUSED_PAD src0_sel:DWORD src1_sel:WORD_1
	v_cndmask_b32_e32 v36, v36, v37, vcc_lo
	v_lshlrev_b32_e32 v37, 8, v6
	v_and_b32_e32 v101, 3, v101
	v_lshl_add_u32 v36, v36, 23, 0x37800000
	v_and_b32_e32 v37, 0x80000000, v37
	v_cndmask_b32_e32 v7, v7, v101, vcc_lo
	v_lshlrev_b32_e32 v7, 21, v7
	v_or3_b32 v7, v37, v36, v7
.LBB6_13847:                            ;   in Loop: Header=BB6_12577 Depth=3
	s_or_b32 exec_lo, exec_lo, s16
	v_and_b32_sdwa v37, v16, v40 dst_sel:DWORD dst_unused:UNUSED_PAD src0_sel:WORD_1 src1_sel:DWORD
	s_mov_b32 s23, 0
	s_mov_b32 s16, exec_lo
	v_cmpx_lt_i16_e32 0x7f, v37
	s_xor_b32 s16, exec_lo, s16
	s_cbranch_execz .LBB6_14961
; %bb.13848:                            ;   in Loop: Header=BB6_12577 Depth=3
	s_mov_b32 s23, -1
	s_mov_b32 s72, exec_lo
	v_cmpx_eq_u16_e32 0x80, v37
; %bb.13849:                            ;   in Loop: Header=BB6_12577 Depth=3
	s_xor_b32 s23, exec_lo, -1
; %bb.13850:                            ;   in Loop: Header=BB6_12577 Depth=3
	s_or_b32 exec_lo, exec_lo, s72
	s_and_b32 s23, s23, exec_lo
                                        ; implicit-def: $vgpr37
	s_or_saveexec_b32 s16, s16
	v_mov_b32_e32 v36, 0x7f800001
	s_xor_b32 exec_lo, exec_lo, s16
	s_cbranch_execnz .LBB6_14962
.LBB6_13851:                            ;   in Loop: Header=BB6_12577 Depth=3
	s_or_b32 exec_lo, exec_lo, s16
	s_and_saveexec_b32 s16, s23
	s_cbranch_execz .LBB6_13853
.LBB6_13852:                            ;   in Loop: Header=BB6_12577 Depth=3
	v_bfe_u32 v36, v16, 16, 2
	v_bfe_u32 v37, v16, 18, 5
	v_ffbh_u32_e32 v101, v36
	v_cmp_eq_u32_e32 vcc_lo, 0, v37
	v_min_u32_e32 v101, 32, v101
	v_subrev_nc_u32_e32 v115, 29, v101
	v_sub_nc_u32_e32 v101, 30, v101
	v_lshlrev_b32_sdwa v115, v115, v16 dst_sel:DWORD dst_unused:UNUSED_PAD src0_sel:DWORD src1_sel:WORD_1
	v_cndmask_b32_e32 v37, v37, v101, vcc_lo
	v_lshlrev_b32_e32 v101, 8, v16
	v_and_b32_e32 v115, 3, v115
	v_lshl_add_u32 v37, v37, 23, 0x37800000
	v_and_b32_e32 v101, 0x80000000, v101
	v_cndmask_b32_e32 v36, v36, v115, vcc_lo
	v_lshlrev_b32_e32 v36, 21, v36
	v_or3_b32 v36, v101, v37, v36
.LBB6_13853:                            ;   in Loop: Header=BB6_12577 Depth=3
	s_or_b32 exec_lo, exec_lo, s16
	v_add_f32_e32 v7, v7, v36
	v_mov_b32_e32 v59, 0x80
	s_mov_b32 s23, exec_lo
	v_and_b32_e32 v36, 0x7f800000, v7
	v_cmpx_ne_u32_e32 0x7f800000, v36
	s_cbranch_execz .LBB6_13861
; %bb.13854:                            ;   in Loop: Header=BB6_12577 Depth=3
	v_mov_b32_e32 v59, 0
	s_mov_b32 s72, exec_lo
	v_cmpx_ne_u32_e32 0, v7
	s_cbranch_execz .LBB6_13860
; %bb.13855:                            ;   in Loop: Header=BB6_12577 Depth=3
	v_bfe_u32 v37, v7, 23, 8
	v_and_b32_e32 v36, 0x7fffff, v7
	v_cmp_gt_u32_e64 s16, 0x71, v37
	v_sub_nc_u32_e32 v101, 0x70, v37
	v_cmp_eq_u32_e32 vcc_lo, 0, v37
	v_or_b32_e32 v115, 0x800000, v36
	v_cndmask_b32_e64 v101, 0, v101, s16
	v_cndmask_b32_e32 v36, v115, v36, vcc_lo
	v_cndmask_b32_e64 v101, v101, 0x6f, vcc_lo
	v_lshl_add_u32 v115, 0x200000, v101, -1
	v_lshlrev_b32_e64 v42, v101, 0x100000
	v_and_b32_e32 v115, v115, v36
	v_cmp_eq_u32_e64 s16, v115, v42
	v_lshrrev_b32_e32 v115, v101, v36
	v_add_nc_u32_e32 v36, 0xffffff91, v37
	v_lshrrev_b32_e32 v37, 23, v115
	v_cndmask_b32_e64 v36, v36, 0xffffff92, vcc_lo
	v_xor_b32_e32 v37, 1, v37
	v_add_nc_u32_e32 v36, v101, v36
	v_bfe_u32 v101, v115, 21, 1
	v_add_nc_u32_e32 v101, -1, v101
	v_cndmask_b32_e64 v101, 0, v101, s16
	s_mov_b32 s16, exec_lo
	v_add_nc_u32_e32 v101, v101, v115
	v_and_b32_e32 v101, 0x1fffff, v101
	v_add_nc_u32_e32 v101, v101, v115
                                        ; implicit-def: $vgpr115
	v_cmpx_ne_u32_e64 v36, v37
	s_xor_b32 s16, exec_lo, s16
; %bb.13856:                            ;   in Loop: Header=BB6_12577 Depth=3
	v_cmp_lt_u32_e32 vcc_lo, 0xffffff, v101
	v_sub_nc_u32_e32 v36, v36, v37
	v_cndmask_b32_e64 v37, 0, 1, vcc_lo
	v_add_co_ci_u32_e64 v115, null, 0, v36, vcc_lo
	v_lshrrev_b32_e32 v101, v37, v101
; %bb.13857:                            ;   in Loop: Header=BB6_12577 Depth=3
	s_andn2_saveexec_b32 s16, s16
; %bb.13858:                            ;   in Loop: Header=BB6_12577 Depth=3
	v_bfe_u32 v115, v101, 23, 1
; %bb.13859:                            ;   in Loop: Header=BB6_12577 Depth=3
	s_or_b32 exec_lo, exec_lo, s16
	v_lshrrev_b32_e32 v36, 21, v101
	v_min_i32_e32 v37, 31, v115
	v_cmp_gt_i32_e32 vcc_lo, 32, v115
	v_and_b32_sdwa v7, v7, v117 dst_sel:DWORD dst_unused:UNUSED_PAD src0_sel:BYTE_3 src1_sel:DWORD
	v_lshlrev_b32_e32 v37, 2, v37
	v_cndmask_b32_e32 v36, 3, v36, vcc_lo
	v_and_b32_e32 v37, 0xfc, v37
	v_or_b32_e32 v101, v115, v36
	v_and_b32_e32 v36, 3, v36
	v_cmp_ne_u32_e32 vcc_lo, 0, v101
	v_or3_b32 v7, v37, v7, v36
	v_cndmask_b32_e32 v59, 0, v7, vcc_lo
.LBB6_13860:                            ;   in Loop: Header=BB6_12577 Depth=3
	s_or_b32 exec_lo, exec_lo, s72
.LBB6_13861:                            ;   in Loop: Header=BB6_12577 Depth=3
	s_or_b32 exec_lo, exec_lo, s23
	v_cmp_gt_i16_sdwa s23, v6, v116 src0_sel:BYTE_3 src1_sel:DWORD
	s_mov_b32 s16, 0
	s_and_saveexec_b32 s72, s23
	s_xor_b32 s23, exec_lo, s72
	s_cbranch_execz .LBB6_14963
; %bb.13862:                            ;   in Loop: Header=BB6_12577 Depth=3
	v_cmp_eq_u16_sdwa s73, v6, v117 src0_sel:BYTE_3 src1_sel:DWORD
	s_mov_b32 s16, -1
	s_and_saveexec_b32 s72, s73
; %bb.13863:                            ;   in Loop: Header=BB6_12577 Depth=3
	s_xor_b32 s16, exec_lo, -1
; %bb.13864:                            ;   in Loop: Header=BB6_12577 Depth=3
	s_or_b32 exec_lo, exec_lo, s72
	s_and_b32 s16, s16, exec_lo
	s_or_saveexec_b32 s23, s23
	v_mov_b32_e32 v7, 0x7f800001
	s_xor_b32 exec_lo, exec_lo, s23
	s_cbranch_execnz .LBB6_14964
.LBB6_13865:                            ;   in Loop: Header=BB6_12577 Depth=3
	s_or_b32 exec_lo, exec_lo, s23
	s_and_saveexec_b32 s23, s16
	s_cbranch_execz .LBB6_13867
.LBB6_13866:                            ;   in Loop: Header=BB6_12577 Depth=3
	v_bfe_u32 v7, v6, 24, 2
	v_bfe_u32 v101, v6, 26, 5
	v_ffbh_u32_e32 v36, v7
	v_cmp_eq_u32_e32 vcc_lo, 0, v101
	v_min_u32_e32 v36, 32, v36
	v_subrev_nc_u32_e32 v37, 29, v36
	v_sub_nc_u32_e32 v36, 30, v36
	v_lshlrev_b32_sdwa v37, v37, v6 dst_sel:DWORD dst_unused:UNUSED_PAD src0_sel:DWORD src1_sel:BYTE_3
	v_cndmask_b32_e32 v36, v101, v36, vcc_lo
	v_and_b32_e32 v6, 0x80000000, v6
	v_and_b32_e32 v37, 3, v37
	v_lshl_add_u32 v36, v36, 23, 0x37800000
	v_cndmask_b32_e32 v7, v7, v37, vcc_lo
	v_lshlrev_b32_e32 v7, 21, v7
	v_or3_b32 v7, v6, v36, v7
.LBB6_13867:                            ;   in Loop: Header=BB6_12577 Depth=3
	s_or_b32 exec_lo, exec_lo, s23
	v_cmp_gt_i16_sdwa s23, v16, v116 src0_sel:BYTE_3 src1_sel:DWORD
	s_mov_b32 s16, 0
	s_and_saveexec_b32 s72, s23
	s_xor_b32 s23, exec_lo, s72
	s_cbranch_execz .LBB6_14965
; %bb.13868:                            ;   in Loop: Header=BB6_12577 Depth=3
	v_cmp_eq_u16_sdwa s73, v16, v117 src0_sel:BYTE_3 src1_sel:DWORD
	s_mov_b32 s16, -1
	s_and_saveexec_b32 s72, s73
; %bb.13869:                            ;   in Loop: Header=BB6_12577 Depth=3
	s_xor_b32 s16, exec_lo, -1
; %bb.13870:                            ;   in Loop: Header=BB6_12577 Depth=3
	s_or_b32 exec_lo, exec_lo, s72
	s_and_b32 s16, s16, exec_lo
	s_or_saveexec_b32 s23, s23
	v_mov_b32_e32 v6, 0x7f800001
	s_xor_b32 exec_lo, exec_lo, s23
	s_cbranch_execnz .LBB6_14966
.LBB6_13871:                            ;   in Loop: Header=BB6_12577 Depth=3
	s_or_b32 exec_lo, exec_lo, s23
	s_and_saveexec_b32 s23, s16
	s_cbranch_execz .LBB6_13873
.LBB6_13872:                            ;   in Loop: Header=BB6_12577 Depth=3
	v_bfe_u32 v6, v16, 24, 2
	v_bfe_u32 v101, v16, 26, 5
	v_ffbh_u32_e32 v36, v6
	v_cmp_eq_u32_e32 vcc_lo, 0, v101
	v_min_u32_e32 v36, 32, v36
	v_subrev_nc_u32_e32 v37, 29, v36
	v_sub_nc_u32_e32 v36, 30, v36
	v_lshlrev_b32_sdwa v37, v37, v16 dst_sel:DWORD dst_unused:UNUSED_PAD src0_sel:DWORD src1_sel:BYTE_3
	v_cndmask_b32_e32 v36, v101, v36, vcc_lo
	v_and_b32_e32 v16, 0x80000000, v16
	v_and_b32_e32 v37, 3, v37
	v_lshl_add_u32 v36, v36, 23, 0x37800000
	v_cndmask_b32_e32 v6, v6, v37, vcc_lo
	v_lshlrev_b32_e32 v6, 21, v6
	v_or3_b32 v6, v16, v36, v6
.LBB6_13873:                            ;   in Loop: Header=BB6_12577 Depth=3
	s_or_b32 exec_lo, exec_lo, s23
	v_add_f32_e32 v6, v7, v6
	v_mov_b32_e32 v16, 0x8000
	s_mov_b32 s23, exec_lo
	v_and_b32_e32 v7, 0x7f800000, v6
	v_cmpx_ne_u32_e32 0x7f800000, v7
	s_cbranch_execz .LBB6_13881
; %bb.13874:                            ;   in Loop: Header=BB6_12577 Depth=3
	v_mov_b32_e32 v16, 0
	s_mov_b32 s72, exec_lo
	v_cmpx_ne_u32_e32 0, v6
	s_cbranch_execz .LBB6_13880
; %bb.13875:                            ;   in Loop: Header=BB6_12577 Depth=3
	v_bfe_u32 v16, v6, 23, 8
	v_and_b32_e32 v7, 0x7fffff, v6
	v_cmp_gt_u32_e64 s16, 0x71, v16
	v_sub_nc_u32_e32 v36, 0x70, v16
	v_cmp_eq_u32_e32 vcc_lo, 0, v16
	v_or_b32_e32 v37, 0x800000, v7
	v_cndmask_b32_e64 v36, 0, v36, s16
	v_cndmask_b32_e32 v7, v37, v7, vcc_lo
	v_cndmask_b32_e64 v36, v36, 0x6f, vcc_lo
	v_lshl_add_u32 v37, 0x200000, v36, -1
	v_lshlrev_b32_e64 v101, v36, 0x100000
	v_and_b32_e32 v37, v37, v7
	v_cmp_eq_u32_e64 s16, v37, v101
	v_lshrrev_b32_e32 v37, v36, v7
	v_add_nc_u32_e32 v7, 0xffffff91, v16
	v_lshrrev_b32_e32 v16, 23, v37
	v_cndmask_b32_e64 v7, v7, 0xffffff92, vcc_lo
	v_xor_b32_e32 v16, 1, v16
	v_add_nc_u32_e32 v7, v36, v7
	v_bfe_u32 v36, v37, 21, 1
	v_add_nc_u32_e32 v36, -1, v36
	v_cndmask_b32_e64 v36, 0, v36, s16
	s_mov_b32 s16, exec_lo
	v_add_nc_u32_e32 v36, v36, v37
	v_and_b32_e32 v36, 0x1fffff, v36
	v_add_nc_u32_e32 v36, v36, v37
                                        ; implicit-def: $vgpr37
	v_cmpx_ne_u32_e64 v7, v16
	s_xor_b32 s16, exec_lo, s16
; %bb.13876:                            ;   in Loop: Header=BB6_12577 Depth=3
	v_cmp_lt_u32_e32 vcc_lo, 0xffffff, v36
	v_sub_nc_u32_e32 v7, v7, v16
	v_cndmask_b32_e64 v16, 0, 1, vcc_lo
	v_add_co_ci_u32_e64 v37, null, 0, v7, vcc_lo
	v_lshrrev_b32_e32 v36, v16, v36
; %bb.13877:                            ;   in Loop: Header=BB6_12577 Depth=3
	s_andn2_saveexec_b32 s16, s16
; %bb.13878:                            ;   in Loop: Header=BB6_12577 Depth=3
	v_bfe_u32 v37, v36, 23, 1
; %bb.13879:                            ;   in Loop: Header=BB6_12577 Depth=3
	s_or_b32 exec_lo, exec_lo, s16
	v_lshrrev_b32_e32 v7, 21, v36
	v_min_i32_e32 v16, 31, v37
	v_cmp_gt_i32_e32 vcc_lo, 32, v37
	v_and_b32_sdwa v6, v6, v117 dst_sel:DWORD dst_unused:UNUSED_PAD src0_sel:BYTE_3 src1_sel:DWORD
	v_lshlrev_b32_e32 v16, 2, v16
	v_cndmask_b32_e32 v7, 3, v7, vcc_lo
	v_and_b32_e32 v16, 0xfc, v16
	v_or_b32_e32 v36, v37, v7
	v_and_b32_e32 v7, 3, v7
	v_cmp_ne_u32_e32 vcc_lo, 0, v36
	v_or3_b32 v6, v6, v16, v7
	v_lshlrev_b32_e32 v6, 8, v6
	v_cndmask_b32_e32 v16, 0, v6, vcc_lo
.LBB6_13880:                            ;   in Loop: Header=BB6_12577 Depth=3
	s_or_b32 exec_lo, exec_lo, s72
.LBB6_13881:                            ;   in Loop: Header=BB6_12577 Depth=3
	s_or_b32 exec_lo, exec_lo, s23
	v_or_b32_e32 v6, v58, v55
	s_mov_b32 s23, 0
	v_cmp_gt_i16_sdwa s16, v6, v116 src0_sel:BYTE_0 src1_sel:DWORD
	s_and_saveexec_b32 s72, s16
	s_xor_b32 s16, exec_lo, s72
	s_cbranch_execz .LBB6_14967
; %bb.13882:                            ;   in Loop: Header=BB6_12577 Depth=3
	v_cmp_eq_u16_sdwa s73, v6, v117 src0_sel:BYTE_0 src1_sel:DWORD
	s_mov_b32 s23, -1
	s_and_saveexec_b32 s72, s73
; %bb.13883:                            ;   in Loop: Header=BB6_12577 Depth=3
	s_xor_b32 s23, exec_lo, -1
; %bb.13884:                            ;   in Loop: Header=BB6_12577 Depth=3
	s_or_b32 exec_lo, exec_lo, s72
	s_and_b32 s23, s23, exec_lo
	s_or_saveexec_b32 s16, s16
	v_mov_b32_e32 v7, 0x7f800001
	s_xor_b32 exec_lo, exec_lo, s16
	s_cbranch_execnz .LBB6_14968
.LBB6_13885:                            ;   in Loop: Header=BB6_12577 Depth=3
	s_or_b32 exec_lo, exec_lo, s16
	s_and_saveexec_b32 s16, s23
	s_cbranch_execz .LBB6_13887
.LBB6_13886:                            ;   in Loop: Header=BB6_12577 Depth=3
	v_and_b32_e32 v7, 3, v6
	v_bfe_u32 v36, v6, 2, 5
	v_ffbh_u32_e32 v37, v7
	v_cmp_eq_u32_e32 vcc_lo, 0, v36
	v_min_u32_e32 v37, 32, v37
	v_subrev_nc_u32_e32 v55, 29, v37
	v_sub_nc_u32_e32 v37, 30, v37
	v_lshlrev_b32_e32 v55, v55, v6
	v_cndmask_b32_e32 v36, v36, v37, vcc_lo
	v_lshlrev_b32_e32 v37, 24, v6
	v_and_b32_e32 v55, 3, v55
	v_lshl_add_u32 v36, v36, 23, 0x37800000
	v_and_b32_e32 v37, 0x80000000, v37
	v_cndmask_b32_e32 v7, v7, v55, vcc_lo
	v_lshlrev_b32_e32 v7, 21, v7
	v_or3_b32 v7, v37, v36, v7
.LBB6_13887:                            ;   in Loop: Header=BB6_12577 Depth=3
	s_or_b32 exec_lo, exec_lo, s16
	v_cmp_gt_i16_sdwa s16, v17, v116 src0_sel:BYTE_0 src1_sel:DWORD
	s_mov_b32 s23, 0
	s_and_saveexec_b32 s72, s16
	s_xor_b32 s16, exec_lo, s72
	s_cbranch_execz .LBB6_14969
; %bb.13888:                            ;   in Loop: Header=BB6_12577 Depth=3
	v_cmp_eq_u16_sdwa s73, v17, v117 src0_sel:BYTE_0 src1_sel:DWORD
	s_mov_b32 s23, -1
	s_and_saveexec_b32 s72, s73
; %bb.13889:                            ;   in Loop: Header=BB6_12577 Depth=3
	s_xor_b32 s23, exec_lo, -1
; %bb.13890:                            ;   in Loop: Header=BB6_12577 Depth=3
	s_or_b32 exec_lo, exec_lo, s72
	s_and_b32 s23, s23, exec_lo
	s_or_saveexec_b32 s16, s16
	v_mov_b32_e32 v36, 0x7f800001
	s_xor_b32 exec_lo, exec_lo, s16
	s_cbranch_execnz .LBB6_14970
.LBB6_13891:                            ;   in Loop: Header=BB6_12577 Depth=3
	s_or_b32 exec_lo, exec_lo, s16
	s_and_saveexec_b32 s16, s23
	s_cbranch_execz .LBB6_13893
.LBB6_13892:                            ;   in Loop: Header=BB6_12577 Depth=3
	v_and_b32_e32 v36, 3, v17
	v_bfe_u32 v37, v17, 2, 5
	v_ffbh_u32_e32 v55, v36
	v_cmp_eq_u32_e32 vcc_lo, 0, v37
	v_min_u32_e32 v55, 32, v55
	v_subrev_nc_u32_e32 v101, 29, v55
	v_sub_nc_u32_e32 v55, 30, v55
	v_lshlrev_b32_e32 v101, v101, v17
	v_cndmask_b32_e32 v37, v37, v55, vcc_lo
	v_lshlrev_b32_e32 v55, 24, v17
	v_and_b32_e32 v101, 3, v101
	v_lshl_add_u32 v37, v37, 23, 0x37800000
	v_and_b32_e32 v55, 0x80000000, v55
	v_cndmask_b32_e32 v36, v36, v101, vcc_lo
	v_lshlrev_b32_e32 v36, 21, v36
	v_or3_b32 v36, v55, v37, v36
.LBB6_13893:                            ;   in Loop: Header=BB6_12577 Depth=3
	s_or_b32 exec_lo, exec_lo, s16
	v_add_f32_e32 v7, v7, v36
	v_mov_b32_e32 v55, 0x80
	s_mov_b32 s23, exec_lo
	v_and_b32_e32 v36, 0x7f800000, v7
	v_cmpx_ne_u32_e32 0x7f800000, v36
	s_cbranch_execz .LBB6_13901
; %bb.13894:                            ;   in Loop: Header=BB6_12577 Depth=3
	v_mov_b32_e32 v55, 0
	s_mov_b32 s72, exec_lo
	v_cmpx_ne_u32_e32 0, v7
	s_cbranch_execz .LBB6_13900
; %bb.13895:                            ;   in Loop: Header=BB6_12577 Depth=3
	v_bfe_u32 v37, v7, 23, 8
	v_and_b32_e32 v36, 0x7fffff, v7
	v_cmp_gt_u32_e64 s16, 0x71, v37
	v_sub_nc_u32_e32 v55, 0x70, v37
	v_cmp_eq_u32_e32 vcc_lo, 0, v37
	v_or_b32_e32 v101, 0x800000, v36
	v_cndmask_b32_e64 v55, 0, v55, s16
	v_cndmask_b32_e32 v36, v101, v36, vcc_lo
	v_cndmask_b32_e64 v55, v55, 0x6f, vcc_lo
	v_lshl_add_u32 v101, 0x200000, v55, -1
	v_lshlrev_b32_e64 v115, v55, 0x100000
	v_and_b32_e32 v101, v101, v36
	v_cmp_eq_u32_e64 s16, v101, v115
	v_lshrrev_b32_e32 v101, v55, v36
	v_add_nc_u32_e32 v36, 0xffffff91, v37
	v_lshrrev_b32_e32 v37, 23, v101
	v_cndmask_b32_e64 v36, v36, 0xffffff92, vcc_lo
	v_xor_b32_e32 v37, 1, v37
	v_add_nc_u32_e32 v36, v55, v36
	v_bfe_u32 v55, v101, 21, 1
	v_add_nc_u32_e32 v55, -1, v55
	v_cndmask_b32_e64 v55, 0, v55, s16
	s_mov_b32 s16, exec_lo
	v_add_nc_u32_e32 v55, v55, v101
	v_and_b32_e32 v55, 0x1fffff, v55
	v_add_nc_u32_e32 v55, v55, v101
                                        ; implicit-def: $vgpr101
	v_cmpx_ne_u32_e64 v36, v37
	s_xor_b32 s16, exec_lo, s16
; %bb.13896:                            ;   in Loop: Header=BB6_12577 Depth=3
	v_cmp_lt_u32_e32 vcc_lo, 0xffffff, v55
	v_sub_nc_u32_e32 v36, v36, v37
	v_cndmask_b32_e64 v37, 0, 1, vcc_lo
	v_add_co_ci_u32_e64 v101, null, 0, v36, vcc_lo
	v_lshrrev_b32_e32 v55, v37, v55
; %bb.13897:                            ;   in Loop: Header=BB6_12577 Depth=3
	s_andn2_saveexec_b32 s16, s16
; %bb.13898:                            ;   in Loop: Header=BB6_12577 Depth=3
	v_bfe_u32 v101, v55, 23, 1
; %bb.13899:                            ;   in Loop: Header=BB6_12577 Depth=3
	s_or_b32 exec_lo, exec_lo, s16
	v_lshrrev_b32_e32 v36, 21, v55
	v_min_i32_e32 v37, 31, v101
	v_cmp_gt_i32_e32 vcc_lo, 32, v101
	v_and_b32_sdwa v7, v7, v117 dst_sel:DWORD dst_unused:UNUSED_PAD src0_sel:BYTE_3 src1_sel:DWORD
	v_lshlrev_b32_e32 v37, 2, v37
	v_cndmask_b32_e32 v36, 3, v36, vcc_lo
	v_and_b32_e32 v37, 0xfc, v37
	v_or_b32_e32 v55, v101, v36
	v_and_b32_e32 v36, 3, v36
	v_cmp_ne_u32_e32 vcc_lo, 0, v55
	v_or3_b32 v7, v37, v7, v36
	v_cndmask_b32_e32 v55, 0, v7, vcc_lo
.LBB6_13900:                            ;   in Loop: Header=BB6_12577 Depth=3
	s_or_b32 exec_lo, exec_lo, s72
.LBB6_13901:                            ;   in Loop: Header=BB6_12577 Depth=3
	s_or_b32 exec_lo, exec_lo, s23
	v_cmp_gt_i16_sdwa s23, v6, v116 src0_sel:BYTE_1 src1_sel:DWORD
	s_mov_b32 s16, 0
	s_and_saveexec_b32 s72, s23
	s_xor_b32 s23, exec_lo, s72
	s_cbranch_execz .LBB6_14971
; %bb.13902:                            ;   in Loop: Header=BB6_12577 Depth=3
	v_cmp_eq_u16_sdwa s73, v6, v117 src0_sel:BYTE_1 src1_sel:DWORD
	s_mov_b32 s16, -1
	s_and_saveexec_b32 s72, s73
; %bb.13903:                            ;   in Loop: Header=BB6_12577 Depth=3
	s_xor_b32 s16, exec_lo, -1
; %bb.13904:                            ;   in Loop: Header=BB6_12577 Depth=3
	s_or_b32 exec_lo, exec_lo, s72
	s_and_b32 s16, s16, exec_lo
	s_or_saveexec_b32 s23, s23
	v_mov_b32_e32 v7, 0x7f800001
	s_xor_b32 exec_lo, exec_lo, s23
	s_cbranch_execnz .LBB6_14972
.LBB6_13905:                            ;   in Loop: Header=BB6_12577 Depth=3
	s_or_b32 exec_lo, exec_lo, s23
	s_and_saveexec_b32 s23, s16
	s_cbranch_execz .LBB6_13907
.LBB6_13906:                            ;   in Loop: Header=BB6_12577 Depth=3
	v_and_b32_sdwa v7, v118, v6 dst_sel:DWORD dst_unused:UNUSED_PAD src0_sel:DWORD src1_sel:BYTE_1
	v_and_b32_e32 v36, 3, v7
	v_bfe_u32 v115, v7, 2, 5
	v_ffbh_u32_e32 v37, v36
	v_cmp_eq_u32_e32 vcc_lo, 0, v115
	v_min_u32_e32 v37, 32, v37
	v_subrev_nc_u32_e32 v101, 29, v37
	v_sub_nc_u32_e32 v37, 30, v37
	v_lshlrev_b32_e32 v7, v101, v7
	v_lshlrev_b32_sdwa v101, v119, v6 dst_sel:DWORD dst_unused:UNUSED_PAD src0_sel:DWORD src1_sel:BYTE_1
	v_cndmask_b32_e32 v37, v115, v37, vcc_lo
	v_and_b32_e32 v7, 3, v7
	v_lshl_add_u32 v37, v37, 23, 0x37800000
	v_cndmask_b32_e32 v7, v36, v7, vcc_lo
	v_and_b32_e32 v36, 0x80000000, v101
	v_lshlrev_b32_e32 v7, 21, v7
	v_or3_b32 v7, v36, v37, v7
.LBB6_13907:                            ;   in Loop: Header=BB6_12577 Depth=3
	s_or_b32 exec_lo, exec_lo, s23
	v_cmp_gt_i16_sdwa s23, v17, v116 src0_sel:BYTE_1 src1_sel:DWORD
	s_mov_b32 s16, 0
	s_and_saveexec_b32 s72, s23
	s_xor_b32 s23, exec_lo, s72
	s_cbranch_execz .LBB6_14973
; %bb.13908:                            ;   in Loop: Header=BB6_12577 Depth=3
	v_cmp_eq_u16_sdwa s73, v17, v117 src0_sel:BYTE_1 src1_sel:DWORD
	s_mov_b32 s16, -1
	s_and_saveexec_b32 s72, s73
; %bb.13909:                            ;   in Loop: Header=BB6_12577 Depth=3
	s_xor_b32 s16, exec_lo, -1
; %bb.13910:                            ;   in Loop: Header=BB6_12577 Depth=3
	s_or_b32 exec_lo, exec_lo, s72
	s_and_b32 s16, s16, exec_lo
	s_or_saveexec_b32 s23, s23
	v_mov_b32_e32 v36, 0x7f800001
	s_xor_b32 exec_lo, exec_lo, s23
	s_cbranch_execnz .LBB6_14974
.LBB6_13911:                            ;   in Loop: Header=BB6_12577 Depth=3
	s_or_b32 exec_lo, exec_lo, s23
	s_and_saveexec_b32 s23, s16
	s_cbranch_execz .LBB6_13913
.LBB6_13912:                            ;   in Loop: Header=BB6_12577 Depth=3
	v_and_b32_sdwa v36, v118, v17 dst_sel:DWORD dst_unused:UNUSED_PAD src0_sel:DWORD src1_sel:BYTE_1
	v_and_b32_e32 v37, 3, v36
	v_bfe_u32 v42, v36, 2, 5
	v_ffbh_u32_e32 v101, v37
	v_cmp_eq_u32_e32 vcc_lo, 0, v42
	v_min_u32_e32 v101, 32, v101
	v_subrev_nc_u32_e32 v115, 29, v101
	v_sub_nc_u32_e32 v101, 30, v101
	v_lshlrev_b32_e32 v36, v115, v36
	v_lshlrev_b32_sdwa v115, v119, v17 dst_sel:DWORD dst_unused:UNUSED_PAD src0_sel:DWORD src1_sel:BYTE_1
	v_cndmask_b32_e32 v101, v42, v101, vcc_lo
	v_and_b32_e32 v36, 3, v36
	v_lshl_add_u32 v101, v101, 23, 0x37800000
	v_cndmask_b32_e32 v36, v37, v36, vcc_lo
	v_and_b32_e32 v37, 0x80000000, v115
	v_lshlrev_b32_e32 v36, 21, v36
	v_or3_b32 v36, v37, v101, v36
.LBB6_13913:                            ;   in Loop: Header=BB6_12577 Depth=3
	s_or_b32 exec_lo, exec_lo, s23
	v_add_f32_e32 v7, v7, v36
	v_mov_b32_e32 v115, 0x8000
	s_mov_b32 s23, exec_lo
	v_and_b32_e32 v36, 0x7f800000, v7
	v_cmpx_ne_u32_e32 0x7f800000, v36
	s_cbranch_execz .LBB6_13921
; %bb.13914:                            ;   in Loop: Header=BB6_12577 Depth=3
	v_mov_b32_e32 v115, 0
	s_mov_b32 s72, exec_lo
	v_cmpx_ne_u32_e32 0, v7
	s_cbranch_execz .LBB6_13920
; %bb.13915:                            ;   in Loop: Header=BB6_12577 Depth=3
	v_bfe_u32 v37, v7, 23, 8
	v_and_b32_e32 v36, 0x7fffff, v7
	v_cmp_gt_u32_e64 s16, 0x71, v37
	v_sub_nc_u32_e32 v101, 0x70, v37
	v_cmp_eq_u32_e32 vcc_lo, 0, v37
	v_or_b32_e32 v115, 0x800000, v36
	v_cndmask_b32_e64 v101, 0, v101, s16
	v_cndmask_b32_e32 v36, v115, v36, vcc_lo
	v_cndmask_b32_e64 v101, v101, 0x6f, vcc_lo
	v_lshl_add_u32 v115, 0x200000, v101, -1
	v_lshlrev_b32_e64 v42, v101, 0x100000
	v_and_b32_e32 v115, v115, v36
	v_cmp_eq_u32_e64 s16, v115, v42
	v_lshrrev_b32_e32 v115, v101, v36
	v_add_nc_u32_e32 v36, 0xffffff91, v37
	v_lshrrev_b32_e32 v37, 23, v115
	v_cndmask_b32_e64 v36, v36, 0xffffff92, vcc_lo
	v_xor_b32_e32 v37, 1, v37
	v_add_nc_u32_e32 v36, v101, v36
	v_bfe_u32 v101, v115, 21, 1
	v_add_nc_u32_e32 v101, -1, v101
	v_cndmask_b32_e64 v101, 0, v101, s16
	s_mov_b32 s16, exec_lo
	v_add_nc_u32_e32 v101, v101, v115
	v_and_b32_e32 v101, 0x1fffff, v101
	v_add_nc_u32_e32 v101, v101, v115
                                        ; implicit-def: $vgpr115
	v_cmpx_ne_u32_e64 v36, v37
	s_xor_b32 s16, exec_lo, s16
; %bb.13916:                            ;   in Loop: Header=BB6_12577 Depth=3
	v_cmp_lt_u32_e32 vcc_lo, 0xffffff, v101
	v_sub_nc_u32_e32 v36, v36, v37
	v_cndmask_b32_e64 v37, 0, 1, vcc_lo
	v_add_co_ci_u32_e64 v115, null, 0, v36, vcc_lo
	v_lshrrev_b32_e32 v101, v37, v101
; %bb.13917:                            ;   in Loop: Header=BB6_12577 Depth=3
	s_andn2_saveexec_b32 s16, s16
; %bb.13918:                            ;   in Loop: Header=BB6_12577 Depth=3
	v_bfe_u32 v115, v101, 23, 1
; %bb.13919:                            ;   in Loop: Header=BB6_12577 Depth=3
	s_or_b32 exec_lo, exec_lo, s16
	v_lshrrev_b32_e32 v36, 21, v101
	v_min_i32_e32 v37, 31, v115
	v_cmp_gt_i32_e32 vcc_lo, 32, v115
	v_and_b32_sdwa v7, v7, v117 dst_sel:DWORD dst_unused:UNUSED_PAD src0_sel:BYTE_3 src1_sel:DWORD
	v_lshlrev_b32_e32 v37, 2, v37
	v_cndmask_b32_e32 v36, 3, v36, vcc_lo
	v_and_b32_e32 v37, 0xfc, v37
	v_or_b32_e32 v101, v115, v36
	v_and_b32_e32 v36, 3, v36
	v_cmp_ne_u32_e32 vcc_lo, 0, v101
	v_or3_b32 v7, v7, v37, v36
	v_lshlrev_b32_e32 v7, 8, v7
	v_cndmask_b32_e32 v115, 0, v7, vcc_lo
.LBB6_13920:                            ;   in Loop: Header=BB6_12577 Depth=3
	s_or_b32 exec_lo, exec_lo, s72
.LBB6_13921:                            ;   in Loop: Header=BB6_12577 Depth=3
	s_or_b32 exec_lo, exec_lo, s23
	v_or_b32_e32 v36, v54, v57
	s_mov_b32 s23, 0
	v_cmp_gt_i16_sdwa s16, v36, v116 src0_sel:BYTE_0 src1_sel:DWORD
	s_and_saveexec_b32 s72, s16
	s_xor_b32 s16, exec_lo, s72
	s_cbranch_execz .LBB6_14975
; %bb.13922:                            ;   in Loop: Header=BB6_12577 Depth=3
	v_cmp_eq_u16_sdwa s73, v36, v117 src0_sel:BYTE_0 src1_sel:DWORD
	s_mov_b32 s23, -1
	s_and_saveexec_b32 s72, s73
; %bb.13923:                            ;   in Loop: Header=BB6_12577 Depth=3
	s_xor_b32 s23, exec_lo, -1
; %bb.13924:                            ;   in Loop: Header=BB6_12577 Depth=3
	s_or_b32 exec_lo, exec_lo, s72
	s_and_b32 s23, s23, exec_lo
	s_or_saveexec_b32 s16, s16
	v_mov_b32_e32 v7, 0x7f800001
	s_xor_b32 exec_lo, exec_lo, s16
	s_cbranch_execnz .LBB6_14976
.LBB6_13925:                            ;   in Loop: Header=BB6_12577 Depth=3
	s_or_b32 exec_lo, exec_lo, s16
	v_lshl_or_b32 v6, v36, 16, v6
	s_and_saveexec_b32 s16, s23
	s_cbranch_execz .LBB6_13927
.LBB6_13926:                            ;   in Loop: Header=BB6_12577 Depth=3
	v_bfe_u32 v7, v6, 16, 2
	v_bfe_u32 v36, v6, 18, 5
	v_ffbh_u32_e32 v37, v7
	v_cmp_eq_u32_e32 vcc_lo, 0, v36
	v_min_u32_e32 v37, 32, v37
	v_subrev_nc_u32_e32 v54, 29, v37
	v_sub_nc_u32_e32 v37, 30, v37
	v_lshlrev_b32_sdwa v54, v54, v6 dst_sel:DWORD dst_unused:UNUSED_PAD src0_sel:DWORD src1_sel:WORD_1
	v_cndmask_b32_e32 v36, v36, v37, vcc_lo
	v_lshlrev_b32_e32 v37, 8, v6
	v_and_b32_e32 v54, 3, v54
	v_lshl_add_u32 v36, v36, 23, 0x37800000
	v_and_b32_e32 v37, 0x80000000, v37
	v_cndmask_b32_e32 v7, v7, v54, vcc_lo
	v_lshlrev_b32_e32 v7, 21, v7
	v_or3_b32 v7, v37, v36, v7
.LBB6_13927:                            ;   in Loop: Header=BB6_12577 Depth=3
	s_or_b32 exec_lo, exec_lo, s16
	v_and_b32_sdwa v37, v17, v40 dst_sel:DWORD dst_unused:UNUSED_PAD src0_sel:WORD_1 src1_sel:DWORD
	s_mov_b32 s23, 0
	s_mov_b32 s16, exec_lo
	v_cmpx_lt_i16_e32 0x7f, v37
	s_xor_b32 s16, exec_lo, s16
	s_cbranch_execz .LBB6_14977
; %bb.13928:                            ;   in Loop: Header=BB6_12577 Depth=3
	s_mov_b32 s23, -1
	s_mov_b32 s72, exec_lo
	v_cmpx_eq_u16_e32 0x80, v37
; %bb.13929:                            ;   in Loop: Header=BB6_12577 Depth=3
	s_xor_b32 s23, exec_lo, -1
; %bb.13930:                            ;   in Loop: Header=BB6_12577 Depth=3
	s_or_b32 exec_lo, exec_lo, s72
	s_and_b32 s23, s23, exec_lo
                                        ; implicit-def: $vgpr37
	s_or_saveexec_b32 s16, s16
	v_mov_b32_e32 v36, 0x7f800001
	s_xor_b32 exec_lo, exec_lo, s16
	s_cbranch_execnz .LBB6_14978
.LBB6_13931:                            ;   in Loop: Header=BB6_12577 Depth=3
	s_or_b32 exec_lo, exec_lo, s16
	s_and_saveexec_b32 s16, s23
	s_cbranch_execz .LBB6_13933
.LBB6_13932:                            ;   in Loop: Header=BB6_12577 Depth=3
	v_bfe_u32 v36, v17, 16, 2
	v_bfe_u32 v37, v17, 18, 5
	v_ffbh_u32_e32 v54, v36
	v_cmp_eq_u32_e32 vcc_lo, 0, v37
	v_min_u32_e32 v54, 32, v54
	v_subrev_nc_u32_e32 v101, 29, v54
	v_sub_nc_u32_e32 v54, 30, v54
	v_lshlrev_b32_sdwa v101, v101, v17 dst_sel:DWORD dst_unused:UNUSED_PAD src0_sel:DWORD src1_sel:WORD_1
	v_cndmask_b32_e32 v37, v37, v54, vcc_lo
	v_lshlrev_b32_e32 v54, 8, v17
	v_and_b32_e32 v101, 3, v101
	v_lshl_add_u32 v37, v37, 23, 0x37800000
	v_and_b32_e32 v54, 0x80000000, v54
	v_cndmask_b32_e32 v36, v36, v101, vcc_lo
	v_lshlrev_b32_e32 v36, 21, v36
	v_or3_b32 v36, v54, v37, v36
.LBB6_13933:                            ;   in Loop: Header=BB6_12577 Depth=3
	s_or_b32 exec_lo, exec_lo, s16
	v_add_f32_e32 v7, v7, v36
	v_mov_b32_e32 v54, 0x80
	s_mov_b32 s23, exec_lo
	v_and_b32_e32 v36, 0x7f800000, v7
	v_cmpx_ne_u32_e32 0x7f800000, v36
	s_cbranch_execz .LBB6_13941
; %bb.13934:                            ;   in Loop: Header=BB6_12577 Depth=3
	v_mov_b32_e32 v54, 0
	s_mov_b32 s72, exec_lo
	v_cmpx_ne_u32_e32 0, v7
	s_cbranch_execz .LBB6_13940
; %bb.13935:                            ;   in Loop: Header=BB6_12577 Depth=3
	v_bfe_u32 v37, v7, 23, 8
	v_and_b32_e32 v36, 0x7fffff, v7
	v_cmp_gt_u32_e64 s16, 0x71, v37
	v_sub_nc_u32_e32 v54, 0x70, v37
	v_cmp_eq_u32_e32 vcc_lo, 0, v37
	v_or_b32_e32 v101, 0x800000, v36
	v_cndmask_b32_e64 v54, 0, v54, s16
	v_cndmask_b32_e32 v36, v101, v36, vcc_lo
	v_cndmask_b32_e64 v54, v54, 0x6f, vcc_lo
	v_lshl_add_u32 v101, 0x200000, v54, -1
	v_lshlrev_b32_e64 v42, v54, 0x100000
	v_and_b32_e32 v101, v101, v36
	v_cmp_eq_u32_e64 s16, v101, v42
	v_lshrrev_b32_e32 v101, v54, v36
	v_add_nc_u32_e32 v36, 0xffffff91, v37
	v_lshrrev_b32_e32 v37, 23, v101
	v_cndmask_b32_e64 v36, v36, 0xffffff92, vcc_lo
	v_xor_b32_e32 v37, 1, v37
	v_add_nc_u32_e32 v36, v54, v36
	v_bfe_u32 v54, v101, 21, 1
	v_add_nc_u32_e32 v54, -1, v54
	v_cndmask_b32_e64 v54, 0, v54, s16
	s_mov_b32 s16, exec_lo
	v_add_nc_u32_e32 v54, v54, v101
	v_and_b32_e32 v54, 0x1fffff, v54
	v_add_nc_u32_e32 v54, v54, v101
                                        ; implicit-def: $vgpr101
	v_cmpx_ne_u32_e64 v36, v37
	s_xor_b32 s16, exec_lo, s16
; %bb.13936:                            ;   in Loop: Header=BB6_12577 Depth=3
	v_cmp_lt_u32_e32 vcc_lo, 0xffffff, v54
	v_sub_nc_u32_e32 v36, v36, v37
	v_cndmask_b32_e64 v37, 0, 1, vcc_lo
	v_add_co_ci_u32_e64 v101, null, 0, v36, vcc_lo
	v_lshrrev_b32_e32 v54, v37, v54
; %bb.13937:                            ;   in Loop: Header=BB6_12577 Depth=3
	s_andn2_saveexec_b32 s16, s16
; %bb.13938:                            ;   in Loop: Header=BB6_12577 Depth=3
	v_bfe_u32 v101, v54, 23, 1
; %bb.13939:                            ;   in Loop: Header=BB6_12577 Depth=3
	s_or_b32 exec_lo, exec_lo, s16
	v_lshrrev_b32_e32 v36, 21, v54
	v_min_i32_e32 v37, 31, v101
	v_cmp_gt_i32_e32 vcc_lo, 32, v101
	v_and_b32_sdwa v7, v7, v117 dst_sel:DWORD dst_unused:UNUSED_PAD src0_sel:BYTE_3 src1_sel:DWORD
	v_lshlrev_b32_e32 v37, 2, v37
	v_cndmask_b32_e32 v36, 3, v36, vcc_lo
	v_and_b32_e32 v37, 0xfc, v37
	v_or_b32_e32 v54, v101, v36
	v_and_b32_e32 v36, 3, v36
	v_cmp_ne_u32_e32 vcc_lo, 0, v54
	v_or3_b32 v7, v37, v7, v36
	v_cndmask_b32_e32 v54, 0, v7, vcc_lo
.LBB6_13940:                            ;   in Loop: Header=BB6_12577 Depth=3
	s_or_b32 exec_lo, exec_lo, s72
.LBB6_13941:                            ;   in Loop: Header=BB6_12577 Depth=3
	s_or_b32 exec_lo, exec_lo, s23
	v_cmp_gt_i16_sdwa s23, v6, v116 src0_sel:BYTE_3 src1_sel:DWORD
	s_mov_b32 s16, 0
	s_and_saveexec_b32 s72, s23
	s_xor_b32 s23, exec_lo, s72
	s_cbranch_execz .LBB6_14979
; %bb.13942:                            ;   in Loop: Header=BB6_12577 Depth=3
	v_cmp_eq_u16_sdwa s73, v6, v117 src0_sel:BYTE_3 src1_sel:DWORD
	s_mov_b32 s16, -1
	s_and_saveexec_b32 s72, s73
; %bb.13943:                            ;   in Loop: Header=BB6_12577 Depth=3
	s_xor_b32 s16, exec_lo, -1
; %bb.13944:                            ;   in Loop: Header=BB6_12577 Depth=3
	s_or_b32 exec_lo, exec_lo, s72
	s_and_b32 s16, s16, exec_lo
	s_or_saveexec_b32 s23, s23
	v_mov_b32_e32 v7, 0x7f800001
	s_xor_b32 exec_lo, exec_lo, s23
	s_cbranch_execnz .LBB6_14980
.LBB6_13945:                            ;   in Loop: Header=BB6_12577 Depth=3
	s_or_b32 exec_lo, exec_lo, s23
	s_and_saveexec_b32 s23, s16
	s_cbranch_execz .LBB6_13947
.LBB6_13946:                            ;   in Loop: Header=BB6_12577 Depth=3
	v_bfe_u32 v7, v6, 24, 2
	v_bfe_u32 v101, v6, 26, 5
	v_ffbh_u32_e32 v36, v7
	v_cmp_eq_u32_e32 vcc_lo, 0, v101
	v_min_u32_e32 v36, 32, v36
	v_subrev_nc_u32_e32 v37, 29, v36
	v_sub_nc_u32_e32 v36, 30, v36
	v_lshlrev_b32_sdwa v37, v37, v6 dst_sel:DWORD dst_unused:UNUSED_PAD src0_sel:DWORD src1_sel:BYTE_3
	v_cndmask_b32_e32 v36, v101, v36, vcc_lo
	v_and_b32_e32 v6, 0x80000000, v6
	v_and_b32_e32 v37, 3, v37
	v_lshl_add_u32 v36, v36, 23, 0x37800000
	v_cndmask_b32_e32 v7, v7, v37, vcc_lo
	v_lshlrev_b32_e32 v7, 21, v7
	v_or3_b32 v7, v6, v36, v7
.LBB6_13947:                            ;   in Loop: Header=BB6_12577 Depth=3
	s_or_b32 exec_lo, exec_lo, s23
	v_cmp_gt_i16_sdwa s23, v17, v116 src0_sel:BYTE_3 src1_sel:DWORD
	s_mov_b32 s16, 0
	s_and_saveexec_b32 s72, s23
	s_xor_b32 s23, exec_lo, s72
	s_cbranch_execz .LBB6_14981
; %bb.13948:                            ;   in Loop: Header=BB6_12577 Depth=3
	v_cmp_eq_u16_sdwa s73, v17, v117 src0_sel:BYTE_3 src1_sel:DWORD
	s_mov_b32 s16, -1
	s_and_saveexec_b32 s72, s73
; %bb.13949:                            ;   in Loop: Header=BB6_12577 Depth=3
	s_xor_b32 s16, exec_lo, -1
; %bb.13950:                            ;   in Loop: Header=BB6_12577 Depth=3
	s_or_b32 exec_lo, exec_lo, s72
	s_and_b32 s16, s16, exec_lo
	s_or_saveexec_b32 s23, s23
	v_mov_b32_e32 v6, 0x7f800001
	s_xor_b32 exec_lo, exec_lo, s23
	s_cbranch_execnz .LBB6_14982
.LBB6_13951:                            ;   in Loop: Header=BB6_12577 Depth=3
	s_or_b32 exec_lo, exec_lo, s23
	s_and_saveexec_b32 s23, s16
	s_cbranch_execz .LBB6_13953
.LBB6_13952:                            ;   in Loop: Header=BB6_12577 Depth=3
	v_bfe_u32 v6, v17, 24, 2
	v_bfe_u32 v101, v17, 26, 5
	v_ffbh_u32_e32 v36, v6
	v_cmp_eq_u32_e32 vcc_lo, 0, v101
	v_min_u32_e32 v36, 32, v36
	v_subrev_nc_u32_e32 v37, 29, v36
	v_sub_nc_u32_e32 v36, 30, v36
	v_lshlrev_b32_sdwa v37, v37, v17 dst_sel:DWORD dst_unused:UNUSED_PAD src0_sel:DWORD src1_sel:BYTE_3
	v_cndmask_b32_e32 v36, v101, v36, vcc_lo
	v_and_b32_e32 v17, 0x80000000, v17
	v_and_b32_e32 v37, 3, v37
	v_lshl_add_u32 v36, v36, 23, 0x37800000
	v_cndmask_b32_e32 v6, v6, v37, vcc_lo
	v_lshlrev_b32_e32 v6, 21, v6
	v_or3_b32 v6, v17, v36, v6
.LBB6_13953:                            ;   in Loop: Header=BB6_12577 Depth=3
	s_or_b32 exec_lo, exec_lo, s23
	v_add_f32_e32 v6, v7, v6
	v_mov_b32_e32 v17, 0x8000
	s_mov_b32 s23, exec_lo
	v_and_b32_e32 v7, 0x7f800000, v6
	v_cmpx_ne_u32_e32 0x7f800000, v7
	s_cbranch_execz .LBB6_13961
; %bb.13954:                            ;   in Loop: Header=BB6_12577 Depth=3
	v_mov_b32_e32 v17, 0
	s_mov_b32 s72, exec_lo
	v_cmpx_ne_u32_e32 0, v6
	s_cbranch_execz .LBB6_13960
; %bb.13955:                            ;   in Loop: Header=BB6_12577 Depth=3
	v_bfe_u32 v17, v6, 23, 8
	v_and_b32_e32 v7, 0x7fffff, v6
	v_cmp_gt_u32_e64 s16, 0x71, v17
	v_sub_nc_u32_e32 v36, 0x70, v17
	v_cmp_eq_u32_e32 vcc_lo, 0, v17
	v_or_b32_e32 v37, 0x800000, v7
	v_cndmask_b32_e64 v36, 0, v36, s16
	v_cndmask_b32_e32 v7, v37, v7, vcc_lo
	v_cndmask_b32_e64 v36, v36, 0x6f, vcc_lo
	v_lshl_add_u32 v37, 0x200000, v36, -1
	v_lshlrev_b32_e64 v101, v36, 0x100000
	v_and_b32_e32 v37, v37, v7
	v_cmp_eq_u32_e64 s16, v37, v101
	v_lshrrev_b32_e32 v37, v36, v7
	v_add_nc_u32_e32 v7, 0xffffff91, v17
	v_lshrrev_b32_e32 v17, 23, v37
	v_cndmask_b32_e64 v7, v7, 0xffffff92, vcc_lo
	v_xor_b32_e32 v17, 1, v17
	v_add_nc_u32_e32 v7, v36, v7
	v_bfe_u32 v36, v37, 21, 1
	v_add_nc_u32_e32 v36, -1, v36
	v_cndmask_b32_e64 v36, 0, v36, s16
	s_mov_b32 s16, exec_lo
	v_add_nc_u32_e32 v36, v36, v37
	v_and_b32_e32 v36, 0x1fffff, v36
	v_add_nc_u32_e32 v36, v36, v37
                                        ; implicit-def: $vgpr37
	v_cmpx_ne_u32_e64 v7, v17
	s_xor_b32 s16, exec_lo, s16
; %bb.13956:                            ;   in Loop: Header=BB6_12577 Depth=3
	v_cmp_lt_u32_e32 vcc_lo, 0xffffff, v36
	v_sub_nc_u32_e32 v7, v7, v17
	v_cndmask_b32_e64 v17, 0, 1, vcc_lo
	v_add_co_ci_u32_e64 v37, null, 0, v7, vcc_lo
	v_lshrrev_b32_e32 v36, v17, v36
; %bb.13957:                            ;   in Loop: Header=BB6_12577 Depth=3
	s_andn2_saveexec_b32 s16, s16
; %bb.13958:                            ;   in Loop: Header=BB6_12577 Depth=3
	v_bfe_u32 v37, v36, 23, 1
; %bb.13959:                            ;   in Loop: Header=BB6_12577 Depth=3
	s_or_b32 exec_lo, exec_lo, s16
	v_lshrrev_b32_e32 v7, 21, v36
	v_min_i32_e32 v17, 31, v37
	v_cmp_gt_i32_e32 vcc_lo, 32, v37
	v_and_b32_sdwa v6, v6, v117 dst_sel:DWORD dst_unused:UNUSED_PAD src0_sel:BYTE_3 src1_sel:DWORD
	v_lshlrev_b32_e32 v17, 2, v17
	v_cndmask_b32_e32 v7, 3, v7, vcc_lo
	v_and_b32_e32 v17, 0xfc, v17
	v_or_b32_e32 v36, v37, v7
	v_and_b32_e32 v7, 3, v7
	v_cmp_ne_u32_e32 vcc_lo, 0, v36
	v_or3_b32 v6, v6, v17, v7
	v_lshlrev_b32_e32 v6, 8, v6
	v_cndmask_b32_e32 v17, 0, v6, vcc_lo
.LBB6_13960:                            ;   in Loop: Header=BB6_12577 Depth=3
	s_or_b32 exec_lo, exec_lo, s72
.LBB6_13961:                            ;   in Loop: Header=BB6_12577 Depth=3
	s_or_b32 exec_lo, exec_lo, s23
	v_or_b32_e32 v6, v41, v43
	s_mov_b32 s23, 0
	v_cmp_gt_i16_sdwa s16, v6, v116 src0_sel:BYTE_0 src1_sel:DWORD
	s_and_saveexec_b32 s72, s16
	s_xor_b32 s16, exec_lo, s72
	s_cbranch_execz .LBB6_14983
; %bb.13962:                            ;   in Loop: Header=BB6_12577 Depth=3
	v_cmp_eq_u16_sdwa s73, v6, v117 src0_sel:BYTE_0 src1_sel:DWORD
	s_mov_b32 s23, -1
	s_and_saveexec_b32 s72, s73
; %bb.13963:                            ;   in Loop: Header=BB6_12577 Depth=3
	s_xor_b32 s23, exec_lo, -1
; %bb.13964:                            ;   in Loop: Header=BB6_12577 Depth=3
	s_or_b32 exec_lo, exec_lo, s72
	s_and_b32 s23, s23, exec_lo
	s_or_saveexec_b32 s16, s16
	v_mov_b32_e32 v7, 0x7f800001
	s_xor_b32 exec_lo, exec_lo, s16
	s_cbranch_execnz .LBB6_14984
.LBB6_13965:                            ;   in Loop: Header=BB6_12577 Depth=3
	s_or_b32 exec_lo, exec_lo, s16
	s_and_saveexec_b32 s16, s23
	s_cbranch_execz .LBB6_13967
.LBB6_13966:                            ;   in Loop: Header=BB6_12577 Depth=3
	v_and_b32_e32 v7, 3, v6
	v_bfe_u32 v36, v6, 2, 5
	v_ffbh_u32_e32 v37, v7
	v_cmp_eq_u32_e32 vcc_lo, 0, v36
	v_min_u32_e32 v37, 32, v37
	v_subrev_nc_u32_e32 v101, 29, v37
	v_sub_nc_u32_e32 v37, 30, v37
	v_lshlrev_b32_e32 v101, v101, v6
	v_cndmask_b32_e32 v36, v36, v37, vcc_lo
	v_lshlrev_b32_e32 v37, 24, v6
	v_and_b32_e32 v101, 3, v101
	v_lshl_add_u32 v36, v36, 23, 0x37800000
	v_and_b32_e32 v37, 0x80000000, v37
	v_cndmask_b32_e32 v7, v7, v101, vcc_lo
	v_lshlrev_b32_e32 v7, 21, v7
	v_or3_b32 v7, v37, v36, v7
.LBB6_13967:                            ;   in Loop: Header=BB6_12577 Depth=3
	s_or_b32 exec_lo, exec_lo, s16
	v_cmp_gt_i16_sdwa s16, v18, v116 src0_sel:BYTE_0 src1_sel:DWORD
	s_mov_b32 s23, 0
	s_and_saveexec_b32 s72, s16
	s_xor_b32 s16, exec_lo, s72
	s_cbranch_execz .LBB6_14985
; %bb.13968:                            ;   in Loop: Header=BB6_12577 Depth=3
	v_cmp_eq_u16_sdwa s73, v18, v117 src0_sel:BYTE_0 src1_sel:DWORD
	s_mov_b32 s23, -1
	s_and_saveexec_b32 s72, s73
; %bb.13969:                            ;   in Loop: Header=BB6_12577 Depth=3
	s_xor_b32 s23, exec_lo, -1
; %bb.13970:                            ;   in Loop: Header=BB6_12577 Depth=3
	s_or_b32 exec_lo, exec_lo, s72
	s_and_b32 s23, s23, exec_lo
	s_or_saveexec_b32 s16, s16
	v_mov_b32_e32 v36, 0x7f800001
	s_xor_b32 exec_lo, exec_lo, s16
	s_cbranch_execnz .LBB6_14986
.LBB6_13971:                            ;   in Loop: Header=BB6_12577 Depth=3
	s_or_b32 exec_lo, exec_lo, s16
	s_and_saveexec_b32 s16, s23
	s_cbranch_execz .LBB6_13973
.LBB6_13972:                            ;   in Loop: Header=BB6_12577 Depth=3
	v_and_b32_e32 v36, 3, v18
	v_bfe_u32 v37, v18, 2, 5
	v_ffbh_u32_e32 v101, v36
	v_cmp_eq_u32_e32 vcc_lo, 0, v37
	v_min_u32_e32 v101, 32, v101
	v_subrev_nc_u32_e32 v41, 29, v101
	v_sub_nc_u32_e32 v101, 30, v101
	v_lshlrev_b32_e32 v41, v41, v18
	v_cndmask_b32_e32 v37, v37, v101, vcc_lo
	v_lshlrev_b32_e32 v101, 24, v18
	v_and_b32_e32 v41, 3, v41
	v_lshl_add_u32 v37, v37, 23, 0x37800000
	v_and_b32_e32 v101, 0x80000000, v101
	v_cndmask_b32_e32 v36, v36, v41, vcc_lo
	v_lshlrev_b32_e32 v36, 21, v36
	v_or3_b32 v36, v101, v37, v36
.LBB6_13973:                            ;   in Loop: Header=BB6_12577 Depth=3
	s_or_b32 exec_lo, exec_lo, s16
	v_add_f32_e32 v7, v7, v36
	v_mov_b32_e32 v41, 0x80
	s_mov_b32 s23, exec_lo
	v_and_b32_e32 v36, 0x7f800000, v7
	v_cmpx_ne_u32_e32 0x7f800000, v36
	s_cbranch_execz .LBB6_13981
; %bb.13974:                            ;   in Loop: Header=BB6_12577 Depth=3
	v_mov_b32_e32 v41, 0
	s_mov_b32 s72, exec_lo
	v_cmpx_ne_u32_e32 0, v7
	s_cbranch_execz .LBB6_13980
; %bb.13975:                            ;   in Loop: Header=BB6_12577 Depth=3
	v_bfe_u32 v37, v7, 23, 8
	v_and_b32_e32 v36, 0x7fffff, v7
	v_cmp_gt_u32_e64 s16, 0x71, v37
	v_sub_nc_u32_e32 v101, 0x70, v37
	v_cmp_eq_u32_e32 vcc_lo, 0, v37
	v_or_b32_e32 v41, 0x800000, v36
	v_cndmask_b32_e64 v101, 0, v101, s16
	v_cndmask_b32_e32 v36, v41, v36, vcc_lo
	v_cndmask_b32_e64 v101, v101, 0x6f, vcc_lo
	v_lshl_add_u32 v41, 0x200000, v101, -1
	v_lshlrev_b32_e64 v42, v101, 0x100000
	v_and_b32_e32 v41, v41, v36
	v_cmp_eq_u32_e64 s16, v41, v42
	v_lshrrev_b32_e32 v41, v101, v36
	v_add_nc_u32_e32 v36, 0xffffff91, v37
	v_lshrrev_b32_e32 v37, 23, v41
	v_cndmask_b32_e64 v36, v36, 0xffffff92, vcc_lo
	v_xor_b32_e32 v37, 1, v37
	v_add_nc_u32_e32 v36, v101, v36
	v_bfe_u32 v101, v41, 21, 1
	v_add_nc_u32_e32 v101, -1, v101
	v_cndmask_b32_e64 v101, 0, v101, s16
	s_mov_b32 s16, exec_lo
	v_add_nc_u32_e32 v101, v101, v41
	v_and_b32_e32 v101, 0x1fffff, v101
	v_add_nc_u32_e32 v101, v101, v41
                                        ; implicit-def: $vgpr41
	v_cmpx_ne_u32_e64 v36, v37
	s_xor_b32 s16, exec_lo, s16
; %bb.13976:                            ;   in Loop: Header=BB6_12577 Depth=3
	v_cmp_lt_u32_e32 vcc_lo, 0xffffff, v101
	v_sub_nc_u32_e32 v36, v36, v37
	v_cndmask_b32_e64 v37, 0, 1, vcc_lo
	v_add_co_ci_u32_e64 v41, null, 0, v36, vcc_lo
	v_lshrrev_b32_e32 v101, v37, v101
; %bb.13977:                            ;   in Loop: Header=BB6_12577 Depth=3
	s_andn2_saveexec_b32 s16, s16
; %bb.13978:                            ;   in Loop: Header=BB6_12577 Depth=3
	v_bfe_u32 v41, v101, 23, 1
; %bb.13979:                            ;   in Loop: Header=BB6_12577 Depth=3
	s_or_b32 exec_lo, exec_lo, s16
	v_lshrrev_b32_e32 v36, 21, v101
	v_min_i32_e32 v37, 31, v41
	v_cmp_gt_i32_e32 vcc_lo, 32, v41
	v_and_b32_sdwa v7, v7, v117 dst_sel:DWORD dst_unused:UNUSED_PAD src0_sel:BYTE_3 src1_sel:DWORD
	v_lshlrev_b32_e32 v37, 2, v37
	v_cndmask_b32_e32 v36, 3, v36, vcc_lo
	v_and_b32_e32 v37, 0xfc, v37
	v_or_b32_e32 v101, v41, v36
	v_and_b32_e32 v36, 3, v36
	v_cmp_ne_u32_e32 vcc_lo, 0, v101
	v_or3_b32 v7, v37, v7, v36
	v_cndmask_b32_e32 v41, 0, v7, vcc_lo
.LBB6_13980:                            ;   in Loop: Header=BB6_12577 Depth=3
	s_or_b32 exec_lo, exec_lo, s72
.LBB6_13981:                            ;   in Loop: Header=BB6_12577 Depth=3
	s_or_b32 exec_lo, exec_lo, s23
	v_cmp_gt_i16_sdwa s23, v6, v116 src0_sel:BYTE_1 src1_sel:DWORD
	s_mov_b32 s16, 0
	s_and_saveexec_b32 s72, s23
	s_xor_b32 s23, exec_lo, s72
	s_cbranch_execz .LBB6_14987
; %bb.13982:                            ;   in Loop: Header=BB6_12577 Depth=3
	v_cmp_eq_u16_sdwa s73, v6, v117 src0_sel:BYTE_1 src1_sel:DWORD
	s_mov_b32 s16, -1
	s_and_saveexec_b32 s72, s73
; %bb.13983:                            ;   in Loop: Header=BB6_12577 Depth=3
	s_xor_b32 s16, exec_lo, -1
; %bb.13984:                            ;   in Loop: Header=BB6_12577 Depth=3
	s_or_b32 exec_lo, exec_lo, s72
	s_and_b32 s16, s16, exec_lo
	s_or_saveexec_b32 s23, s23
	v_mov_b32_e32 v7, 0x7f800001
	s_xor_b32 exec_lo, exec_lo, s23
	s_cbranch_execnz .LBB6_14988
.LBB6_13985:                            ;   in Loop: Header=BB6_12577 Depth=3
	s_or_b32 exec_lo, exec_lo, s23
	s_and_saveexec_b32 s23, s16
	s_cbranch_execz .LBB6_13987
.LBB6_13986:                            ;   in Loop: Header=BB6_12577 Depth=3
	v_and_b32_sdwa v7, v118, v6 dst_sel:DWORD dst_unused:UNUSED_PAD src0_sel:DWORD src1_sel:BYTE_1
	v_and_b32_e32 v36, 3, v7
	v_bfe_u32 v42, v7, 2, 5
	v_ffbh_u32_e32 v37, v36
	v_cmp_eq_u32_e32 vcc_lo, 0, v42
	v_min_u32_e32 v37, 32, v37
	v_subrev_nc_u32_e32 v101, 29, v37
	v_sub_nc_u32_e32 v37, 30, v37
	v_lshlrev_b32_e32 v7, v101, v7
	v_lshlrev_b32_sdwa v101, v119, v6 dst_sel:DWORD dst_unused:UNUSED_PAD src0_sel:DWORD src1_sel:BYTE_1
	v_cndmask_b32_e32 v37, v42, v37, vcc_lo
	v_and_b32_e32 v7, 3, v7
	v_lshl_add_u32 v37, v37, 23, 0x37800000
	v_cndmask_b32_e32 v7, v36, v7, vcc_lo
	v_and_b32_e32 v36, 0x80000000, v101
	v_lshlrev_b32_e32 v7, 21, v7
	v_or3_b32 v7, v36, v37, v7
.LBB6_13987:                            ;   in Loop: Header=BB6_12577 Depth=3
	s_or_b32 exec_lo, exec_lo, s23
	v_cmp_gt_i16_sdwa s23, v18, v116 src0_sel:BYTE_1 src1_sel:DWORD
	s_mov_b32 s16, 0
	s_and_saveexec_b32 s72, s23
	s_xor_b32 s23, exec_lo, s72
	s_cbranch_execz .LBB6_14989
; %bb.13988:                            ;   in Loop: Header=BB6_12577 Depth=3
	v_cmp_eq_u16_sdwa s73, v18, v117 src0_sel:BYTE_1 src1_sel:DWORD
	s_mov_b32 s16, -1
	s_and_saveexec_b32 s72, s73
; %bb.13989:                            ;   in Loop: Header=BB6_12577 Depth=3
	s_xor_b32 s16, exec_lo, -1
; %bb.13990:                            ;   in Loop: Header=BB6_12577 Depth=3
	s_or_b32 exec_lo, exec_lo, s72
	s_and_b32 s16, s16, exec_lo
	s_or_saveexec_b32 s23, s23
	v_mov_b32_e32 v36, 0x7f800001
	s_xor_b32 exec_lo, exec_lo, s23
	s_cbranch_execnz .LBB6_14990
.LBB6_13991:                            ;   in Loop: Header=BB6_12577 Depth=3
	s_or_b32 exec_lo, exec_lo, s23
	s_and_saveexec_b32 s23, s16
	s_cbranch_execz .LBB6_13993
.LBB6_13992:                            ;   in Loop: Header=BB6_12577 Depth=3
	v_and_b32_sdwa v36, v118, v18 dst_sel:DWORD dst_unused:UNUSED_PAD src0_sel:DWORD src1_sel:BYTE_1
	v_and_b32_e32 v37, 3, v36
	v_bfe_u32 v43, v36, 2, 5
	v_ffbh_u32_e32 v101, v37
	v_cmp_eq_u32_e32 vcc_lo, 0, v43
	v_min_u32_e32 v101, 32, v101
	v_subrev_nc_u32_e32 v42, 29, v101
	v_sub_nc_u32_e32 v101, 30, v101
	v_lshlrev_b32_e32 v36, v42, v36
	v_lshlrev_b32_sdwa v42, v119, v18 dst_sel:DWORD dst_unused:UNUSED_PAD src0_sel:DWORD src1_sel:BYTE_1
	v_cndmask_b32_e32 v101, v43, v101, vcc_lo
	v_and_b32_e32 v36, 3, v36
	v_lshl_add_u32 v101, v101, 23, 0x37800000
	v_cndmask_b32_e32 v36, v37, v36, vcc_lo
	v_and_b32_e32 v37, 0x80000000, v42
	v_lshlrev_b32_e32 v36, 21, v36
	v_or3_b32 v36, v37, v101, v36
.LBB6_13993:                            ;   in Loop: Header=BB6_12577 Depth=3
	s_or_b32 exec_lo, exec_lo, s23
	v_add_f32_e32 v7, v7, v36
	v_mov_b32_e32 v43, 0x8000
	s_mov_b32 s23, exec_lo
	v_and_b32_e32 v36, 0x7f800000, v7
	v_cmpx_ne_u32_e32 0x7f800000, v36
	s_cbranch_execz .LBB6_14001
; %bb.13994:                            ;   in Loop: Header=BB6_12577 Depth=3
	v_mov_b32_e32 v43, 0
	s_mov_b32 s72, exec_lo
	v_cmpx_ne_u32_e32 0, v7
	s_cbranch_execz .LBB6_14000
; %bb.13995:                            ;   in Loop: Header=BB6_12577 Depth=3
	v_bfe_u32 v37, v7, 23, 8
	v_and_b32_e32 v36, 0x7fffff, v7
	v_cmp_gt_u32_e64 s16, 0x71, v37
	v_sub_nc_u32_e32 v101, 0x70, v37
	v_cmp_eq_u32_e32 vcc_lo, 0, v37
	v_or_b32_e32 v42, 0x800000, v36
	v_cndmask_b32_e64 v101, 0, v101, s16
	v_cndmask_b32_e32 v36, v42, v36, vcc_lo
	v_cndmask_b32_e64 v101, v101, 0x6f, vcc_lo
	v_lshl_add_u32 v42, 0x200000, v101, -1
	v_lshlrev_b32_e64 v43, v101, 0x100000
	v_and_b32_e32 v42, v42, v36
	v_cmp_eq_u32_e64 s16, v42, v43
	v_lshrrev_b32_e32 v42, v101, v36
	v_add_nc_u32_e32 v36, 0xffffff91, v37
	v_lshrrev_b32_e32 v37, 23, v42
	v_cndmask_b32_e64 v36, v36, 0xffffff92, vcc_lo
	v_xor_b32_e32 v37, 1, v37
	v_add_nc_u32_e32 v36, v101, v36
	v_bfe_u32 v101, v42, 21, 1
	v_add_nc_u32_e32 v101, -1, v101
	v_cndmask_b32_e64 v101, 0, v101, s16
	s_mov_b32 s16, exec_lo
	v_add_nc_u32_e32 v101, v101, v42
	v_and_b32_e32 v101, 0x1fffff, v101
	v_add_nc_u32_e32 v101, v101, v42
                                        ; implicit-def: $vgpr42
	v_cmpx_ne_u32_e64 v36, v37
	s_xor_b32 s16, exec_lo, s16
; %bb.13996:                            ;   in Loop: Header=BB6_12577 Depth=3
	v_cmp_lt_u32_e32 vcc_lo, 0xffffff, v101
	v_sub_nc_u32_e32 v36, v36, v37
	v_cndmask_b32_e64 v37, 0, 1, vcc_lo
	v_add_co_ci_u32_e64 v42, null, 0, v36, vcc_lo
	v_lshrrev_b32_e32 v101, v37, v101
; %bb.13997:                            ;   in Loop: Header=BB6_12577 Depth=3
	s_andn2_saveexec_b32 s16, s16
; %bb.13998:                            ;   in Loop: Header=BB6_12577 Depth=3
	v_bfe_u32 v42, v101, 23, 1
; %bb.13999:                            ;   in Loop: Header=BB6_12577 Depth=3
	s_or_b32 exec_lo, exec_lo, s16
	v_lshrrev_b32_e32 v36, 21, v101
	v_min_i32_e32 v37, 31, v42
	v_cmp_gt_i32_e32 vcc_lo, 32, v42
	v_and_b32_sdwa v7, v7, v117 dst_sel:DWORD dst_unused:UNUSED_PAD src0_sel:BYTE_3 src1_sel:DWORD
	v_lshlrev_b32_e32 v37, 2, v37
	v_cndmask_b32_e32 v36, 3, v36, vcc_lo
	v_and_b32_e32 v37, 0xfc, v37
	v_or_b32_e32 v101, v42, v36
	v_and_b32_e32 v36, 3, v36
	v_cmp_ne_u32_e32 vcc_lo, 0, v101
	v_or3_b32 v7, v7, v37, v36
	v_lshlrev_b32_e32 v7, 8, v7
	v_cndmask_b32_e32 v43, 0, v7, vcc_lo
.LBB6_14000:                            ;   in Loop: Header=BB6_12577 Depth=3
	s_or_b32 exec_lo, exec_lo, s72
.LBB6_14001:                            ;   in Loop: Header=BB6_12577 Depth=3
	s_or_b32 exec_lo, exec_lo, s23
	v_or_b32_e32 v36, v81, v80
	s_mov_b32 s23, 0
	v_cmp_gt_i16_sdwa s16, v36, v116 src0_sel:BYTE_0 src1_sel:DWORD
	s_and_saveexec_b32 s72, s16
	s_xor_b32 s16, exec_lo, s72
	s_cbranch_execz .LBB6_14991
; %bb.14002:                            ;   in Loop: Header=BB6_12577 Depth=3
	v_cmp_eq_u16_sdwa s73, v36, v117 src0_sel:BYTE_0 src1_sel:DWORD
	s_mov_b32 s23, -1
	s_and_saveexec_b32 s72, s73
; %bb.14003:                            ;   in Loop: Header=BB6_12577 Depth=3
	s_xor_b32 s23, exec_lo, -1
; %bb.14004:                            ;   in Loop: Header=BB6_12577 Depth=3
	s_or_b32 exec_lo, exec_lo, s72
	s_and_b32 s23, s23, exec_lo
	s_or_saveexec_b32 s16, s16
	v_mov_b32_e32 v7, 0x7f800001
	s_xor_b32 exec_lo, exec_lo, s16
	s_cbranch_execnz .LBB6_14992
.LBB6_14005:                            ;   in Loop: Header=BB6_12577 Depth=3
	s_or_b32 exec_lo, exec_lo, s16
	v_lshl_or_b32 v6, v36, 16, v6
	s_and_saveexec_b32 s16, s23
	s_cbranch_execz .LBB6_14007
.LBB6_14006:                            ;   in Loop: Header=BB6_12577 Depth=3
	v_bfe_u32 v7, v6, 16, 2
	v_bfe_u32 v36, v6, 18, 5
	v_ffbh_u32_e32 v37, v7
	v_cmp_eq_u32_e32 vcc_lo, 0, v36
	v_min_u32_e32 v37, 32, v37
	v_subrev_nc_u32_e32 v80, 29, v37
	v_sub_nc_u32_e32 v37, 30, v37
	v_lshlrev_b32_sdwa v80, v80, v6 dst_sel:DWORD dst_unused:UNUSED_PAD src0_sel:DWORD src1_sel:WORD_1
	v_cndmask_b32_e32 v36, v36, v37, vcc_lo
	v_lshlrev_b32_e32 v37, 8, v6
	v_and_b32_e32 v80, 3, v80
	v_lshl_add_u32 v36, v36, 23, 0x37800000
	v_and_b32_e32 v37, 0x80000000, v37
	v_cndmask_b32_e32 v7, v7, v80, vcc_lo
	v_lshlrev_b32_e32 v7, 21, v7
	v_or3_b32 v7, v37, v36, v7
.LBB6_14007:                            ;   in Loop: Header=BB6_12577 Depth=3
	s_or_b32 exec_lo, exec_lo, s16
	v_and_b32_sdwa v37, v18, v40 dst_sel:DWORD dst_unused:UNUSED_PAD src0_sel:WORD_1 src1_sel:DWORD
	s_mov_b32 s23, 0
	s_mov_b32 s16, exec_lo
	v_cmpx_lt_i16_e32 0x7f, v37
	s_xor_b32 s16, exec_lo, s16
	s_cbranch_execz .LBB6_14993
; %bb.14008:                            ;   in Loop: Header=BB6_12577 Depth=3
	s_mov_b32 s23, -1
	s_mov_b32 s72, exec_lo
	v_cmpx_eq_u16_e32 0x80, v37
; %bb.14009:                            ;   in Loop: Header=BB6_12577 Depth=3
	s_xor_b32 s23, exec_lo, -1
; %bb.14010:                            ;   in Loop: Header=BB6_12577 Depth=3
	s_or_b32 exec_lo, exec_lo, s72
	s_and_b32 s23, s23, exec_lo
                                        ; implicit-def: $vgpr37
	s_or_saveexec_b32 s16, s16
	v_mov_b32_e32 v36, 0x7f800001
	s_xor_b32 exec_lo, exec_lo, s16
	s_cbranch_execnz .LBB6_14994
.LBB6_14011:                            ;   in Loop: Header=BB6_12577 Depth=3
	s_or_b32 exec_lo, exec_lo, s16
	s_and_saveexec_b32 s16, s23
	s_cbranch_execz .LBB6_14013
.LBB6_14012:                            ;   in Loop: Header=BB6_12577 Depth=3
	v_bfe_u32 v36, v18, 16, 2
	v_bfe_u32 v37, v18, 18, 5
	v_ffbh_u32_e32 v80, v36
	v_cmp_eq_u32_e32 vcc_lo, 0, v37
	v_min_u32_e32 v80, 32, v80
	v_subrev_nc_u32_e32 v81, 29, v80
	v_sub_nc_u32_e32 v80, 30, v80
	v_lshlrev_b32_sdwa v81, v81, v18 dst_sel:DWORD dst_unused:UNUSED_PAD src0_sel:DWORD src1_sel:WORD_1
	v_cndmask_b32_e32 v37, v37, v80, vcc_lo
	v_lshlrev_b32_e32 v80, 8, v18
	v_and_b32_e32 v81, 3, v81
	v_lshl_add_u32 v37, v37, 23, 0x37800000
	v_and_b32_e32 v80, 0x80000000, v80
	v_cndmask_b32_e32 v36, v36, v81, vcc_lo
	v_lshlrev_b32_e32 v36, 21, v36
	v_or3_b32 v36, v80, v37, v36
.LBB6_14013:                            ;   in Loop: Header=BB6_12577 Depth=3
	s_or_b32 exec_lo, exec_lo, s16
	v_add_f32_e32 v7, v7, v36
	v_mov_b32_e32 v80, 0x80
	s_mov_b32 s23, exec_lo
	v_and_b32_e32 v36, 0x7f800000, v7
	v_cmpx_ne_u32_e32 0x7f800000, v36
	s_cbranch_execz .LBB6_14021
; %bb.14014:                            ;   in Loop: Header=BB6_12577 Depth=3
	v_mov_b32_e32 v80, 0
	s_mov_b32 s72, exec_lo
	v_cmpx_ne_u32_e32 0, v7
	s_cbranch_execz .LBB6_14020
; %bb.14015:                            ;   in Loop: Header=BB6_12577 Depth=3
	v_bfe_u32 v37, v7, 23, 8
	v_and_b32_e32 v36, 0x7fffff, v7
	v_cmp_gt_u32_e64 s16, 0x71, v37
	v_sub_nc_u32_e32 v80, 0x70, v37
	v_cmp_eq_u32_e32 vcc_lo, 0, v37
	v_or_b32_e32 v81, 0x800000, v36
	v_cndmask_b32_e64 v80, 0, v80, s16
	v_cndmask_b32_e32 v36, v81, v36, vcc_lo
	v_cndmask_b32_e64 v80, v80, 0x6f, vcc_lo
	v_lshl_add_u32 v81, 0x200000, v80, -1
	v_lshlrev_b32_e64 v101, v80, 0x100000
	v_and_b32_e32 v81, v81, v36
	v_cmp_eq_u32_e64 s16, v81, v101
	v_lshrrev_b32_e32 v81, v80, v36
	v_add_nc_u32_e32 v36, 0xffffff91, v37
	v_lshrrev_b32_e32 v37, 23, v81
	v_cndmask_b32_e64 v36, v36, 0xffffff92, vcc_lo
	v_xor_b32_e32 v37, 1, v37
	v_add_nc_u32_e32 v36, v80, v36
	v_bfe_u32 v80, v81, 21, 1
	v_add_nc_u32_e32 v80, -1, v80
	v_cndmask_b32_e64 v80, 0, v80, s16
	s_mov_b32 s16, exec_lo
	v_add_nc_u32_e32 v80, v80, v81
	v_and_b32_e32 v80, 0x1fffff, v80
	v_add_nc_u32_e32 v80, v80, v81
                                        ; implicit-def: $vgpr81
	v_cmpx_ne_u32_e64 v36, v37
	s_xor_b32 s16, exec_lo, s16
; %bb.14016:                            ;   in Loop: Header=BB6_12577 Depth=3
	v_cmp_lt_u32_e32 vcc_lo, 0xffffff, v80
	v_sub_nc_u32_e32 v36, v36, v37
	v_cndmask_b32_e64 v37, 0, 1, vcc_lo
	v_add_co_ci_u32_e64 v81, null, 0, v36, vcc_lo
	v_lshrrev_b32_e32 v80, v37, v80
; %bb.14017:                            ;   in Loop: Header=BB6_12577 Depth=3
	s_andn2_saveexec_b32 s16, s16
; %bb.14018:                            ;   in Loop: Header=BB6_12577 Depth=3
	v_bfe_u32 v81, v80, 23, 1
; %bb.14019:                            ;   in Loop: Header=BB6_12577 Depth=3
	s_or_b32 exec_lo, exec_lo, s16
	v_lshrrev_b32_e32 v36, 21, v80
	v_min_i32_e32 v37, 31, v81
	v_cmp_gt_i32_e32 vcc_lo, 32, v81
	v_and_b32_sdwa v7, v7, v117 dst_sel:DWORD dst_unused:UNUSED_PAD src0_sel:BYTE_3 src1_sel:DWORD
	v_lshlrev_b32_e32 v37, 2, v37
	v_cndmask_b32_e32 v36, 3, v36, vcc_lo
	v_and_b32_e32 v37, 0xfc, v37
	v_or_b32_e32 v80, v81, v36
	v_and_b32_e32 v36, 3, v36
	v_cmp_ne_u32_e32 vcc_lo, 0, v80
	v_or3_b32 v7, v37, v7, v36
	v_cndmask_b32_e32 v80, 0, v7, vcc_lo
.LBB6_14020:                            ;   in Loop: Header=BB6_12577 Depth=3
	s_or_b32 exec_lo, exec_lo, s72
.LBB6_14021:                            ;   in Loop: Header=BB6_12577 Depth=3
	s_or_b32 exec_lo, exec_lo, s23
	v_cmp_gt_i16_sdwa s23, v6, v116 src0_sel:BYTE_3 src1_sel:DWORD
	s_mov_b32 s16, 0
	s_and_saveexec_b32 s72, s23
	s_xor_b32 s23, exec_lo, s72
	s_cbranch_execz .LBB6_14995
; %bb.14022:                            ;   in Loop: Header=BB6_12577 Depth=3
	v_cmp_eq_u16_sdwa s73, v6, v117 src0_sel:BYTE_3 src1_sel:DWORD
	s_mov_b32 s16, -1
	s_and_saveexec_b32 s72, s73
; %bb.14023:                            ;   in Loop: Header=BB6_12577 Depth=3
	s_xor_b32 s16, exec_lo, -1
; %bb.14024:                            ;   in Loop: Header=BB6_12577 Depth=3
	s_or_b32 exec_lo, exec_lo, s72
	s_and_b32 s16, s16, exec_lo
	s_or_saveexec_b32 s23, s23
	v_mov_b32_e32 v7, 0x7f800001
	s_xor_b32 exec_lo, exec_lo, s23
	s_cbranch_execnz .LBB6_14996
.LBB6_14025:                            ;   in Loop: Header=BB6_12577 Depth=3
	s_or_b32 exec_lo, exec_lo, s23
	s_and_saveexec_b32 s23, s16
	s_cbranch_execz .LBB6_14027
.LBB6_14026:                            ;   in Loop: Header=BB6_12577 Depth=3
	v_bfe_u32 v7, v6, 24, 2
	v_bfe_u32 v81, v6, 26, 5
	v_ffbh_u32_e32 v36, v7
	v_cmp_eq_u32_e32 vcc_lo, 0, v81
	v_min_u32_e32 v36, 32, v36
	v_subrev_nc_u32_e32 v37, 29, v36
	v_sub_nc_u32_e32 v36, 30, v36
	v_lshlrev_b32_sdwa v37, v37, v6 dst_sel:DWORD dst_unused:UNUSED_PAD src0_sel:DWORD src1_sel:BYTE_3
	v_cndmask_b32_e32 v36, v81, v36, vcc_lo
	v_and_b32_e32 v6, 0x80000000, v6
	v_and_b32_e32 v37, 3, v37
	v_lshl_add_u32 v36, v36, 23, 0x37800000
	v_cndmask_b32_e32 v7, v7, v37, vcc_lo
	v_lshlrev_b32_e32 v7, 21, v7
	v_or3_b32 v7, v6, v36, v7
.LBB6_14027:                            ;   in Loop: Header=BB6_12577 Depth=3
	s_or_b32 exec_lo, exec_lo, s23
	v_cmp_gt_i16_sdwa s23, v18, v116 src0_sel:BYTE_3 src1_sel:DWORD
	s_mov_b32 s16, 0
	s_and_saveexec_b32 s72, s23
	s_xor_b32 s23, exec_lo, s72
	s_cbranch_execz .LBB6_14997
; %bb.14028:                            ;   in Loop: Header=BB6_12577 Depth=3
	v_cmp_eq_u16_sdwa s73, v18, v117 src0_sel:BYTE_3 src1_sel:DWORD
	s_mov_b32 s16, -1
	s_and_saveexec_b32 s72, s73
; %bb.14029:                            ;   in Loop: Header=BB6_12577 Depth=3
	s_xor_b32 s16, exec_lo, -1
; %bb.14030:                            ;   in Loop: Header=BB6_12577 Depth=3
	s_or_b32 exec_lo, exec_lo, s72
	s_and_b32 s16, s16, exec_lo
	s_or_saveexec_b32 s23, s23
	v_mov_b32_e32 v6, 0x7f800001
	s_xor_b32 exec_lo, exec_lo, s23
	s_cbranch_execnz .LBB6_14998
.LBB6_14031:                            ;   in Loop: Header=BB6_12577 Depth=3
	s_or_b32 exec_lo, exec_lo, s23
	s_and_saveexec_b32 s23, s16
	s_cbranch_execz .LBB6_14033
.LBB6_14032:                            ;   in Loop: Header=BB6_12577 Depth=3
	v_bfe_u32 v6, v18, 24, 2
	v_bfe_u32 v81, v18, 26, 5
	v_ffbh_u32_e32 v36, v6
	v_cmp_eq_u32_e32 vcc_lo, 0, v81
	v_min_u32_e32 v36, 32, v36
	v_subrev_nc_u32_e32 v37, 29, v36
	v_sub_nc_u32_e32 v36, 30, v36
	v_lshlrev_b32_sdwa v37, v37, v18 dst_sel:DWORD dst_unused:UNUSED_PAD src0_sel:DWORD src1_sel:BYTE_3
	v_cndmask_b32_e32 v36, v81, v36, vcc_lo
	v_and_b32_e32 v18, 0x80000000, v18
	v_and_b32_e32 v37, 3, v37
	v_lshl_add_u32 v36, v36, 23, 0x37800000
	v_cndmask_b32_e32 v6, v6, v37, vcc_lo
	v_lshlrev_b32_e32 v6, 21, v6
	v_or3_b32 v6, v18, v36, v6
.LBB6_14033:                            ;   in Loop: Header=BB6_12577 Depth=3
	s_or_b32 exec_lo, exec_lo, s23
	v_add_f32_e32 v6, v7, v6
	v_mov_b32_e32 v18, 0x8000
	s_mov_b32 s23, exec_lo
	v_and_b32_e32 v7, 0x7f800000, v6
	v_cmpx_ne_u32_e32 0x7f800000, v7
	s_cbranch_execz .LBB6_14041
; %bb.14034:                            ;   in Loop: Header=BB6_12577 Depth=3
	v_mov_b32_e32 v18, 0
	s_mov_b32 s72, exec_lo
	v_cmpx_ne_u32_e32 0, v6
	s_cbranch_execz .LBB6_14040
; %bb.14035:                            ;   in Loop: Header=BB6_12577 Depth=3
	v_bfe_u32 v18, v6, 23, 8
	v_and_b32_e32 v7, 0x7fffff, v6
	v_cmp_gt_u32_e64 s16, 0x71, v18
	v_sub_nc_u32_e32 v36, 0x70, v18
	v_cmp_eq_u32_e32 vcc_lo, 0, v18
	v_or_b32_e32 v37, 0x800000, v7
	v_cndmask_b32_e64 v36, 0, v36, s16
	v_cndmask_b32_e32 v7, v37, v7, vcc_lo
	v_cndmask_b32_e64 v36, v36, 0x6f, vcc_lo
	v_lshl_add_u32 v37, 0x200000, v36, -1
	v_lshlrev_b32_e64 v81, v36, 0x100000
	v_and_b32_e32 v37, v37, v7
	v_cmp_eq_u32_e64 s16, v37, v81
	v_lshrrev_b32_e32 v37, v36, v7
	v_add_nc_u32_e32 v7, 0xffffff91, v18
	v_lshrrev_b32_e32 v18, 23, v37
	v_cndmask_b32_e64 v7, v7, 0xffffff92, vcc_lo
	v_xor_b32_e32 v18, 1, v18
	v_add_nc_u32_e32 v7, v36, v7
	v_bfe_u32 v36, v37, 21, 1
	v_add_nc_u32_e32 v36, -1, v36
	v_cndmask_b32_e64 v36, 0, v36, s16
	s_mov_b32 s16, exec_lo
	v_add_nc_u32_e32 v36, v36, v37
	v_and_b32_e32 v36, 0x1fffff, v36
	v_add_nc_u32_e32 v36, v36, v37
                                        ; implicit-def: $vgpr37
	v_cmpx_ne_u32_e64 v7, v18
	s_xor_b32 s16, exec_lo, s16
; %bb.14036:                            ;   in Loop: Header=BB6_12577 Depth=3
	v_cmp_lt_u32_e32 vcc_lo, 0xffffff, v36
	v_sub_nc_u32_e32 v7, v7, v18
	v_cndmask_b32_e64 v18, 0, 1, vcc_lo
	v_add_co_ci_u32_e64 v37, null, 0, v7, vcc_lo
	v_lshrrev_b32_e32 v36, v18, v36
; %bb.14037:                            ;   in Loop: Header=BB6_12577 Depth=3
	s_andn2_saveexec_b32 s16, s16
; %bb.14038:                            ;   in Loop: Header=BB6_12577 Depth=3
	v_bfe_u32 v37, v36, 23, 1
; %bb.14039:                            ;   in Loop: Header=BB6_12577 Depth=3
	s_or_b32 exec_lo, exec_lo, s16
	v_lshrrev_b32_e32 v7, 21, v36
	v_min_i32_e32 v18, 31, v37
	v_cmp_gt_i32_e32 vcc_lo, 32, v37
	v_and_b32_sdwa v6, v6, v117 dst_sel:DWORD dst_unused:UNUSED_PAD src0_sel:BYTE_3 src1_sel:DWORD
	v_lshlrev_b32_e32 v18, 2, v18
	v_cndmask_b32_e32 v7, 3, v7, vcc_lo
	v_and_b32_e32 v18, 0xfc, v18
	v_or_b32_e32 v36, v37, v7
	v_and_b32_e32 v7, 3, v7
	v_cmp_ne_u32_e32 vcc_lo, 0, v36
	v_or3_b32 v6, v6, v18, v7
	v_lshlrev_b32_e32 v6, 8, v6
	v_cndmask_b32_e32 v18, 0, v6, vcc_lo
.LBB6_14040:                            ;   in Loop: Header=BB6_12577 Depth=3
	s_or_b32 exec_lo, exec_lo, s72
.LBB6_14041:                            ;   in Loop: Header=BB6_12577 Depth=3
	s_or_b32 exec_lo, exec_lo, s23
	v_or_b32_e32 v6, v67, v77
	s_mov_b32 s23, 0
	v_cmp_gt_i16_sdwa s16, v6, v116 src0_sel:BYTE_0 src1_sel:DWORD
	s_and_saveexec_b32 s72, s16
	s_xor_b32 s16, exec_lo, s72
	s_cbranch_execz .LBB6_14999
; %bb.14042:                            ;   in Loop: Header=BB6_12577 Depth=3
	v_cmp_eq_u16_sdwa s73, v6, v117 src0_sel:BYTE_0 src1_sel:DWORD
	s_mov_b32 s23, -1
	s_and_saveexec_b32 s72, s73
; %bb.14043:                            ;   in Loop: Header=BB6_12577 Depth=3
	s_xor_b32 s23, exec_lo, -1
; %bb.14044:                            ;   in Loop: Header=BB6_12577 Depth=3
	s_or_b32 exec_lo, exec_lo, s72
	s_and_b32 s23, s23, exec_lo
	s_or_saveexec_b32 s16, s16
	v_mov_b32_e32 v7, 0x7f800001
	s_xor_b32 exec_lo, exec_lo, s16
	s_cbranch_execnz .LBB6_15000
.LBB6_14045:                            ;   in Loop: Header=BB6_12577 Depth=3
	s_or_b32 exec_lo, exec_lo, s16
	s_and_saveexec_b32 s16, s23
	s_cbranch_execz .LBB6_14047
.LBB6_14046:                            ;   in Loop: Header=BB6_12577 Depth=3
	v_and_b32_e32 v7, 3, v6
	v_bfe_u32 v36, v6, 2, 5
	v_ffbh_u32_e32 v37, v7
	v_cmp_eq_u32_e32 vcc_lo, 0, v36
	v_min_u32_e32 v37, 32, v37
	v_subrev_nc_u32_e32 v67, 29, v37
	v_sub_nc_u32_e32 v37, 30, v37
	v_lshlrev_b32_e32 v67, v67, v6
	v_cndmask_b32_e32 v36, v36, v37, vcc_lo
	v_lshlrev_b32_e32 v37, 24, v6
	v_and_b32_e32 v67, 3, v67
	v_lshl_add_u32 v36, v36, 23, 0x37800000
	v_and_b32_e32 v37, 0x80000000, v37
	v_cndmask_b32_e32 v7, v7, v67, vcc_lo
	v_lshlrev_b32_e32 v7, 21, v7
	v_or3_b32 v7, v37, v36, v7
.LBB6_14047:                            ;   in Loop: Header=BB6_12577 Depth=3
	s_or_b32 exec_lo, exec_lo, s16
	v_cmp_gt_i16_sdwa s16, v19, v116 src0_sel:BYTE_0 src1_sel:DWORD
	s_mov_b32 s23, 0
	s_and_saveexec_b32 s72, s16
	s_xor_b32 s16, exec_lo, s72
	s_cbranch_execz .LBB6_15001
; %bb.14048:                            ;   in Loop: Header=BB6_12577 Depth=3
	v_cmp_eq_u16_sdwa s73, v19, v117 src0_sel:BYTE_0 src1_sel:DWORD
	s_mov_b32 s23, -1
	s_and_saveexec_b32 s72, s73
; %bb.14049:                            ;   in Loop: Header=BB6_12577 Depth=3
	s_xor_b32 s23, exec_lo, -1
; %bb.14050:                            ;   in Loop: Header=BB6_12577 Depth=3
	s_or_b32 exec_lo, exec_lo, s72
	s_and_b32 s23, s23, exec_lo
	s_or_saveexec_b32 s16, s16
	v_mov_b32_e32 v36, 0x7f800001
	s_xor_b32 exec_lo, exec_lo, s16
	s_cbranch_execnz .LBB6_15002
.LBB6_14051:                            ;   in Loop: Header=BB6_12577 Depth=3
	s_or_b32 exec_lo, exec_lo, s16
	s_and_saveexec_b32 s16, s23
	s_cbranch_execz .LBB6_14053
.LBB6_14052:                            ;   in Loop: Header=BB6_12577 Depth=3
	v_and_b32_e32 v36, 3, v19
	v_bfe_u32 v37, v19, 2, 5
	v_ffbh_u32_e32 v67, v36
	v_cmp_eq_u32_e32 vcc_lo, 0, v37
	v_min_u32_e32 v67, 32, v67
	v_subrev_nc_u32_e32 v81, 29, v67
	v_sub_nc_u32_e32 v67, 30, v67
	v_lshlrev_b32_e32 v81, v81, v19
	v_cndmask_b32_e32 v37, v37, v67, vcc_lo
	v_lshlrev_b32_e32 v67, 24, v19
	v_and_b32_e32 v81, 3, v81
	v_lshl_add_u32 v37, v37, 23, 0x37800000
	v_and_b32_e32 v67, 0x80000000, v67
	v_cndmask_b32_e32 v36, v36, v81, vcc_lo
	v_lshlrev_b32_e32 v36, 21, v36
	v_or3_b32 v36, v67, v37, v36
.LBB6_14053:                            ;   in Loop: Header=BB6_12577 Depth=3
	s_or_b32 exec_lo, exec_lo, s16
	v_add_f32_e32 v7, v7, v36
	v_mov_b32_e32 v67, 0x80
	s_mov_b32 s23, exec_lo
	v_and_b32_e32 v36, 0x7f800000, v7
	v_cmpx_ne_u32_e32 0x7f800000, v36
	s_cbranch_execz .LBB6_14061
; %bb.14054:                            ;   in Loop: Header=BB6_12577 Depth=3
	v_mov_b32_e32 v67, 0
	s_mov_b32 s72, exec_lo
	v_cmpx_ne_u32_e32 0, v7
	s_cbranch_execz .LBB6_14060
; %bb.14055:                            ;   in Loop: Header=BB6_12577 Depth=3
	v_bfe_u32 v37, v7, 23, 8
	v_and_b32_e32 v36, 0x7fffff, v7
	v_cmp_gt_u32_e64 s16, 0x71, v37
	v_sub_nc_u32_e32 v67, 0x70, v37
	v_cmp_eq_u32_e32 vcc_lo, 0, v37
	v_or_b32_e32 v81, 0x800000, v36
	v_cndmask_b32_e64 v67, 0, v67, s16
	v_cndmask_b32_e32 v36, v81, v36, vcc_lo
	v_cndmask_b32_e64 v67, v67, 0x6f, vcc_lo
	v_lshl_add_u32 v81, 0x200000, v67, -1
	v_lshlrev_b32_e64 v101, v67, 0x100000
	v_and_b32_e32 v81, v81, v36
	v_cmp_eq_u32_e64 s16, v81, v101
	v_lshrrev_b32_e32 v81, v67, v36
	v_add_nc_u32_e32 v36, 0xffffff91, v37
	v_lshrrev_b32_e32 v37, 23, v81
	v_cndmask_b32_e64 v36, v36, 0xffffff92, vcc_lo
	v_xor_b32_e32 v37, 1, v37
	v_add_nc_u32_e32 v36, v67, v36
	v_bfe_u32 v67, v81, 21, 1
	v_add_nc_u32_e32 v67, -1, v67
	v_cndmask_b32_e64 v67, 0, v67, s16
	s_mov_b32 s16, exec_lo
	v_add_nc_u32_e32 v67, v67, v81
	v_and_b32_e32 v67, 0x1fffff, v67
	v_add_nc_u32_e32 v67, v67, v81
                                        ; implicit-def: $vgpr81
	v_cmpx_ne_u32_e64 v36, v37
	s_xor_b32 s16, exec_lo, s16
; %bb.14056:                            ;   in Loop: Header=BB6_12577 Depth=3
	v_cmp_lt_u32_e32 vcc_lo, 0xffffff, v67
	v_sub_nc_u32_e32 v36, v36, v37
	v_cndmask_b32_e64 v37, 0, 1, vcc_lo
	v_add_co_ci_u32_e64 v81, null, 0, v36, vcc_lo
	v_lshrrev_b32_e32 v67, v37, v67
; %bb.14057:                            ;   in Loop: Header=BB6_12577 Depth=3
	s_andn2_saveexec_b32 s16, s16
; %bb.14058:                            ;   in Loop: Header=BB6_12577 Depth=3
	v_bfe_u32 v81, v67, 23, 1
; %bb.14059:                            ;   in Loop: Header=BB6_12577 Depth=3
	s_or_b32 exec_lo, exec_lo, s16
	v_lshrrev_b32_e32 v36, 21, v67
	v_min_i32_e32 v37, 31, v81
	v_cmp_gt_i32_e32 vcc_lo, 32, v81
	v_and_b32_sdwa v7, v7, v117 dst_sel:DWORD dst_unused:UNUSED_PAD src0_sel:BYTE_3 src1_sel:DWORD
	v_lshlrev_b32_e32 v37, 2, v37
	v_cndmask_b32_e32 v36, 3, v36, vcc_lo
	v_and_b32_e32 v37, 0xfc, v37
	v_or_b32_e32 v67, v81, v36
	v_and_b32_e32 v36, 3, v36
	v_cmp_ne_u32_e32 vcc_lo, 0, v67
	v_or3_b32 v7, v37, v7, v36
	v_cndmask_b32_e32 v67, 0, v7, vcc_lo
.LBB6_14060:                            ;   in Loop: Header=BB6_12577 Depth=3
	s_or_b32 exec_lo, exec_lo, s72
.LBB6_14061:                            ;   in Loop: Header=BB6_12577 Depth=3
	s_or_b32 exec_lo, exec_lo, s23
	v_cmp_gt_i16_sdwa s23, v6, v116 src0_sel:BYTE_1 src1_sel:DWORD
	s_mov_b32 s16, 0
	s_and_saveexec_b32 s72, s23
	s_xor_b32 s23, exec_lo, s72
	s_cbranch_execz .LBB6_15003
; %bb.14062:                            ;   in Loop: Header=BB6_12577 Depth=3
	v_cmp_eq_u16_sdwa s73, v6, v117 src0_sel:BYTE_1 src1_sel:DWORD
	s_mov_b32 s16, -1
	s_and_saveexec_b32 s72, s73
; %bb.14063:                            ;   in Loop: Header=BB6_12577 Depth=3
	s_xor_b32 s16, exec_lo, -1
; %bb.14064:                            ;   in Loop: Header=BB6_12577 Depth=3
	s_or_b32 exec_lo, exec_lo, s72
	s_and_b32 s16, s16, exec_lo
	s_or_saveexec_b32 s23, s23
	v_mov_b32_e32 v7, 0x7f800001
	s_xor_b32 exec_lo, exec_lo, s23
	s_cbranch_execnz .LBB6_15004
.LBB6_14065:                            ;   in Loop: Header=BB6_12577 Depth=3
	s_or_b32 exec_lo, exec_lo, s23
	s_and_saveexec_b32 s23, s16
	s_cbranch_execz .LBB6_14067
.LBB6_14066:                            ;   in Loop: Header=BB6_12577 Depth=3
	v_and_b32_sdwa v7, v118, v6 dst_sel:DWORD dst_unused:UNUSED_PAD src0_sel:DWORD src1_sel:BYTE_1
	v_and_b32_e32 v36, 3, v7
	v_bfe_u32 v101, v7, 2, 5
	v_ffbh_u32_e32 v37, v36
	v_cmp_eq_u32_e32 vcc_lo, 0, v101
	v_min_u32_e32 v37, 32, v37
	v_subrev_nc_u32_e32 v81, 29, v37
	v_sub_nc_u32_e32 v37, 30, v37
	v_lshlrev_b32_e32 v7, v81, v7
	v_lshlrev_b32_sdwa v81, v119, v6 dst_sel:DWORD dst_unused:UNUSED_PAD src0_sel:DWORD src1_sel:BYTE_1
	v_cndmask_b32_e32 v37, v101, v37, vcc_lo
	v_and_b32_e32 v7, 3, v7
	v_lshl_add_u32 v37, v37, 23, 0x37800000
	v_cndmask_b32_e32 v7, v36, v7, vcc_lo
	v_and_b32_e32 v36, 0x80000000, v81
	v_lshlrev_b32_e32 v7, 21, v7
	v_or3_b32 v7, v36, v37, v7
.LBB6_14067:                            ;   in Loop: Header=BB6_12577 Depth=3
	s_or_b32 exec_lo, exec_lo, s23
	v_cmp_gt_i16_sdwa s23, v19, v116 src0_sel:BYTE_1 src1_sel:DWORD
	s_mov_b32 s16, 0
	s_and_saveexec_b32 s72, s23
	s_xor_b32 s23, exec_lo, s72
	s_cbranch_execz .LBB6_15005
; %bb.14068:                            ;   in Loop: Header=BB6_12577 Depth=3
	v_cmp_eq_u16_sdwa s73, v19, v117 src0_sel:BYTE_1 src1_sel:DWORD
	s_mov_b32 s16, -1
	s_and_saveexec_b32 s72, s73
; %bb.14069:                            ;   in Loop: Header=BB6_12577 Depth=3
	s_xor_b32 s16, exec_lo, -1
; %bb.14070:                            ;   in Loop: Header=BB6_12577 Depth=3
	s_or_b32 exec_lo, exec_lo, s72
	s_and_b32 s16, s16, exec_lo
	s_or_saveexec_b32 s23, s23
	v_mov_b32_e32 v36, 0x7f800001
	s_xor_b32 exec_lo, exec_lo, s23
	s_cbranch_execnz .LBB6_15006
.LBB6_14071:                            ;   in Loop: Header=BB6_12577 Depth=3
	s_or_b32 exec_lo, exec_lo, s23
	s_and_saveexec_b32 s23, s16
	s_cbranch_execz .LBB6_14073
.LBB6_14072:                            ;   in Loop: Header=BB6_12577 Depth=3
	v_and_b32_sdwa v36, v118, v19 dst_sel:DWORD dst_unused:UNUSED_PAD src0_sel:DWORD src1_sel:BYTE_1
	v_and_b32_e32 v37, 3, v36
	v_bfe_u32 v42, v36, 2, 5
	v_ffbh_u32_e32 v81, v37
	v_cmp_eq_u32_e32 vcc_lo, 0, v42
	v_min_u32_e32 v81, 32, v81
	v_subrev_nc_u32_e32 v101, 29, v81
	v_sub_nc_u32_e32 v81, 30, v81
	v_lshlrev_b32_e32 v36, v101, v36
	v_lshlrev_b32_sdwa v101, v119, v19 dst_sel:DWORD dst_unused:UNUSED_PAD src0_sel:DWORD src1_sel:BYTE_1
	v_cndmask_b32_e32 v81, v42, v81, vcc_lo
	v_and_b32_e32 v36, 3, v36
	v_lshl_add_u32 v81, v81, 23, 0x37800000
	v_cndmask_b32_e32 v36, v37, v36, vcc_lo
	v_and_b32_e32 v37, 0x80000000, v101
	v_lshlrev_b32_e32 v36, 21, v36
	v_or3_b32 v36, v37, v81, v36
.LBB6_14073:                            ;   in Loop: Header=BB6_12577 Depth=3
	s_or_b32 exec_lo, exec_lo, s23
	v_add_f32_e32 v7, v7, v36
	v_and_b32_e32 v36, 0x7f800000, v7
	v_cmp_ne_u32_e32 vcc_lo, 0x7f800000, v36
	v_mov_b32_e32 v36, 0x8000
	s_and_saveexec_b32 s23, vcc_lo
	s_cbranch_execz .LBB6_14081
; %bb.14074:                            ;   in Loop: Header=BB6_12577 Depth=3
	v_mov_b32_e32 v36, 0
	s_mov_b32 s72, exec_lo
	v_cmpx_ne_u32_e32 0, v7
	s_cbranch_execz .LBB6_14080
; %bb.14075:                            ;   in Loop: Header=BB6_12577 Depth=3
	v_bfe_u32 v37, v7, 23, 8
	v_and_b32_e32 v36, 0x7fffff, v7
	v_cmp_gt_u32_e64 s16, 0x71, v37
	v_sub_nc_u32_e32 v81, 0x70, v37
	v_cmp_eq_u32_e32 vcc_lo, 0, v37
	v_or_b32_e32 v101, 0x800000, v36
	v_cndmask_b32_e64 v81, 0, v81, s16
	v_cndmask_b32_e32 v36, v101, v36, vcc_lo
	v_cndmask_b32_e64 v81, v81, 0x6f, vcc_lo
	v_lshl_add_u32 v101, 0x200000, v81, -1
	v_lshlrev_b32_e64 v42, v81, 0x100000
	v_and_b32_e32 v101, v101, v36
	v_cmp_eq_u32_e64 s16, v101, v42
	v_lshrrev_b32_e32 v101, v81, v36
	v_add_nc_u32_e32 v36, 0xffffff91, v37
	v_lshrrev_b32_e32 v37, 23, v101
	v_cndmask_b32_e64 v36, v36, 0xffffff92, vcc_lo
	v_xor_b32_e32 v37, 1, v37
	v_add_nc_u32_e32 v36, v81, v36
	v_bfe_u32 v81, v101, 21, 1
	v_add_nc_u32_e32 v81, -1, v81
	v_cndmask_b32_e64 v81, 0, v81, s16
	s_mov_b32 s16, exec_lo
	v_add_nc_u32_e32 v81, v81, v101
	v_and_b32_e32 v81, 0x1fffff, v81
	v_add_nc_u32_e32 v81, v81, v101
                                        ; implicit-def: $vgpr101
	v_cmpx_ne_u32_e64 v36, v37
	s_xor_b32 s16, exec_lo, s16
; %bb.14076:                            ;   in Loop: Header=BB6_12577 Depth=3
	v_cmp_lt_u32_e32 vcc_lo, 0xffffff, v81
	v_sub_nc_u32_e32 v36, v36, v37
	v_cndmask_b32_e64 v37, 0, 1, vcc_lo
	v_add_co_ci_u32_e64 v101, null, 0, v36, vcc_lo
	v_lshrrev_b32_e32 v81, v37, v81
; %bb.14077:                            ;   in Loop: Header=BB6_12577 Depth=3
	s_andn2_saveexec_b32 s16, s16
; %bb.14078:                            ;   in Loop: Header=BB6_12577 Depth=3
	v_bfe_u32 v101, v81, 23, 1
; %bb.14079:                            ;   in Loop: Header=BB6_12577 Depth=3
	s_or_b32 exec_lo, exec_lo, s16
	v_lshrrev_b32_e32 v36, 21, v81
	v_min_i32_e32 v37, 31, v101
	v_cmp_gt_i32_e32 vcc_lo, 32, v101
	v_and_b32_sdwa v7, v7, v117 dst_sel:DWORD dst_unused:UNUSED_PAD src0_sel:BYTE_3 src1_sel:DWORD
	v_lshlrev_b32_e32 v37, 2, v37
	v_cndmask_b32_e32 v36, 3, v36, vcc_lo
	v_and_b32_e32 v37, 0xfc, v37
	v_or_b32_e32 v81, v101, v36
	v_and_b32_e32 v36, 3, v36
	v_cmp_ne_u32_e32 vcc_lo, 0, v81
	v_or3_b32 v7, v7, v37, v36
	v_lshlrev_b32_e32 v7, 8, v7
	v_cndmask_b32_e32 v36, 0, v7, vcc_lo
.LBB6_14080:                            ;   in Loop: Header=BB6_12577 Depth=3
	s_or_b32 exec_lo, exec_lo, s72
.LBB6_14081:                            ;   in Loop: Header=BB6_12577 Depth=3
	s_or_b32 exec_lo, exec_lo, s23
	v_or_b32_e32 v37, v76, v123
	s_mov_b32 s23, 0
	v_cmp_gt_i16_sdwa s16, v37, v116 src0_sel:BYTE_0 src1_sel:DWORD
	s_and_saveexec_b32 s72, s16
	s_xor_b32 s16, exec_lo, s72
	s_cbranch_execz .LBB6_15007
; %bb.14082:                            ;   in Loop: Header=BB6_12577 Depth=3
	v_cmp_eq_u16_sdwa s73, v37, v117 src0_sel:BYTE_0 src1_sel:DWORD
	s_mov_b32 s23, -1
	s_and_saveexec_b32 s72, s73
; %bb.14083:                            ;   in Loop: Header=BB6_12577 Depth=3
	s_xor_b32 s23, exec_lo, -1
; %bb.14084:                            ;   in Loop: Header=BB6_12577 Depth=3
	s_or_b32 exec_lo, exec_lo, s72
	s_and_b32 s23, s23, exec_lo
	s_or_saveexec_b32 s16, s16
	v_mov_b32_e32 v7, 0x7f800001
	s_xor_b32 exec_lo, exec_lo, s16
	s_cbranch_execnz .LBB6_15008
.LBB6_14085:                            ;   in Loop: Header=BB6_12577 Depth=3
	s_or_b32 exec_lo, exec_lo, s16
	v_lshl_or_b32 v6, v37, 16, v6
	s_and_saveexec_b32 s16, s23
	s_cbranch_execz .LBB6_14087
.LBB6_14086:                            ;   in Loop: Header=BB6_12577 Depth=3
	v_bfe_u32 v7, v6, 16, 2
	v_bfe_u32 v37, v6, 18, 5
	v_ffbh_u32_e32 v81, v7
	v_cmp_eq_u32_e32 vcc_lo, 0, v37
	v_min_u32_e32 v81, 32, v81
	v_subrev_nc_u32_e32 v101, 29, v81
	v_sub_nc_u32_e32 v81, 30, v81
	v_lshlrev_b32_sdwa v101, v101, v6 dst_sel:DWORD dst_unused:UNUSED_PAD src0_sel:DWORD src1_sel:WORD_1
	v_cndmask_b32_e32 v37, v37, v81, vcc_lo
	v_lshlrev_b32_e32 v81, 8, v6
	v_and_b32_e32 v101, 3, v101
	v_lshl_add_u32 v37, v37, 23, 0x37800000
	v_and_b32_e32 v81, 0x80000000, v81
	v_cndmask_b32_e32 v7, v7, v101, vcc_lo
	v_lshlrev_b32_e32 v7, 21, v7
	v_or3_b32 v7, v81, v37, v7
.LBB6_14087:                            ;   in Loop: Header=BB6_12577 Depth=3
	s_or_b32 exec_lo, exec_lo, s16
	v_and_b32_sdwa v81, v19, v40 dst_sel:DWORD dst_unused:UNUSED_PAD src0_sel:WORD_1 src1_sel:DWORD
	s_mov_b32 s23, 0
	s_mov_b32 s16, exec_lo
	v_cmpx_lt_i16_e32 0x7f, v81
	s_xor_b32 s16, exec_lo, s16
	s_cbranch_execz .LBB6_15009
; %bb.14088:                            ;   in Loop: Header=BB6_12577 Depth=3
	s_mov_b32 s23, -1
	s_mov_b32 s72, exec_lo
	v_cmpx_eq_u16_e32 0x80, v81
; %bb.14089:                            ;   in Loop: Header=BB6_12577 Depth=3
	s_xor_b32 s23, exec_lo, -1
; %bb.14090:                            ;   in Loop: Header=BB6_12577 Depth=3
	s_or_b32 exec_lo, exec_lo, s72
	s_and_b32 s23, s23, exec_lo
                                        ; implicit-def: $vgpr81
	s_or_saveexec_b32 s16, s16
	v_mov_b32_e32 v37, 0x7f800001
	s_xor_b32 exec_lo, exec_lo, s16
	s_cbranch_execnz .LBB6_15010
.LBB6_14091:                            ;   in Loop: Header=BB6_12577 Depth=3
	s_or_b32 exec_lo, exec_lo, s16
	s_and_saveexec_b32 s16, s23
	s_cbranch_execz .LBB6_14093
.LBB6_14092:                            ;   in Loop: Header=BB6_12577 Depth=3
	v_bfe_u32 v37, v19, 16, 2
	v_bfe_u32 v81, v19, 18, 5
	v_ffbh_u32_e32 v101, v37
	v_cmp_eq_u32_e32 vcc_lo, 0, v81
	v_min_u32_e32 v101, 32, v101
	v_subrev_nc_u32_e32 v42, 29, v101
	v_sub_nc_u32_e32 v101, 30, v101
	v_lshlrev_b32_sdwa v42, v42, v19 dst_sel:DWORD dst_unused:UNUSED_PAD src0_sel:DWORD src1_sel:WORD_1
	v_cndmask_b32_e32 v81, v81, v101, vcc_lo
	v_lshlrev_b32_e32 v101, 8, v19
	v_and_b32_e32 v42, 3, v42
	v_lshl_add_u32 v81, v81, 23, 0x37800000
	v_and_b32_e32 v101, 0x80000000, v101
	v_cndmask_b32_e32 v37, v37, v42, vcc_lo
	v_lshlrev_b32_e32 v37, 21, v37
	v_or3_b32 v37, v101, v81, v37
.LBB6_14093:                            ;   in Loop: Header=BB6_12577 Depth=3
	s_or_b32 exec_lo, exec_lo, s16
	v_add_f32_e32 v7, v7, v37
	v_and_b32_e32 v37, 0x7f800000, v7
	v_cmp_ne_u32_e32 vcc_lo, 0x7f800000, v37
	v_mov_b32_e32 v37, 0x80
	s_and_saveexec_b32 s23, vcc_lo
	s_cbranch_execz .LBB6_14101
; %bb.14094:                            ;   in Loop: Header=BB6_12577 Depth=3
	v_mov_b32_e32 v37, 0
	s_mov_b32 s72, exec_lo
	v_cmpx_ne_u32_e32 0, v7
	s_cbranch_execz .LBB6_14100
; %bb.14095:                            ;   in Loop: Header=BB6_12577 Depth=3
	v_bfe_u32 v81, v7, 23, 8
	v_and_b32_e32 v37, 0x7fffff, v7
	v_cmp_gt_u32_e64 s16, 0x71, v81
	v_sub_nc_u32_e32 v101, 0x70, v81
	v_cmp_eq_u32_e32 vcc_lo, 0, v81
	v_or_b32_e32 v42, 0x800000, v37
	v_cndmask_b32_e64 v101, 0, v101, s16
	v_cndmask_b32_e32 v37, v42, v37, vcc_lo
	v_cndmask_b32_e64 v101, v101, 0x6f, vcc_lo
	v_lshl_add_u32 v42, 0x200000, v101, -1
	v_lshlrev_b32_e64 v44, v101, 0x100000
	v_and_b32_e32 v42, v42, v37
	v_cmp_eq_u32_e64 s16, v42, v44
	v_lshrrev_b32_e32 v42, v101, v37
	v_add_nc_u32_e32 v37, 0xffffff91, v81
	v_lshrrev_b32_e32 v81, 23, v42
	v_cndmask_b32_e64 v37, v37, 0xffffff92, vcc_lo
	v_xor_b32_e32 v81, 1, v81
	v_add_nc_u32_e32 v37, v101, v37
	v_bfe_u32 v101, v42, 21, 1
	v_add_nc_u32_e32 v101, -1, v101
	v_cndmask_b32_e64 v101, 0, v101, s16
	s_mov_b32 s16, exec_lo
	v_add_nc_u32_e32 v101, v101, v42
	v_and_b32_e32 v101, 0x1fffff, v101
	v_add_nc_u32_e32 v101, v101, v42
                                        ; implicit-def: $vgpr42
	v_cmpx_ne_u32_e64 v37, v81
	s_xor_b32 s16, exec_lo, s16
; %bb.14096:                            ;   in Loop: Header=BB6_12577 Depth=3
	v_cmp_lt_u32_e32 vcc_lo, 0xffffff, v101
	v_sub_nc_u32_e32 v37, v37, v81
	v_cndmask_b32_e64 v81, 0, 1, vcc_lo
	v_add_co_ci_u32_e64 v42, null, 0, v37, vcc_lo
	v_lshrrev_b32_e32 v101, v81, v101
; %bb.14097:                            ;   in Loop: Header=BB6_12577 Depth=3
	s_andn2_saveexec_b32 s16, s16
; %bb.14098:                            ;   in Loop: Header=BB6_12577 Depth=3
	v_bfe_u32 v42, v101, 23, 1
; %bb.14099:                            ;   in Loop: Header=BB6_12577 Depth=3
	s_or_b32 exec_lo, exec_lo, s16
	v_lshrrev_b32_e32 v37, 21, v101
	v_min_i32_e32 v81, 31, v42
	v_cmp_gt_i32_e32 vcc_lo, 32, v42
	v_and_b32_sdwa v7, v7, v117 dst_sel:DWORD dst_unused:UNUSED_PAD src0_sel:BYTE_3 src1_sel:DWORD
	v_lshlrev_b32_e32 v81, 2, v81
	v_cndmask_b32_e32 v37, 3, v37, vcc_lo
	v_and_b32_e32 v81, 0xfc, v81
	v_or_b32_e32 v101, v42, v37
	v_and_b32_e32 v37, 3, v37
	v_cmp_ne_u32_e32 vcc_lo, 0, v101
	v_or3_b32 v7, v81, v7, v37
	v_cndmask_b32_e32 v37, 0, v7, vcc_lo
.LBB6_14100:                            ;   in Loop: Header=BB6_12577 Depth=3
	s_or_b32 exec_lo, exec_lo, s72
.LBB6_14101:                            ;   in Loop: Header=BB6_12577 Depth=3
	s_or_b32 exec_lo, exec_lo, s23
	v_cmp_gt_i16_sdwa s23, v6, v116 src0_sel:BYTE_3 src1_sel:DWORD
	s_mov_b32 s16, 0
	s_and_saveexec_b32 s72, s23
	s_xor_b32 s23, exec_lo, s72
	s_cbranch_execz .LBB6_15011
; %bb.14102:                            ;   in Loop: Header=BB6_12577 Depth=3
	v_cmp_eq_u16_sdwa s73, v6, v117 src0_sel:BYTE_3 src1_sel:DWORD
	s_mov_b32 s16, -1
	s_and_saveexec_b32 s72, s73
; %bb.14103:                            ;   in Loop: Header=BB6_12577 Depth=3
	s_xor_b32 s16, exec_lo, -1
; %bb.14104:                            ;   in Loop: Header=BB6_12577 Depth=3
	s_or_b32 exec_lo, exec_lo, s72
	s_and_b32 s16, s16, exec_lo
	s_or_saveexec_b32 s23, s23
	v_mov_b32_e32 v7, 0x7f800001
	s_xor_b32 exec_lo, exec_lo, s23
	s_cbranch_execnz .LBB6_15012
.LBB6_14105:                            ;   in Loop: Header=BB6_12577 Depth=3
	s_or_b32 exec_lo, exec_lo, s23
	s_and_saveexec_b32 s23, s16
	s_cbranch_execz .LBB6_14107
.LBB6_14106:                            ;   in Loop: Header=BB6_12577 Depth=3
	v_bfe_u32 v7, v6, 24, 2
	v_bfe_u32 v42, v6, 26, 5
	v_ffbh_u32_e32 v81, v7
	v_cmp_eq_u32_e32 vcc_lo, 0, v42
	v_min_u32_e32 v81, 32, v81
	v_subrev_nc_u32_e32 v101, 29, v81
	v_sub_nc_u32_e32 v81, 30, v81
	v_lshlrev_b32_sdwa v101, v101, v6 dst_sel:DWORD dst_unused:UNUSED_PAD src0_sel:DWORD src1_sel:BYTE_3
	v_cndmask_b32_e32 v81, v42, v81, vcc_lo
	v_and_b32_e32 v6, 0x80000000, v6
	v_and_b32_e32 v101, 3, v101
	v_lshl_add_u32 v81, v81, 23, 0x37800000
	v_cndmask_b32_e32 v7, v7, v101, vcc_lo
	v_lshlrev_b32_e32 v7, 21, v7
	v_or3_b32 v7, v6, v81, v7
.LBB6_14107:                            ;   in Loop: Header=BB6_12577 Depth=3
	s_or_b32 exec_lo, exec_lo, s23
	v_cmp_gt_i16_sdwa s23, v19, v116 src0_sel:BYTE_3 src1_sel:DWORD
	s_mov_b32 s16, 0
	s_and_saveexec_b32 s72, s23
	s_xor_b32 s23, exec_lo, s72
	s_cbranch_execz .LBB6_15013
; %bb.14108:                            ;   in Loop: Header=BB6_12577 Depth=3
	v_cmp_eq_u16_sdwa s73, v19, v117 src0_sel:BYTE_3 src1_sel:DWORD
	s_mov_b32 s16, -1
	s_and_saveexec_b32 s72, s73
; %bb.14109:                            ;   in Loop: Header=BB6_12577 Depth=3
	s_xor_b32 s16, exec_lo, -1
; %bb.14110:                            ;   in Loop: Header=BB6_12577 Depth=3
	s_or_b32 exec_lo, exec_lo, s72
	s_and_b32 s16, s16, exec_lo
	s_or_saveexec_b32 s23, s23
	v_mov_b32_e32 v6, 0x7f800001
	s_xor_b32 exec_lo, exec_lo, s23
	s_cbranch_execnz .LBB6_15014
.LBB6_14111:                            ;   in Loop: Header=BB6_12577 Depth=3
	s_or_b32 exec_lo, exec_lo, s23
	s_and_saveexec_b32 s23, s16
	s_cbranch_execz .LBB6_14113
.LBB6_14112:                            ;   in Loop: Header=BB6_12577 Depth=3
	v_bfe_u32 v6, v19, 24, 2
	v_bfe_u32 v42, v19, 26, 5
	v_ffbh_u32_e32 v81, v6
	v_cmp_eq_u32_e32 vcc_lo, 0, v42
	v_min_u32_e32 v81, 32, v81
	v_subrev_nc_u32_e32 v101, 29, v81
	v_sub_nc_u32_e32 v81, 30, v81
	v_lshlrev_b32_sdwa v101, v101, v19 dst_sel:DWORD dst_unused:UNUSED_PAD src0_sel:DWORD src1_sel:BYTE_3
	v_cndmask_b32_e32 v81, v42, v81, vcc_lo
	v_and_b32_e32 v19, 0x80000000, v19
	v_and_b32_e32 v101, 3, v101
	v_lshl_add_u32 v81, v81, 23, 0x37800000
	v_cndmask_b32_e32 v6, v6, v101, vcc_lo
	v_lshlrev_b32_e32 v6, 21, v6
	v_or3_b32 v6, v19, v81, v6
.LBB6_14113:                            ;   in Loop: Header=BB6_12577 Depth=3
	s_or_b32 exec_lo, exec_lo, s23
	v_add_f32_e32 v7, v7, v6
	v_and_b32_e32 v6, 0x7f800000, v7
	v_cmp_ne_u32_e32 vcc_lo, 0x7f800000, v6
	v_mov_b32_e32 v6, 0x8000
	s_and_saveexec_b32 s23, vcc_lo
	s_cbranch_execz .LBB6_14121
; %bb.14114:                            ;   in Loop: Header=BB6_12577 Depth=3
	v_mov_b32_e32 v6, 0
	s_mov_b32 s72, exec_lo
	v_cmpx_ne_u32_e32 0, v7
	s_cbranch_execz .LBB6_14120
; %bb.14115:                            ;   in Loop: Header=BB6_12577 Depth=3
	v_bfe_u32 v19, v7, 23, 8
	v_and_b32_e32 v6, 0x7fffff, v7
	v_cmp_gt_u32_e64 s16, 0x71, v19
	v_sub_nc_u32_e32 v81, 0x70, v19
	v_cmp_eq_u32_e32 vcc_lo, 0, v19
	v_or_b32_e32 v101, 0x800000, v6
	v_cndmask_b32_e64 v81, 0, v81, s16
	v_cndmask_b32_e32 v6, v101, v6, vcc_lo
	v_cndmask_b32_e64 v81, v81, 0x6f, vcc_lo
	v_lshl_add_u32 v101, 0x200000, v81, -1
	v_lshlrev_b32_e64 v42, v81, 0x100000
	v_and_b32_e32 v101, v101, v6
	v_cmp_eq_u32_e64 s16, v101, v42
	v_lshrrev_b32_e32 v101, v81, v6
	v_add_nc_u32_e32 v6, 0xffffff91, v19
	v_lshrrev_b32_e32 v19, 23, v101
	v_cndmask_b32_e64 v6, v6, 0xffffff92, vcc_lo
	v_xor_b32_e32 v19, 1, v19
	v_add_nc_u32_e32 v6, v81, v6
	v_bfe_u32 v81, v101, 21, 1
	v_add_nc_u32_e32 v81, -1, v81
	v_cndmask_b32_e64 v81, 0, v81, s16
	s_mov_b32 s16, exec_lo
	v_add_nc_u32_e32 v81, v81, v101
	v_and_b32_e32 v81, 0x1fffff, v81
	v_add_nc_u32_e32 v81, v81, v101
                                        ; implicit-def: $vgpr101
	v_cmpx_ne_u32_e64 v6, v19
	s_xor_b32 s16, exec_lo, s16
; %bb.14116:                            ;   in Loop: Header=BB6_12577 Depth=3
	v_cmp_lt_u32_e32 vcc_lo, 0xffffff, v81
	v_sub_nc_u32_e32 v6, v6, v19
	v_cndmask_b32_e64 v19, 0, 1, vcc_lo
	v_add_co_ci_u32_e64 v101, null, 0, v6, vcc_lo
	v_lshrrev_b32_e32 v81, v19, v81
; %bb.14117:                            ;   in Loop: Header=BB6_12577 Depth=3
	s_andn2_saveexec_b32 s16, s16
; %bb.14118:                            ;   in Loop: Header=BB6_12577 Depth=3
	v_bfe_u32 v101, v81, 23, 1
; %bb.14119:                            ;   in Loop: Header=BB6_12577 Depth=3
	s_or_b32 exec_lo, exec_lo, s16
	v_and_b32_sdwa v6, v7, v117 dst_sel:DWORD dst_unused:UNUSED_PAD src0_sel:BYTE_3 src1_sel:DWORD
	v_lshrrev_b32_e32 v7, 21, v81
	v_min_i32_e32 v19, 31, v101
	v_cmp_gt_i32_e32 vcc_lo, 32, v101
	v_lshlrev_b32_e32 v19, 2, v19
	v_cndmask_b32_e32 v7, 3, v7, vcc_lo
	v_and_b32_e32 v19, 0xfc, v19
	v_or_b32_e32 v81, v101, v7
	v_and_b32_e32 v7, 3, v7
	v_cmp_ne_u32_e32 vcc_lo, 0, v81
	v_or3_b32 v6, v6, v19, v7
	v_lshlrev_b32_e32 v6, 8, v6
	v_cndmask_b32_e32 v6, 0, v6, vcc_lo
.LBB6_14120:                            ;   in Loop: Header=BB6_12577 Depth=3
	s_or_b32 exec_lo, exec_lo, s72
.LBB6_14121:                            ;   in Loop: Header=BB6_12577 Depth=3
	s_or_b32 exec_lo, exec_lo, s23
	v_or_b32_e32 v81, v113, v120
	s_mov_b32 s23, 0
	v_cmp_gt_i16_sdwa s16, v81, v116 src0_sel:BYTE_0 src1_sel:DWORD
	s_and_saveexec_b32 s72, s16
	s_xor_b32 s16, exec_lo, s72
	s_cbranch_execz .LBB6_15015
; %bb.14122:                            ;   in Loop: Header=BB6_12577 Depth=3
	v_cmp_eq_u16_sdwa s73, v81, v117 src0_sel:BYTE_0 src1_sel:DWORD
	s_mov_b32 s23, -1
	s_and_saveexec_b32 s72, s73
; %bb.14123:                            ;   in Loop: Header=BB6_12577 Depth=3
	s_xor_b32 s23, exec_lo, -1
; %bb.14124:                            ;   in Loop: Header=BB6_12577 Depth=3
	s_or_b32 exec_lo, exec_lo, s72
	s_and_b32 s23, s23, exec_lo
	s_or_saveexec_b32 s16, s16
	v_mov_b32_e32 v7, 0x7f800001
	s_xor_b32 exec_lo, exec_lo, s16
	s_cbranch_execnz .LBB6_15016
.LBB6_14125:                            ;   in Loop: Header=BB6_12577 Depth=3
	s_or_b32 exec_lo, exec_lo, s16
	s_and_saveexec_b32 s16, s23
	s_cbranch_execz .LBB6_14127
.LBB6_14126:                            ;   in Loop: Header=BB6_12577 Depth=3
	v_and_b32_e32 v7, 3, v81
	v_bfe_u32 v19, v81, 2, 5
	v_ffbh_u32_e32 v101, v7
	v_cmp_eq_u32_e32 vcc_lo, 0, v19
	v_min_u32_e32 v101, 32, v101
	v_subrev_nc_u32_e32 v113, 29, v101
	v_sub_nc_u32_e32 v101, 30, v101
	v_lshlrev_b32_e32 v113, v113, v81
	v_cndmask_b32_e32 v19, v19, v101, vcc_lo
	v_lshlrev_b32_e32 v101, 24, v81
	v_and_b32_e32 v113, 3, v113
	v_lshl_add_u32 v19, v19, 23, 0x37800000
	v_and_b32_e32 v101, 0x80000000, v101
	v_cndmask_b32_e32 v7, v7, v113, vcc_lo
	v_lshlrev_b32_e32 v7, 21, v7
	v_or3_b32 v7, v101, v19, v7
.LBB6_14127:                            ;   in Loop: Header=BB6_12577 Depth=3
	s_or_b32 exec_lo, exec_lo, s16
	s_waitcnt vmcnt(1)
	v_cmp_gt_i16_sdwa s16, v12, v116 src0_sel:BYTE_0 src1_sel:DWORD
	s_mov_b32 s23, 0
	s_and_saveexec_b32 s72, s16
	s_xor_b32 s16, exec_lo, s72
	s_cbranch_execz .LBB6_15017
; %bb.14128:                            ;   in Loop: Header=BB6_12577 Depth=3
	v_cmp_eq_u16_sdwa s73, v12, v117 src0_sel:BYTE_0 src1_sel:DWORD
	s_mov_b32 s23, -1
	s_and_saveexec_b32 s72, s73
; %bb.14129:                            ;   in Loop: Header=BB6_12577 Depth=3
	s_xor_b32 s23, exec_lo, -1
; %bb.14130:                            ;   in Loop: Header=BB6_12577 Depth=3
	s_or_b32 exec_lo, exec_lo, s72
	s_and_b32 s23, s23, exec_lo
	s_or_saveexec_b32 s16, s16
	v_mov_b32_e32 v19, 0x7f800001
	s_xor_b32 exec_lo, exec_lo, s16
	s_cbranch_execnz .LBB6_15018
.LBB6_14131:                            ;   in Loop: Header=BB6_12577 Depth=3
	s_or_b32 exec_lo, exec_lo, s16
	s_and_saveexec_b32 s16, s23
	s_cbranch_execz .LBB6_14133
.LBB6_14132:                            ;   in Loop: Header=BB6_12577 Depth=3
	v_and_b32_e32 v19, 3, v12
	v_bfe_u32 v101, v12, 2, 5
	v_ffbh_u32_e32 v113, v19
	v_cmp_eq_u32_e32 vcc_lo, 0, v101
	v_min_u32_e32 v113, 32, v113
	v_subrev_nc_u32_e32 v42, 29, v113
	v_sub_nc_u32_e32 v113, 30, v113
	v_lshlrev_b32_e32 v42, v42, v12
	v_cndmask_b32_e32 v101, v101, v113, vcc_lo
	v_lshlrev_b32_e32 v113, 24, v12
	v_and_b32_e32 v42, 3, v42
	v_lshl_add_u32 v101, v101, 23, 0x37800000
	v_and_b32_e32 v113, 0x80000000, v113
	v_cndmask_b32_e32 v19, v19, v42, vcc_lo
	v_lshlrev_b32_e32 v19, 21, v19
	v_or3_b32 v19, v113, v101, v19
.LBB6_14133:                            ;   in Loop: Header=BB6_12577 Depth=3
	s_or_b32 exec_lo, exec_lo, s16
	v_add_f32_e32 v19, v7, v19
	v_and_b32_e32 v7, 0x7f800000, v19
	v_cmp_ne_u32_e32 vcc_lo, 0x7f800000, v7
	v_mov_b32_e32 v7, 0x80
	s_and_saveexec_b32 s23, vcc_lo
	s_cbranch_execz .LBB6_14141
; %bb.14134:                            ;   in Loop: Header=BB6_12577 Depth=3
	v_mov_b32_e32 v7, 0
	s_mov_b32 s72, exec_lo
	v_cmpx_ne_u32_e32 0, v19
	s_cbranch_execz .LBB6_14140
; %bb.14135:                            ;   in Loop: Header=BB6_12577 Depth=3
	v_bfe_u32 v101, v19, 23, 8
	v_and_b32_e32 v7, 0x7fffff, v19
	v_cmp_gt_u32_e64 s16, 0x71, v101
	v_sub_nc_u32_e32 v113, 0x70, v101
	v_cmp_eq_u32_e32 vcc_lo, 0, v101
	v_or_b32_e32 v42, 0x800000, v7
	v_cndmask_b32_e64 v113, 0, v113, s16
	v_cndmask_b32_e32 v7, v42, v7, vcc_lo
	v_cndmask_b32_e64 v113, v113, 0x6f, vcc_lo
	v_lshl_add_u32 v42, 0x200000, v113, -1
	v_lshlrev_b32_e64 v44, v113, 0x100000
	v_and_b32_e32 v42, v42, v7
	v_cmp_eq_u32_e64 s16, v42, v44
	v_lshrrev_b32_e32 v42, v113, v7
	v_add_nc_u32_e32 v7, 0xffffff91, v101
	v_lshrrev_b32_e32 v101, 23, v42
	v_cndmask_b32_e64 v7, v7, 0xffffff92, vcc_lo
	v_xor_b32_e32 v101, 1, v101
	v_add_nc_u32_e32 v7, v113, v7
	v_bfe_u32 v113, v42, 21, 1
	v_add_nc_u32_e32 v113, -1, v113
	v_cndmask_b32_e64 v113, 0, v113, s16
	s_mov_b32 s16, exec_lo
	v_add_nc_u32_e32 v113, v113, v42
	v_and_b32_e32 v113, 0x1fffff, v113
	v_add_nc_u32_e32 v113, v113, v42
                                        ; implicit-def: $vgpr42
	v_cmpx_ne_u32_e64 v7, v101
	s_xor_b32 s16, exec_lo, s16
; %bb.14136:                            ;   in Loop: Header=BB6_12577 Depth=3
	v_cmp_lt_u32_e32 vcc_lo, 0xffffff, v113
	v_sub_nc_u32_e32 v7, v7, v101
	v_cndmask_b32_e64 v101, 0, 1, vcc_lo
	v_add_co_ci_u32_e64 v42, null, 0, v7, vcc_lo
	v_lshrrev_b32_e32 v113, v101, v113
; %bb.14137:                            ;   in Loop: Header=BB6_12577 Depth=3
	s_andn2_saveexec_b32 s16, s16
; %bb.14138:                            ;   in Loop: Header=BB6_12577 Depth=3
	v_bfe_u32 v42, v113, 23, 1
; %bb.14139:                            ;   in Loop: Header=BB6_12577 Depth=3
	s_or_b32 exec_lo, exec_lo, s16
	v_and_b32_sdwa v7, v19, v117 dst_sel:DWORD dst_unused:UNUSED_PAD src0_sel:BYTE_3 src1_sel:DWORD
	v_lshrrev_b32_e32 v19, 21, v113
	v_min_i32_e32 v101, 31, v42
	v_cmp_gt_i32_e32 vcc_lo, 32, v42
	v_lshlrev_b32_e32 v101, 2, v101
	v_cndmask_b32_e32 v19, 3, v19, vcc_lo
	v_and_b32_e32 v101, 0xfc, v101
	v_or_b32_e32 v113, v42, v19
	v_and_b32_e32 v19, 3, v19
	v_cmp_ne_u32_e32 vcc_lo, 0, v113
	v_or3_b32 v7, v101, v7, v19
	v_cndmask_b32_e32 v7, 0, v7, vcc_lo
.LBB6_14140:                            ;   in Loop: Header=BB6_12577 Depth=3
	s_or_b32 exec_lo, exec_lo, s72
.LBB6_14141:                            ;   in Loop: Header=BB6_12577 Depth=3
	s_or_b32 exec_lo, exec_lo, s23
	v_cmp_gt_i16_sdwa s23, v81, v116 src0_sel:BYTE_1 src1_sel:DWORD
	s_mov_b32 s16, 0
	s_and_saveexec_b32 s72, s23
	s_xor_b32 s23, exec_lo, s72
	s_cbranch_execz .LBB6_15019
; %bb.14142:                            ;   in Loop: Header=BB6_12577 Depth=3
	v_cmp_eq_u16_sdwa s73, v81, v117 src0_sel:BYTE_1 src1_sel:DWORD
	s_mov_b32 s16, -1
	s_and_saveexec_b32 s72, s73
; %bb.14143:                            ;   in Loop: Header=BB6_12577 Depth=3
	s_xor_b32 s16, exec_lo, -1
; %bb.14144:                            ;   in Loop: Header=BB6_12577 Depth=3
	s_or_b32 exec_lo, exec_lo, s72
	s_and_b32 s16, s16, exec_lo
	s_or_saveexec_b32 s23, s23
	v_mov_b32_e32 v19, 0x7f800001
	s_xor_b32 exec_lo, exec_lo, s23
	s_cbranch_execnz .LBB6_15020
.LBB6_14145:                            ;   in Loop: Header=BB6_12577 Depth=3
	s_or_b32 exec_lo, exec_lo, s23
	s_and_saveexec_b32 s23, s16
	s_cbranch_execz .LBB6_14147
.LBB6_14146:                            ;   in Loop: Header=BB6_12577 Depth=3
	v_and_b32_sdwa v19, v118, v81 dst_sel:DWORD dst_unused:UNUSED_PAD src0_sel:DWORD src1_sel:BYTE_1
	v_and_b32_e32 v101, 3, v19
	v_bfe_u32 v44, v19, 2, 5
	v_ffbh_u32_e32 v113, v101
	v_cmp_eq_u32_e32 vcc_lo, 0, v44
	v_min_u32_e32 v113, 32, v113
	v_subrev_nc_u32_e32 v42, 29, v113
	v_sub_nc_u32_e32 v113, 30, v113
	v_lshlrev_b32_e32 v19, v42, v19
	v_lshlrev_b32_sdwa v42, v119, v81 dst_sel:DWORD dst_unused:UNUSED_PAD src0_sel:DWORD src1_sel:BYTE_1
	v_cndmask_b32_e32 v113, v44, v113, vcc_lo
	v_and_b32_e32 v19, 3, v19
	v_lshl_add_u32 v113, v113, 23, 0x37800000
	v_cndmask_b32_e32 v19, v101, v19, vcc_lo
	v_and_b32_e32 v101, 0x80000000, v42
	v_lshlrev_b32_e32 v19, 21, v19
	v_or3_b32 v19, v101, v113, v19
.LBB6_14147:                            ;   in Loop: Header=BB6_12577 Depth=3
	s_or_b32 exec_lo, exec_lo, s23
	v_cmp_gt_i16_sdwa s23, v12, v116 src0_sel:BYTE_1 src1_sel:DWORD
	s_mov_b32 s16, 0
	s_and_saveexec_b32 s72, s23
	s_xor_b32 s23, exec_lo, s72
	s_cbranch_execz .LBB6_15021
; %bb.14148:                            ;   in Loop: Header=BB6_12577 Depth=3
	v_cmp_eq_u16_sdwa s73, v12, v117 src0_sel:BYTE_1 src1_sel:DWORD
	s_mov_b32 s16, -1
	s_and_saveexec_b32 s72, s73
; %bb.14149:                            ;   in Loop: Header=BB6_12577 Depth=3
	s_xor_b32 s16, exec_lo, -1
; %bb.14150:                            ;   in Loop: Header=BB6_12577 Depth=3
	s_or_b32 exec_lo, exec_lo, s72
	s_and_b32 s16, s16, exec_lo
	s_or_saveexec_b32 s23, s23
	v_mov_b32_e32 v101, 0x7f800001
	s_xor_b32 exec_lo, exec_lo, s23
	s_cbranch_execnz .LBB6_15022
.LBB6_14151:                            ;   in Loop: Header=BB6_12577 Depth=3
	s_or_b32 exec_lo, exec_lo, s23
	s_and_saveexec_b32 s23, s16
	s_cbranch_execz .LBB6_14153
.LBB6_14152:                            ;   in Loop: Header=BB6_12577 Depth=3
	v_and_b32_sdwa v101, v118, v12 dst_sel:DWORD dst_unused:UNUSED_PAD src0_sel:DWORD src1_sel:BYTE_1
	v_and_b32_e32 v113, 3, v101
	v_bfe_u32 v45, v101, 2, 5
	v_ffbh_u32_e32 v42, v113
	v_cmp_eq_u32_e32 vcc_lo, 0, v45
	v_min_u32_e32 v42, 32, v42
	v_subrev_nc_u32_e32 v44, 29, v42
	v_sub_nc_u32_e32 v42, 30, v42
	v_lshlrev_b32_e32 v101, v44, v101
	v_lshlrev_b32_sdwa v44, v119, v12 dst_sel:DWORD dst_unused:UNUSED_PAD src0_sel:DWORD src1_sel:BYTE_1
	v_cndmask_b32_e32 v42, v45, v42, vcc_lo
	v_and_b32_e32 v101, 3, v101
	v_lshl_add_u32 v42, v42, 23, 0x37800000
	v_cndmask_b32_e32 v101, v113, v101, vcc_lo
	v_and_b32_e32 v113, 0x80000000, v44
	v_lshlrev_b32_e32 v101, 21, v101
	v_or3_b32 v101, v113, v42, v101
.LBB6_14153:                            ;   in Loop: Header=BB6_12577 Depth=3
	s_or_b32 exec_lo, exec_lo, s23
	v_add_f32_e32 v101, v19, v101
	v_and_b32_e32 v19, 0x7f800000, v101
	v_cmp_ne_u32_e32 vcc_lo, 0x7f800000, v19
	v_mov_b32_e32 v19, 0x8000
	s_and_saveexec_b32 s23, vcc_lo
	s_cbranch_execz .LBB6_14161
; %bb.14154:                            ;   in Loop: Header=BB6_12577 Depth=3
	v_mov_b32_e32 v19, 0
	s_mov_b32 s72, exec_lo
	v_cmpx_ne_u32_e32 0, v101
	s_cbranch_execz .LBB6_14160
; %bb.14155:                            ;   in Loop: Header=BB6_12577 Depth=3
	v_bfe_u32 v113, v101, 23, 8
	v_and_b32_e32 v19, 0x7fffff, v101
	v_cmp_gt_u32_e64 s16, 0x71, v113
	v_sub_nc_u32_e32 v42, 0x70, v113
	v_cmp_eq_u32_e32 vcc_lo, 0, v113
	v_or_b32_e32 v44, 0x800000, v19
	v_cndmask_b32_e64 v42, 0, v42, s16
	v_cndmask_b32_e32 v19, v44, v19, vcc_lo
	v_cndmask_b32_e64 v42, v42, 0x6f, vcc_lo
	v_lshl_add_u32 v44, 0x200000, v42, -1
	v_lshlrev_b32_e64 v45, v42, 0x100000
	v_and_b32_e32 v44, v44, v19
	v_cmp_eq_u32_e64 s16, v44, v45
	v_lshrrev_b32_e32 v44, v42, v19
	v_add_nc_u32_e32 v19, 0xffffff91, v113
	v_lshrrev_b32_e32 v113, 23, v44
	v_cndmask_b32_e64 v19, v19, 0xffffff92, vcc_lo
	v_xor_b32_e32 v113, 1, v113
	v_add_nc_u32_e32 v19, v42, v19
	v_bfe_u32 v42, v44, 21, 1
	v_add_nc_u32_e32 v42, -1, v42
	v_cndmask_b32_e64 v42, 0, v42, s16
	s_mov_b32 s16, exec_lo
	v_add_nc_u32_e32 v42, v42, v44
	v_and_b32_e32 v42, 0x1fffff, v42
	v_add_nc_u32_e32 v42, v42, v44
                                        ; implicit-def: $vgpr44
	v_cmpx_ne_u32_e64 v19, v113
	s_xor_b32 s16, exec_lo, s16
; %bb.14156:                            ;   in Loop: Header=BB6_12577 Depth=3
	v_cmp_lt_u32_e32 vcc_lo, 0xffffff, v42
	v_sub_nc_u32_e32 v19, v19, v113
	v_cndmask_b32_e64 v113, 0, 1, vcc_lo
	v_add_co_ci_u32_e64 v44, null, 0, v19, vcc_lo
	v_lshrrev_b32_e32 v42, v113, v42
; %bb.14157:                            ;   in Loop: Header=BB6_12577 Depth=3
	s_andn2_saveexec_b32 s16, s16
; %bb.14158:                            ;   in Loop: Header=BB6_12577 Depth=3
	v_bfe_u32 v44, v42, 23, 1
; %bb.14159:                            ;   in Loop: Header=BB6_12577 Depth=3
	s_or_b32 exec_lo, exec_lo, s16
	v_and_b32_sdwa v19, v101, v117 dst_sel:DWORD dst_unused:UNUSED_PAD src0_sel:BYTE_3 src1_sel:DWORD
	v_lshrrev_b32_e32 v101, 21, v42
	v_min_i32_e32 v113, 31, v44
	v_cmp_gt_i32_e32 vcc_lo, 32, v44
	v_lshlrev_b32_e32 v113, 2, v113
	v_cndmask_b32_e32 v101, 3, v101, vcc_lo
	v_and_b32_e32 v113, 0xfc, v113
	v_or_b32_e32 v42, v44, v101
	v_and_b32_e32 v101, 3, v101
	v_cmp_ne_u32_e32 vcc_lo, 0, v42
	v_or3_b32 v19, v19, v113, v101
	v_lshlrev_b32_e32 v19, 8, v19
	v_cndmask_b32_e32 v19, 0, v19, vcc_lo
.LBB6_14160:                            ;   in Loop: Header=BB6_12577 Depth=3
	s_or_b32 exec_lo, exec_lo, s72
.LBB6_14161:                            ;   in Loop: Header=BB6_12577 Depth=3
	s_or_b32 exec_lo, exec_lo, s23
	v_or_b32_e32 v101, v122, v111
	s_mov_b32 s23, 0
	v_cmp_gt_i16_sdwa s16, v101, v116 src0_sel:BYTE_0 src1_sel:DWORD
	s_and_saveexec_b32 s72, s16
	s_xor_b32 s16, exec_lo, s72
	s_cbranch_execz .LBB6_15023
; %bb.14162:                            ;   in Loop: Header=BB6_12577 Depth=3
	v_cmp_eq_u16_sdwa s73, v101, v117 src0_sel:BYTE_0 src1_sel:DWORD
	s_mov_b32 s23, -1
	s_and_saveexec_b32 s72, s73
; %bb.14163:                            ;   in Loop: Header=BB6_12577 Depth=3
	s_xor_b32 s23, exec_lo, -1
; %bb.14164:                            ;   in Loop: Header=BB6_12577 Depth=3
	s_or_b32 exec_lo, exec_lo, s72
	s_and_b32 s23, s23, exec_lo
	s_or_saveexec_b32 s16, s16
	v_mov_b32_e32 v113, 0x7f800001
	s_xor_b32 exec_lo, exec_lo, s16
	s_cbranch_execnz .LBB6_15024
.LBB6_14165:                            ;   in Loop: Header=BB6_12577 Depth=3
	s_or_b32 exec_lo, exec_lo, s16
	v_lshl_or_b32 v101, v101, 16, v81
	s_and_saveexec_b32 s16, s23
	s_cbranch_execz .LBB6_14167
.LBB6_14166:                            ;   in Loop: Header=BB6_12577 Depth=3
	v_bfe_u32 v81, v101, 16, 2
	v_bfe_u32 v113, v101, 18, 5
	v_ffbh_u32_e32 v42, v81
	v_cmp_eq_u32_e32 vcc_lo, 0, v113
	v_min_u32_e32 v42, 32, v42
	v_subrev_nc_u32_e32 v44, 29, v42
	v_sub_nc_u32_e32 v42, 30, v42
	v_lshlrev_b32_sdwa v44, v44, v101 dst_sel:DWORD dst_unused:UNUSED_PAD src0_sel:DWORD src1_sel:WORD_1
	v_cndmask_b32_e32 v113, v113, v42, vcc_lo
	v_lshlrev_b32_e32 v42, 8, v101
	v_and_b32_e32 v44, 3, v44
	v_lshl_add_u32 v113, v113, 23, 0x37800000
	v_and_b32_e32 v42, 0x80000000, v42
	v_cndmask_b32_e32 v81, v81, v44, vcc_lo
	v_lshlrev_b32_e32 v81, 21, v81
	v_or3_b32 v113, v42, v113, v81
.LBB6_14167:                            ;   in Loop: Header=BB6_12577 Depth=3
	s_or_b32 exec_lo, exec_lo, s16
	v_and_b32_sdwa v42, v12, v40 dst_sel:DWORD dst_unused:UNUSED_PAD src0_sel:WORD_1 src1_sel:DWORD
	s_mov_b32 s23, 0
	s_mov_b32 s16, exec_lo
	v_cmpx_lt_i16_e32 0x7f, v42
	s_xor_b32 s16, exec_lo, s16
	s_cbranch_execz .LBB6_15025
; %bb.14168:                            ;   in Loop: Header=BB6_12577 Depth=3
	s_mov_b32 s23, -1
	s_mov_b32 s72, exec_lo
	v_cmpx_eq_u16_e32 0x80, v42
; %bb.14169:                            ;   in Loop: Header=BB6_12577 Depth=3
	s_xor_b32 s23, exec_lo, -1
; %bb.14170:                            ;   in Loop: Header=BB6_12577 Depth=3
	s_or_b32 exec_lo, exec_lo, s72
	s_and_b32 s23, s23, exec_lo
                                        ; implicit-def: $vgpr42
	s_or_saveexec_b32 s16, s16
	v_mov_b32_e32 v81, 0x7f800001
	s_xor_b32 exec_lo, exec_lo, s16
	s_cbranch_execnz .LBB6_15026
.LBB6_14171:                            ;   in Loop: Header=BB6_12577 Depth=3
	s_or_b32 exec_lo, exec_lo, s16
	s_and_saveexec_b32 s16, s23
	s_cbranch_execz .LBB6_14173
.LBB6_14172:                            ;   in Loop: Header=BB6_12577 Depth=3
	v_bfe_u32 v81, v12, 16, 2
	v_bfe_u32 v42, v12, 18, 5
	v_ffbh_u32_e32 v44, v81
	v_cmp_eq_u32_e32 vcc_lo, 0, v42
	v_min_u32_e32 v44, 32, v44
	v_subrev_nc_u32_e32 v45, 29, v44
	v_sub_nc_u32_e32 v44, 30, v44
	v_lshlrev_b32_sdwa v45, v45, v12 dst_sel:DWORD dst_unused:UNUSED_PAD src0_sel:DWORD src1_sel:WORD_1
	v_cndmask_b32_e32 v42, v42, v44, vcc_lo
	v_lshlrev_b32_e32 v44, 8, v12
	v_and_b32_e32 v45, 3, v45
	v_lshl_add_u32 v42, v42, 23, 0x37800000
	v_and_b32_e32 v44, 0x80000000, v44
	v_cndmask_b32_e32 v81, v81, v45, vcc_lo
	v_lshlrev_b32_e32 v81, 21, v81
	v_or3_b32 v81, v44, v42, v81
.LBB6_14173:                            ;   in Loop: Header=BB6_12577 Depth=3
	s_or_b32 exec_lo, exec_lo, s16
	v_add_f32_e32 v113, v113, v81
	v_and_b32_e32 v81, 0x7f800000, v113
	v_cmp_ne_u32_e32 vcc_lo, 0x7f800000, v81
	v_mov_b32_e32 v81, 0x80
	s_and_saveexec_b32 s23, vcc_lo
	s_cbranch_execz .LBB6_14181
; %bb.14174:                            ;   in Loop: Header=BB6_12577 Depth=3
	v_mov_b32_e32 v81, 0
	s_mov_b32 s72, exec_lo
	v_cmpx_ne_u32_e32 0, v113
	s_cbranch_execz .LBB6_14180
; %bb.14175:                            ;   in Loop: Header=BB6_12577 Depth=3
	v_bfe_u32 v42, v113, 23, 8
	v_and_b32_e32 v81, 0x7fffff, v113
	v_cmp_gt_u32_e64 s16, 0x71, v42
	v_sub_nc_u32_e32 v44, 0x70, v42
	v_cmp_eq_u32_e32 vcc_lo, 0, v42
	v_or_b32_e32 v45, 0x800000, v81
	v_cndmask_b32_e64 v44, 0, v44, s16
	v_cndmask_b32_e32 v81, v45, v81, vcc_lo
	v_cndmask_b32_e64 v44, v44, 0x6f, vcc_lo
	v_lshl_add_u32 v45, 0x200000, v44, -1
	v_lshlrev_b32_e64 v57, v44, 0x100000
	v_and_b32_e32 v45, v45, v81
	v_cmp_eq_u32_e64 s16, v45, v57
	v_lshrrev_b32_e32 v45, v44, v81
	v_add_nc_u32_e32 v81, 0xffffff91, v42
	v_lshrrev_b32_e32 v42, 23, v45
	v_cndmask_b32_e64 v81, v81, 0xffffff92, vcc_lo
	v_xor_b32_e32 v42, 1, v42
	v_add_nc_u32_e32 v81, v44, v81
	v_bfe_u32 v44, v45, 21, 1
	v_add_nc_u32_e32 v44, -1, v44
	v_cndmask_b32_e64 v44, 0, v44, s16
	s_mov_b32 s16, exec_lo
	v_add_nc_u32_e32 v44, v44, v45
	v_and_b32_e32 v44, 0x1fffff, v44
	v_add_nc_u32_e32 v44, v44, v45
                                        ; implicit-def: $vgpr45
	v_cmpx_ne_u32_e64 v81, v42
	s_xor_b32 s16, exec_lo, s16
; %bb.14176:                            ;   in Loop: Header=BB6_12577 Depth=3
	v_cmp_lt_u32_e32 vcc_lo, 0xffffff, v44
	v_sub_nc_u32_e32 v81, v81, v42
	v_cndmask_b32_e64 v42, 0, 1, vcc_lo
	v_add_co_ci_u32_e64 v45, null, 0, v81, vcc_lo
	v_lshrrev_b32_e32 v44, v42, v44
; %bb.14177:                            ;   in Loop: Header=BB6_12577 Depth=3
	s_andn2_saveexec_b32 s16, s16
; %bb.14178:                            ;   in Loop: Header=BB6_12577 Depth=3
	v_bfe_u32 v45, v44, 23, 1
; %bb.14179:                            ;   in Loop: Header=BB6_12577 Depth=3
	s_or_b32 exec_lo, exec_lo, s16
	v_and_b32_sdwa v81, v113, v117 dst_sel:DWORD dst_unused:UNUSED_PAD src0_sel:BYTE_3 src1_sel:DWORD
	v_lshrrev_b32_e32 v113, 21, v44
	v_min_i32_e32 v42, 31, v45
	v_cmp_gt_i32_e32 vcc_lo, 32, v45
	v_lshlrev_b32_e32 v42, 2, v42
	v_cndmask_b32_e32 v113, 3, v113, vcc_lo
	v_and_b32_e32 v42, 0xfc, v42
	v_or_b32_e32 v44, v45, v113
	v_and_b32_e32 v113, 3, v113
	v_cmp_ne_u32_e32 vcc_lo, 0, v44
	v_or3_b32 v81, v42, v81, v113
	v_cndmask_b32_e32 v81, 0, v81, vcc_lo
.LBB6_14180:                            ;   in Loop: Header=BB6_12577 Depth=3
	s_or_b32 exec_lo, exec_lo, s72
.LBB6_14181:                            ;   in Loop: Header=BB6_12577 Depth=3
	s_or_b32 exec_lo, exec_lo, s23
	v_cmp_gt_i16_sdwa s23, v101, v116 src0_sel:BYTE_3 src1_sel:DWORD
	s_mov_b32 s16, 0
	s_and_saveexec_b32 s72, s23
	s_xor_b32 s23, exec_lo, s72
	s_cbranch_execz .LBB6_15027
; %bb.14182:                            ;   in Loop: Header=BB6_12577 Depth=3
	v_cmp_eq_u16_sdwa s73, v101, v117 src0_sel:BYTE_3 src1_sel:DWORD
	s_mov_b32 s16, -1
	s_and_saveexec_b32 s72, s73
; %bb.14183:                            ;   in Loop: Header=BB6_12577 Depth=3
	s_xor_b32 s16, exec_lo, -1
; %bb.14184:                            ;   in Loop: Header=BB6_12577 Depth=3
	s_or_b32 exec_lo, exec_lo, s72
	s_and_b32 s16, s16, exec_lo
	s_or_saveexec_b32 s23, s23
	v_mov_b32_e32 v113, 0x7f800001
	s_xor_b32 exec_lo, exec_lo, s23
	s_cbranch_execnz .LBB6_15028
.LBB6_14185:                            ;   in Loop: Header=BB6_12577 Depth=3
	s_or_b32 exec_lo, exec_lo, s23
	s_and_saveexec_b32 s23, s16
	s_cbranch_execz .LBB6_14187
.LBB6_14186:                            ;   in Loop: Header=BB6_12577 Depth=3
	v_bfe_u32 v113, v101, 24, 2
	v_bfe_u32 v45, v101, 26, 5
	v_ffbh_u32_e32 v42, v113
	v_cmp_eq_u32_e32 vcc_lo, 0, v45
	v_min_u32_e32 v42, 32, v42
	v_subrev_nc_u32_e32 v44, 29, v42
	v_sub_nc_u32_e32 v42, 30, v42
	v_lshlrev_b32_sdwa v44, v44, v101 dst_sel:DWORD dst_unused:UNUSED_PAD src0_sel:DWORD src1_sel:BYTE_3
	v_cndmask_b32_e32 v42, v45, v42, vcc_lo
	v_and_b32_e32 v101, 0x80000000, v101
	v_and_b32_e32 v44, 3, v44
	v_lshl_add_u32 v42, v42, 23, 0x37800000
	v_cndmask_b32_e32 v113, v113, v44, vcc_lo
	v_lshlrev_b32_e32 v113, 21, v113
	v_or3_b32 v113, v101, v42, v113
.LBB6_14187:                            ;   in Loop: Header=BB6_12577 Depth=3
	s_or_b32 exec_lo, exec_lo, s23
	v_cmp_gt_i16_sdwa s23, v12, v116 src0_sel:BYTE_3 src1_sel:DWORD
	s_mov_b32 s16, 0
	s_and_saveexec_b32 s72, s23
	s_xor_b32 s23, exec_lo, s72
	s_cbranch_execz .LBB6_15029
; %bb.14188:                            ;   in Loop: Header=BB6_12577 Depth=3
	v_cmp_eq_u16_sdwa s73, v12, v117 src0_sel:BYTE_3 src1_sel:DWORD
	s_mov_b32 s16, -1
	s_and_saveexec_b32 s72, s73
; %bb.14189:                            ;   in Loop: Header=BB6_12577 Depth=3
	s_xor_b32 s16, exec_lo, -1
; %bb.14190:                            ;   in Loop: Header=BB6_12577 Depth=3
	s_or_b32 exec_lo, exec_lo, s72
	s_and_b32 s16, s16, exec_lo
	s_or_saveexec_b32 s23, s23
	v_mov_b32_e32 v101, 0x7f800001
	s_xor_b32 exec_lo, exec_lo, s23
	s_cbranch_execnz .LBB6_15030
.LBB6_14191:                            ;   in Loop: Header=BB6_12577 Depth=3
	s_or_b32 exec_lo, exec_lo, s23
	s_and_saveexec_b32 s23, s16
	s_cbranch_execz .LBB6_14193
.LBB6_14192:                            ;   in Loop: Header=BB6_12577 Depth=3
	v_bfe_u32 v101, v12, 24, 2
	v_bfe_u32 v45, v12, 26, 5
	v_ffbh_u32_e32 v42, v101
	v_cmp_eq_u32_e32 vcc_lo, 0, v45
	v_min_u32_e32 v42, 32, v42
	v_subrev_nc_u32_e32 v44, 29, v42
	v_sub_nc_u32_e32 v42, 30, v42
	v_lshlrev_b32_sdwa v44, v44, v12 dst_sel:DWORD dst_unused:UNUSED_PAD src0_sel:DWORD src1_sel:BYTE_3
	v_cndmask_b32_e32 v42, v45, v42, vcc_lo
	v_and_b32_e32 v12, 0x80000000, v12
	v_and_b32_e32 v44, 3, v44
	v_lshl_add_u32 v42, v42, 23, 0x37800000
	v_cndmask_b32_e32 v101, v101, v44, vcc_lo
	v_lshlrev_b32_e32 v101, 21, v101
	v_or3_b32 v101, v12, v42, v101
.LBB6_14193:                            ;   in Loop: Header=BB6_12577 Depth=3
	s_or_b32 exec_lo, exec_lo, s23
	v_add_f32_e32 v101, v113, v101
	v_and_b32_e32 v12, 0x7f800000, v101
	v_cmp_ne_u32_e32 vcc_lo, 0x7f800000, v12
	v_mov_b32_e32 v12, 0x8000
	s_and_saveexec_b32 s23, vcc_lo
	s_cbranch_execz .LBB6_14201
; %bb.14194:                            ;   in Loop: Header=BB6_12577 Depth=3
	v_mov_b32_e32 v12, 0
	s_mov_b32 s72, exec_lo
	v_cmpx_ne_u32_e32 0, v101
	s_cbranch_execz .LBB6_14200
; %bb.14195:                            ;   in Loop: Header=BB6_12577 Depth=3
	v_bfe_u32 v113, v101, 23, 8
	v_and_b32_e32 v12, 0x7fffff, v101
	v_cmp_gt_u32_e64 s16, 0x71, v113
	v_sub_nc_u32_e32 v42, 0x70, v113
	v_cmp_eq_u32_e32 vcc_lo, 0, v113
	v_or_b32_e32 v44, 0x800000, v12
	v_cndmask_b32_e64 v42, 0, v42, s16
	v_cndmask_b32_e32 v12, v44, v12, vcc_lo
	v_cndmask_b32_e64 v42, v42, 0x6f, vcc_lo
	v_lshl_add_u32 v44, 0x200000, v42, -1
	v_lshlrev_b32_e64 v45, v42, 0x100000
	v_and_b32_e32 v44, v44, v12
	v_cmp_eq_u32_e64 s16, v44, v45
	v_lshrrev_b32_e32 v44, v42, v12
	v_add_nc_u32_e32 v12, 0xffffff91, v113
	v_lshrrev_b32_e32 v113, 23, v44
	v_cndmask_b32_e64 v12, v12, 0xffffff92, vcc_lo
	v_xor_b32_e32 v113, 1, v113
	v_add_nc_u32_e32 v12, v42, v12
	v_bfe_u32 v42, v44, 21, 1
	v_add_nc_u32_e32 v42, -1, v42
	v_cndmask_b32_e64 v42, 0, v42, s16
	s_mov_b32 s16, exec_lo
	v_add_nc_u32_e32 v42, v42, v44
	v_and_b32_e32 v42, 0x1fffff, v42
	v_add_nc_u32_e32 v42, v42, v44
                                        ; implicit-def: $vgpr44
	v_cmpx_ne_u32_e64 v12, v113
	s_xor_b32 s16, exec_lo, s16
; %bb.14196:                            ;   in Loop: Header=BB6_12577 Depth=3
	v_cmp_lt_u32_e32 vcc_lo, 0xffffff, v42
	v_sub_nc_u32_e32 v12, v12, v113
	v_cndmask_b32_e64 v113, 0, 1, vcc_lo
	v_add_co_ci_u32_e64 v44, null, 0, v12, vcc_lo
	v_lshrrev_b32_e32 v42, v113, v42
; %bb.14197:                            ;   in Loop: Header=BB6_12577 Depth=3
	s_andn2_saveexec_b32 s16, s16
; %bb.14198:                            ;   in Loop: Header=BB6_12577 Depth=3
	v_bfe_u32 v44, v42, 23, 1
; %bb.14199:                            ;   in Loop: Header=BB6_12577 Depth=3
	s_or_b32 exec_lo, exec_lo, s16
	v_and_b32_sdwa v12, v101, v117 dst_sel:DWORD dst_unused:UNUSED_PAD src0_sel:BYTE_3 src1_sel:DWORD
	v_lshrrev_b32_e32 v101, 21, v42
	v_min_i32_e32 v113, 31, v44
	v_cmp_gt_i32_e32 vcc_lo, 32, v44
	v_lshlrev_b32_e32 v113, 2, v113
	v_cndmask_b32_e32 v101, 3, v101, vcc_lo
	v_and_b32_e32 v113, 0xfc, v113
	v_or_b32_e32 v42, v44, v101
	v_and_b32_e32 v101, 3, v101
	v_cmp_ne_u32_e32 vcc_lo, 0, v42
	v_or3_b32 v12, v12, v113, v101
	v_lshlrev_b32_e32 v12, 8, v12
	v_cndmask_b32_e32 v12, 0, v12, vcc_lo
.LBB6_14200:                            ;   in Loop: Header=BB6_12577 Depth=3
	s_or_b32 exec_lo, exec_lo, s72
.LBB6_14201:                            ;   in Loop: Header=BB6_12577 Depth=3
	s_or_b32 exec_lo, exec_lo, s23
	v_or_b32_e32 v101, v1, v31
	s_mov_b32 s23, 0
	v_cmp_gt_i16_sdwa s16, v101, v116 src0_sel:BYTE_0 src1_sel:DWORD
	s_and_saveexec_b32 s72, s16
	s_xor_b32 s16, exec_lo, s72
	s_cbranch_execz .LBB6_15031
; %bb.14202:                            ;   in Loop: Header=BB6_12577 Depth=3
	v_cmp_eq_u16_sdwa s73, v101, v117 src0_sel:BYTE_0 src1_sel:DWORD
	s_mov_b32 s23, -1
	s_and_saveexec_b32 s72, s73
; %bb.14203:                            ;   in Loop: Header=BB6_12577 Depth=3
	s_xor_b32 s23, exec_lo, -1
; %bb.14204:                            ;   in Loop: Header=BB6_12577 Depth=3
	s_or_b32 exec_lo, exec_lo, s72
	s_and_b32 s23, s23, exec_lo
	s_or_saveexec_b32 s16, s16
	v_mov_b32_e32 v1, 0x7f800001
	s_xor_b32 exec_lo, exec_lo, s16
	s_cbranch_execnz .LBB6_15032
.LBB6_14205:                            ;   in Loop: Header=BB6_12577 Depth=3
	s_or_b32 exec_lo, exec_lo, s16
	s_and_saveexec_b32 s16, s23
	s_cbranch_execz .LBB6_14207
.LBB6_14206:                            ;   in Loop: Header=BB6_12577 Depth=3
	v_and_b32_e32 v1, 3, v101
	v_bfe_u32 v31, v101, 2, 5
	v_ffbh_u32_e32 v113, v1
	v_cmp_eq_u32_e32 vcc_lo, 0, v31
	v_min_u32_e32 v113, 32, v113
	v_subrev_nc_u32_e32 v42, 29, v113
	v_sub_nc_u32_e32 v113, 30, v113
	v_lshlrev_b32_e32 v42, v42, v101
	v_cndmask_b32_e32 v31, v31, v113, vcc_lo
	v_lshlrev_b32_e32 v113, 24, v101
	v_and_b32_e32 v42, 3, v42
	v_lshl_add_u32 v31, v31, 23, 0x37800000
	v_and_b32_e32 v113, 0x80000000, v113
	v_cndmask_b32_e32 v1, v1, v42, vcc_lo
	v_lshlrev_b32_e32 v1, 21, v1
	v_or3_b32 v1, v113, v31, v1
.LBB6_14207:                            ;   in Loop: Header=BB6_12577 Depth=3
	s_or_b32 exec_lo, exec_lo, s16
	v_cmp_gt_i16_sdwa s16, v13, v116 src0_sel:BYTE_0 src1_sel:DWORD
	s_mov_b32 s23, 0
	s_and_saveexec_b32 s72, s16
	s_xor_b32 s16, exec_lo, s72
	s_cbranch_execz .LBB6_15033
; %bb.14208:                            ;   in Loop: Header=BB6_12577 Depth=3
	v_cmp_eq_u16_sdwa s73, v13, v117 src0_sel:BYTE_0 src1_sel:DWORD
	s_mov_b32 s23, -1
	s_and_saveexec_b32 s72, s73
; %bb.14209:                            ;   in Loop: Header=BB6_12577 Depth=3
	s_xor_b32 s23, exec_lo, -1
; %bb.14210:                            ;   in Loop: Header=BB6_12577 Depth=3
	s_or_b32 exec_lo, exec_lo, s72
	s_and_b32 s23, s23, exec_lo
	s_or_saveexec_b32 s16, s16
	v_mov_b32_e32 v31, 0x7f800001
	s_xor_b32 exec_lo, exec_lo, s16
	s_cbranch_execnz .LBB6_15034
.LBB6_14211:                            ;   in Loop: Header=BB6_12577 Depth=3
	s_or_b32 exec_lo, exec_lo, s16
	s_and_saveexec_b32 s16, s23
	s_cbranch_execz .LBB6_14213
.LBB6_14212:                            ;   in Loop: Header=BB6_12577 Depth=3
	v_and_b32_e32 v31, 3, v13
	v_bfe_u32 v113, v13, 2, 5
	v_ffbh_u32_e32 v42, v31
	v_cmp_eq_u32_e32 vcc_lo, 0, v113
	v_min_u32_e32 v42, 32, v42
	v_subrev_nc_u32_e32 v44, 29, v42
	v_sub_nc_u32_e32 v42, 30, v42
	v_lshlrev_b32_e32 v44, v44, v13
	v_cndmask_b32_e32 v113, v113, v42, vcc_lo
	v_lshlrev_b32_e32 v42, 24, v13
	v_and_b32_e32 v44, 3, v44
	v_lshl_add_u32 v113, v113, 23, 0x37800000
	v_and_b32_e32 v42, 0x80000000, v42
	v_cndmask_b32_e32 v31, v31, v44, vcc_lo
	v_lshlrev_b32_e32 v31, 21, v31
	v_or3_b32 v31, v42, v113, v31
.LBB6_14213:                            ;   in Loop: Header=BB6_12577 Depth=3
	s_or_b32 exec_lo, exec_lo, s16
	v_add_f32_e32 v31, v1, v31
	v_and_b32_e32 v1, 0x7f800000, v31
	v_cmp_ne_u32_e32 vcc_lo, 0x7f800000, v1
	v_mov_b32_e32 v1, 0x80
	s_and_saveexec_b32 s23, vcc_lo
	s_cbranch_execz .LBB6_14221
; %bb.14214:                            ;   in Loop: Header=BB6_12577 Depth=3
	v_mov_b32_e32 v1, 0
	s_mov_b32 s72, exec_lo
	v_cmpx_ne_u32_e32 0, v31
	s_cbranch_execz .LBB6_14220
; %bb.14215:                            ;   in Loop: Header=BB6_12577 Depth=3
	v_bfe_u32 v113, v31, 23, 8
	v_and_b32_e32 v1, 0x7fffff, v31
	v_cmp_gt_u32_e64 s16, 0x71, v113
	v_sub_nc_u32_e32 v42, 0x70, v113
	v_cmp_eq_u32_e32 vcc_lo, 0, v113
	v_or_b32_e32 v44, 0x800000, v1
	v_cndmask_b32_e64 v42, 0, v42, s16
	v_cndmask_b32_e32 v1, v44, v1, vcc_lo
	v_cndmask_b32_e64 v42, v42, 0x6f, vcc_lo
	v_lshl_add_u32 v44, 0x200000, v42, -1
	v_lshlrev_b32_e64 v45, v42, 0x100000
	v_and_b32_e32 v44, v44, v1
	v_cmp_eq_u32_e64 s16, v44, v45
	v_lshrrev_b32_e32 v44, v42, v1
	v_add_nc_u32_e32 v1, 0xffffff91, v113
	v_lshrrev_b32_e32 v113, 23, v44
	v_cndmask_b32_e64 v1, v1, 0xffffff92, vcc_lo
	v_xor_b32_e32 v113, 1, v113
	v_add_nc_u32_e32 v1, v42, v1
	v_bfe_u32 v42, v44, 21, 1
	v_add_nc_u32_e32 v42, -1, v42
	v_cndmask_b32_e64 v42, 0, v42, s16
	s_mov_b32 s16, exec_lo
	v_add_nc_u32_e32 v42, v42, v44
	v_and_b32_e32 v42, 0x1fffff, v42
	v_add_nc_u32_e32 v42, v42, v44
                                        ; implicit-def: $vgpr44
	v_cmpx_ne_u32_e64 v1, v113
	s_xor_b32 s16, exec_lo, s16
; %bb.14216:                            ;   in Loop: Header=BB6_12577 Depth=3
	v_cmp_lt_u32_e32 vcc_lo, 0xffffff, v42
	v_sub_nc_u32_e32 v1, v1, v113
	v_cndmask_b32_e64 v113, 0, 1, vcc_lo
	v_add_co_ci_u32_e64 v44, null, 0, v1, vcc_lo
	v_lshrrev_b32_e32 v42, v113, v42
; %bb.14217:                            ;   in Loop: Header=BB6_12577 Depth=3
	s_andn2_saveexec_b32 s16, s16
; %bb.14218:                            ;   in Loop: Header=BB6_12577 Depth=3
	v_bfe_u32 v44, v42, 23, 1
; %bb.14219:                            ;   in Loop: Header=BB6_12577 Depth=3
	s_or_b32 exec_lo, exec_lo, s16
	v_and_b32_sdwa v1, v31, v117 dst_sel:DWORD dst_unused:UNUSED_PAD src0_sel:BYTE_3 src1_sel:DWORD
	v_lshrrev_b32_e32 v31, 21, v42
	v_min_i32_e32 v113, 31, v44
	v_cmp_gt_i32_e32 vcc_lo, 32, v44
	v_lshlrev_b32_e32 v113, 2, v113
	v_cndmask_b32_e32 v31, 3, v31, vcc_lo
	v_and_b32_e32 v113, 0xfc, v113
	v_or_b32_e32 v42, v44, v31
	v_and_b32_e32 v31, 3, v31
	v_cmp_ne_u32_e32 vcc_lo, 0, v42
	v_or3_b32 v1, v113, v1, v31
	v_cndmask_b32_e32 v1, 0, v1, vcc_lo
.LBB6_14220:                            ;   in Loop: Header=BB6_12577 Depth=3
	s_or_b32 exec_lo, exec_lo, s72
.LBB6_14221:                            ;   in Loop: Header=BB6_12577 Depth=3
	s_or_b32 exec_lo, exec_lo, s23
	v_cmp_gt_i16_sdwa s23, v101, v116 src0_sel:BYTE_1 src1_sel:DWORD
	s_mov_b32 s16, 0
	s_and_saveexec_b32 s72, s23
	s_xor_b32 s23, exec_lo, s72
	s_cbranch_execz .LBB6_15035
; %bb.14222:                            ;   in Loop: Header=BB6_12577 Depth=3
	v_cmp_eq_u16_sdwa s73, v101, v117 src0_sel:BYTE_1 src1_sel:DWORD
	s_mov_b32 s16, -1
	s_and_saveexec_b32 s72, s73
; %bb.14223:                            ;   in Loop: Header=BB6_12577 Depth=3
	s_xor_b32 s16, exec_lo, -1
; %bb.14224:                            ;   in Loop: Header=BB6_12577 Depth=3
	s_or_b32 exec_lo, exec_lo, s72
	s_and_b32 s16, s16, exec_lo
	s_or_saveexec_b32 s23, s23
	v_mov_b32_e32 v31, 0x7f800001
	s_xor_b32 exec_lo, exec_lo, s23
	s_cbranch_execnz .LBB6_15036
.LBB6_14225:                            ;   in Loop: Header=BB6_12577 Depth=3
	s_or_b32 exec_lo, exec_lo, s23
	s_and_saveexec_b32 s23, s16
	s_cbranch_execz .LBB6_14227
.LBB6_14226:                            ;   in Loop: Header=BB6_12577 Depth=3
	v_and_b32_sdwa v31, v118, v101 dst_sel:DWORD dst_unused:UNUSED_PAD src0_sel:DWORD src1_sel:BYTE_1
	v_and_b32_e32 v113, 3, v31
	v_bfe_u32 v45, v31, 2, 5
	v_ffbh_u32_e32 v42, v113
	v_cmp_eq_u32_e32 vcc_lo, 0, v45
	v_min_u32_e32 v42, 32, v42
	v_subrev_nc_u32_e32 v44, 29, v42
	v_sub_nc_u32_e32 v42, 30, v42
	v_lshlrev_b32_e32 v31, v44, v31
	v_lshlrev_b32_sdwa v44, v119, v101 dst_sel:DWORD dst_unused:UNUSED_PAD src0_sel:DWORD src1_sel:BYTE_1
	v_cndmask_b32_e32 v42, v45, v42, vcc_lo
	v_and_b32_e32 v31, 3, v31
	v_lshl_add_u32 v42, v42, 23, 0x37800000
	v_cndmask_b32_e32 v31, v113, v31, vcc_lo
	v_and_b32_e32 v113, 0x80000000, v44
	v_lshlrev_b32_e32 v31, 21, v31
	v_or3_b32 v31, v113, v42, v31
.LBB6_14227:                            ;   in Loop: Header=BB6_12577 Depth=3
	s_or_b32 exec_lo, exec_lo, s23
	v_cmp_gt_i16_sdwa s23, v13, v116 src0_sel:BYTE_1 src1_sel:DWORD
	s_mov_b32 s16, 0
	s_and_saveexec_b32 s72, s23
	s_xor_b32 s23, exec_lo, s72
	s_cbranch_execz .LBB6_15037
; %bb.14228:                            ;   in Loop: Header=BB6_12577 Depth=3
	v_cmp_eq_u16_sdwa s73, v13, v117 src0_sel:BYTE_1 src1_sel:DWORD
	s_mov_b32 s16, -1
	s_and_saveexec_b32 s72, s73
; %bb.14229:                            ;   in Loop: Header=BB6_12577 Depth=3
	s_xor_b32 s16, exec_lo, -1
; %bb.14230:                            ;   in Loop: Header=BB6_12577 Depth=3
	s_or_b32 exec_lo, exec_lo, s72
	s_and_b32 s16, s16, exec_lo
	s_or_saveexec_b32 s23, s23
	v_mov_b32_e32 v113, 0x7f800001
	s_xor_b32 exec_lo, exec_lo, s23
	s_cbranch_execnz .LBB6_15038
.LBB6_14231:                            ;   in Loop: Header=BB6_12577 Depth=3
	s_or_b32 exec_lo, exec_lo, s23
	s_and_saveexec_b32 s23, s16
	s_cbranch_execz .LBB6_14233
.LBB6_14232:                            ;   in Loop: Header=BB6_12577 Depth=3
	v_and_b32_sdwa v113, v118, v13 dst_sel:DWORD dst_unused:UNUSED_PAD src0_sel:DWORD src1_sel:BYTE_1
	v_and_b32_e32 v42, 3, v113
	v_bfe_u32 v57, v113, 2, 5
	v_ffbh_u32_e32 v44, v42
	v_cmp_eq_u32_e32 vcc_lo, 0, v57
	v_min_u32_e32 v44, 32, v44
	v_subrev_nc_u32_e32 v45, 29, v44
	v_sub_nc_u32_e32 v44, 30, v44
	v_lshlrev_b32_e32 v113, v45, v113
	v_lshlrev_b32_sdwa v45, v119, v13 dst_sel:DWORD dst_unused:UNUSED_PAD src0_sel:DWORD src1_sel:BYTE_1
	v_cndmask_b32_e32 v44, v57, v44, vcc_lo
	v_and_b32_e32 v113, 3, v113
	v_lshl_add_u32 v44, v44, 23, 0x37800000
	v_cndmask_b32_e32 v113, v42, v113, vcc_lo
	v_and_b32_e32 v42, 0x80000000, v45
	v_lshlrev_b32_e32 v113, 21, v113
	v_or3_b32 v113, v42, v44, v113
.LBB6_14233:                            ;   in Loop: Header=BB6_12577 Depth=3
	s_or_b32 exec_lo, exec_lo, s23
	v_add_f32_e32 v113, v31, v113
	v_and_b32_e32 v31, 0x7f800000, v113
	v_cmp_ne_u32_e32 vcc_lo, 0x7f800000, v31
	v_mov_b32_e32 v31, 0x8000
	s_and_saveexec_b32 s23, vcc_lo
	s_cbranch_execz .LBB6_14241
; %bb.14234:                            ;   in Loop: Header=BB6_12577 Depth=3
	v_mov_b32_e32 v31, 0
	s_mov_b32 s72, exec_lo
	v_cmpx_ne_u32_e32 0, v113
	s_cbranch_execz .LBB6_14240
; %bb.14235:                            ;   in Loop: Header=BB6_12577 Depth=3
	v_bfe_u32 v42, v113, 23, 8
	v_and_b32_e32 v31, 0x7fffff, v113
	v_cmp_gt_u32_e64 s16, 0x71, v42
	v_sub_nc_u32_e32 v44, 0x70, v42
	v_cmp_eq_u32_e32 vcc_lo, 0, v42
	v_or_b32_e32 v45, 0x800000, v31
	v_cndmask_b32_e64 v44, 0, v44, s16
	v_cndmask_b32_e32 v31, v45, v31, vcc_lo
	v_cndmask_b32_e64 v44, v44, 0x6f, vcc_lo
	v_lshl_add_u32 v45, 0x200000, v44, -1
	v_lshlrev_b32_e64 v57, v44, 0x100000
	v_and_b32_e32 v45, v45, v31
	v_cmp_eq_u32_e64 s16, v45, v57
	v_lshrrev_b32_e32 v45, v44, v31
	v_add_nc_u32_e32 v31, 0xffffff91, v42
	v_lshrrev_b32_e32 v42, 23, v45
	v_cndmask_b32_e64 v31, v31, 0xffffff92, vcc_lo
	v_xor_b32_e32 v42, 1, v42
	v_add_nc_u32_e32 v31, v44, v31
	v_bfe_u32 v44, v45, 21, 1
	v_add_nc_u32_e32 v44, -1, v44
	v_cndmask_b32_e64 v44, 0, v44, s16
	s_mov_b32 s16, exec_lo
	v_add_nc_u32_e32 v44, v44, v45
	v_and_b32_e32 v44, 0x1fffff, v44
	v_add_nc_u32_e32 v44, v44, v45
                                        ; implicit-def: $vgpr45
	v_cmpx_ne_u32_e64 v31, v42
	s_xor_b32 s16, exec_lo, s16
; %bb.14236:                            ;   in Loop: Header=BB6_12577 Depth=3
	v_cmp_lt_u32_e32 vcc_lo, 0xffffff, v44
	v_sub_nc_u32_e32 v31, v31, v42
	v_cndmask_b32_e64 v42, 0, 1, vcc_lo
	v_add_co_ci_u32_e64 v45, null, 0, v31, vcc_lo
	v_lshrrev_b32_e32 v44, v42, v44
; %bb.14237:                            ;   in Loop: Header=BB6_12577 Depth=3
	s_andn2_saveexec_b32 s16, s16
; %bb.14238:                            ;   in Loop: Header=BB6_12577 Depth=3
	v_bfe_u32 v45, v44, 23, 1
; %bb.14239:                            ;   in Loop: Header=BB6_12577 Depth=3
	s_or_b32 exec_lo, exec_lo, s16
	v_and_b32_sdwa v31, v113, v117 dst_sel:DWORD dst_unused:UNUSED_PAD src0_sel:BYTE_3 src1_sel:DWORD
	v_lshrrev_b32_e32 v113, 21, v44
	v_min_i32_e32 v42, 31, v45
	v_cmp_gt_i32_e32 vcc_lo, 32, v45
	v_lshlrev_b32_e32 v42, 2, v42
	v_cndmask_b32_e32 v113, 3, v113, vcc_lo
	v_and_b32_e32 v42, 0xfc, v42
	v_or_b32_e32 v44, v45, v113
	v_and_b32_e32 v113, 3, v113
	v_cmp_ne_u32_e32 vcc_lo, 0, v44
	v_or3_b32 v31, v31, v42, v113
	v_lshlrev_b32_e32 v31, 8, v31
	v_cndmask_b32_e32 v31, 0, v31, vcc_lo
.LBB6_14240:                            ;   in Loop: Header=BB6_12577 Depth=3
	s_or_b32 exec_lo, exec_lo, s72
.LBB6_14241:                            ;   in Loop: Header=BB6_12577 Depth=3
	s_or_b32 exec_lo, exec_lo, s23
	v_or_b32_e32 v113, v110, v108
	s_mov_b32 s23, 0
	v_cmp_gt_i16_sdwa s16, v113, v116 src0_sel:BYTE_0 src1_sel:DWORD
	s_and_saveexec_b32 s72, s16
	s_xor_b32 s16, exec_lo, s72
	s_cbranch_execz .LBB6_15039
; %bb.14242:                            ;   in Loop: Header=BB6_12577 Depth=3
	v_cmp_eq_u16_sdwa s73, v113, v117 src0_sel:BYTE_0 src1_sel:DWORD
	s_mov_b32 s23, -1
	s_and_saveexec_b32 s72, s73
; %bb.14243:                            ;   in Loop: Header=BB6_12577 Depth=3
	s_xor_b32 s23, exec_lo, -1
; %bb.14244:                            ;   in Loop: Header=BB6_12577 Depth=3
	s_or_b32 exec_lo, exec_lo, s72
	s_and_b32 s23, s23, exec_lo
	s_or_saveexec_b32 s16, s16
	v_mov_b32_e32 v42, 0x7f800001
	s_xor_b32 exec_lo, exec_lo, s16
	s_cbranch_execnz .LBB6_15040
.LBB6_14245:                            ;   in Loop: Header=BB6_12577 Depth=3
	s_or_b32 exec_lo, exec_lo, s16
	v_lshl_or_b32 v113, v113, 16, v101
	s_and_saveexec_b32 s16, s23
	s_cbranch_execz .LBB6_14247
.LBB6_14246:                            ;   in Loop: Header=BB6_12577 Depth=3
	v_bfe_u32 v101, v113, 16, 2
	v_bfe_u32 v42, v113, 18, 5
	v_ffbh_u32_e32 v44, v101
	v_cmp_eq_u32_e32 vcc_lo, 0, v42
	v_min_u32_e32 v44, 32, v44
	v_subrev_nc_u32_e32 v45, 29, v44
	v_sub_nc_u32_e32 v44, 30, v44
	v_lshlrev_b32_sdwa v45, v45, v113 dst_sel:DWORD dst_unused:UNUSED_PAD src0_sel:DWORD src1_sel:WORD_1
	v_cndmask_b32_e32 v42, v42, v44, vcc_lo
	v_lshlrev_b32_e32 v44, 8, v113
	v_and_b32_e32 v45, 3, v45
	v_lshl_add_u32 v42, v42, 23, 0x37800000
	v_and_b32_e32 v44, 0x80000000, v44
	v_cndmask_b32_e32 v101, v101, v45, vcc_lo
	v_lshlrev_b32_e32 v101, 21, v101
	v_or3_b32 v42, v44, v42, v101
.LBB6_14247:                            ;   in Loop: Header=BB6_12577 Depth=3
	s_or_b32 exec_lo, exec_lo, s16
	v_and_b32_sdwa v44, v13, v40 dst_sel:DWORD dst_unused:UNUSED_PAD src0_sel:WORD_1 src1_sel:DWORD
	s_mov_b32 s23, 0
	s_mov_b32 s16, exec_lo
	v_cmpx_lt_i16_e32 0x7f, v44
	s_xor_b32 s16, exec_lo, s16
	s_cbranch_execz .LBB6_15041
; %bb.14248:                            ;   in Loop: Header=BB6_12577 Depth=3
	s_mov_b32 s23, -1
	s_mov_b32 s72, exec_lo
	v_cmpx_eq_u16_e32 0x80, v44
; %bb.14249:                            ;   in Loop: Header=BB6_12577 Depth=3
	s_xor_b32 s23, exec_lo, -1
; %bb.14250:                            ;   in Loop: Header=BB6_12577 Depth=3
	s_or_b32 exec_lo, exec_lo, s72
	s_and_b32 s23, s23, exec_lo
                                        ; implicit-def: $vgpr44
	s_or_saveexec_b32 s16, s16
	v_mov_b32_e32 v101, 0x7f800001
	s_xor_b32 exec_lo, exec_lo, s16
	s_cbranch_execnz .LBB6_15042
.LBB6_14251:                            ;   in Loop: Header=BB6_12577 Depth=3
	s_or_b32 exec_lo, exec_lo, s16
	s_and_saveexec_b32 s16, s23
	s_cbranch_execz .LBB6_14253
.LBB6_14252:                            ;   in Loop: Header=BB6_12577 Depth=3
	v_bfe_u32 v101, v13, 16, 2
	v_bfe_u32 v44, v13, 18, 5
	v_ffbh_u32_e32 v45, v101
	v_cmp_eq_u32_e32 vcc_lo, 0, v44
	v_min_u32_e32 v45, 32, v45
	v_subrev_nc_u32_e32 v57, 29, v45
	v_sub_nc_u32_e32 v45, 30, v45
	v_lshlrev_b32_sdwa v57, v57, v13 dst_sel:DWORD dst_unused:UNUSED_PAD src0_sel:DWORD src1_sel:WORD_1
	v_cndmask_b32_e32 v44, v44, v45, vcc_lo
	v_lshlrev_b32_e32 v45, 8, v13
	v_and_b32_e32 v57, 3, v57
	v_lshl_add_u32 v44, v44, 23, 0x37800000
	v_and_b32_e32 v45, 0x80000000, v45
	v_cndmask_b32_e32 v101, v101, v57, vcc_lo
	v_lshlrev_b32_e32 v101, 21, v101
	v_or3_b32 v101, v45, v44, v101
.LBB6_14253:                            ;   in Loop: Header=BB6_12577 Depth=3
	s_or_b32 exec_lo, exec_lo, s16
	v_add_f32_e32 v42, v42, v101
	v_and_b32_e32 v101, 0x7f800000, v42
	v_cmp_ne_u32_e32 vcc_lo, 0x7f800000, v101
	v_mov_b32_e32 v101, 0x80
	s_and_saveexec_b32 s23, vcc_lo
	s_cbranch_execz .LBB6_14261
; %bb.14254:                            ;   in Loop: Header=BB6_12577 Depth=3
	v_mov_b32_e32 v101, 0
	s_mov_b32 s72, exec_lo
	v_cmpx_ne_u32_e32 0, v42
	s_cbranch_execz .LBB6_14260
; %bb.14255:                            ;   in Loop: Header=BB6_12577 Depth=3
	v_bfe_u32 v44, v42, 23, 8
	v_and_b32_e32 v101, 0x7fffff, v42
	v_cmp_gt_u32_e64 s16, 0x71, v44
	v_sub_nc_u32_e32 v45, 0x70, v44
	v_cmp_eq_u32_e32 vcc_lo, 0, v44
	v_or_b32_e32 v57, 0x800000, v101
	v_cndmask_b32_e64 v45, 0, v45, s16
	v_cndmask_b32_e32 v101, v57, v101, vcc_lo
	v_cndmask_b32_e64 v45, v45, 0x6f, vcc_lo
	v_lshl_add_u32 v57, 0x200000, v45, -1
	v_lshlrev_b32_e64 v58, v45, 0x100000
	v_and_b32_e32 v57, v57, v101
	v_cmp_eq_u32_e64 s16, v57, v58
	v_lshrrev_b32_e32 v57, v45, v101
	v_add_nc_u32_e32 v101, 0xffffff91, v44
	v_lshrrev_b32_e32 v44, 23, v57
	v_cndmask_b32_e64 v101, v101, 0xffffff92, vcc_lo
	v_xor_b32_e32 v44, 1, v44
	v_add_nc_u32_e32 v101, v45, v101
	v_bfe_u32 v45, v57, 21, 1
	v_add_nc_u32_e32 v45, -1, v45
	v_cndmask_b32_e64 v45, 0, v45, s16
	s_mov_b32 s16, exec_lo
	v_add_nc_u32_e32 v45, v45, v57
	v_and_b32_e32 v45, 0x1fffff, v45
	v_add_nc_u32_e32 v45, v45, v57
                                        ; implicit-def: $vgpr57
	v_cmpx_ne_u32_e64 v101, v44
	s_xor_b32 s16, exec_lo, s16
; %bb.14256:                            ;   in Loop: Header=BB6_12577 Depth=3
	v_cmp_lt_u32_e32 vcc_lo, 0xffffff, v45
	v_sub_nc_u32_e32 v101, v101, v44
	v_cndmask_b32_e64 v44, 0, 1, vcc_lo
	v_add_co_ci_u32_e64 v57, null, 0, v101, vcc_lo
	v_lshrrev_b32_e32 v45, v44, v45
; %bb.14257:                            ;   in Loop: Header=BB6_12577 Depth=3
	s_andn2_saveexec_b32 s16, s16
; %bb.14258:                            ;   in Loop: Header=BB6_12577 Depth=3
	v_bfe_u32 v57, v45, 23, 1
; %bb.14259:                            ;   in Loop: Header=BB6_12577 Depth=3
	s_or_b32 exec_lo, exec_lo, s16
	v_and_b32_sdwa v101, v42, v117 dst_sel:DWORD dst_unused:UNUSED_PAD src0_sel:BYTE_3 src1_sel:DWORD
	v_lshrrev_b32_e32 v42, 21, v45
	v_min_i32_e32 v44, 31, v57
	v_cmp_gt_i32_e32 vcc_lo, 32, v57
	v_lshlrev_b32_e32 v44, 2, v44
	v_cndmask_b32_e32 v42, 3, v42, vcc_lo
	v_and_b32_e32 v44, 0xfc, v44
	v_or_b32_e32 v45, v57, v42
	v_and_b32_e32 v42, 3, v42
	v_cmp_ne_u32_e32 vcc_lo, 0, v45
	v_or3_b32 v101, v44, v101, v42
	v_cndmask_b32_e32 v101, 0, v101, vcc_lo
.LBB6_14260:                            ;   in Loop: Header=BB6_12577 Depth=3
	s_or_b32 exec_lo, exec_lo, s72
.LBB6_14261:                            ;   in Loop: Header=BB6_12577 Depth=3
	s_or_b32 exec_lo, exec_lo, s23
	v_cmp_gt_i16_sdwa s23, v113, v116 src0_sel:BYTE_3 src1_sel:DWORD
	s_mov_b32 s16, 0
	s_and_saveexec_b32 s72, s23
	s_xor_b32 s23, exec_lo, s72
	s_cbranch_execz .LBB6_15043
; %bb.14262:                            ;   in Loop: Header=BB6_12577 Depth=3
	v_cmp_eq_u16_sdwa s73, v113, v117 src0_sel:BYTE_3 src1_sel:DWORD
	s_mov_b32 s16, -1
	s_and_saveexec_b32 s72, s73
; %bb.14263:                            ;   in Loop: Header=BB6_12577 Depth=3
	s_xor_b32 s16, exec_lo, -1
; %bb.14264:                            ;   in Loop: Header=BB6_12577 Depth=3
	s_or_b32 exec_lo, exec_lo, s72
	s_and_b32 s16, s16, exec_lo
	s_or_saveexec_b32 s23, s23
	v_mov_b32_e32 v42, 0x7f800001
	s_xor_b32 exec_lo, exec_lo, s23
	s_cbranch_execnz .LBB6_15044
.LBB6_14265:                            ;   in Loop: Header=BB6_12577 Depth=3
	s_or_b32 exec_lo, exec_lo, s23
	s_and_saveexec_b32 s23, s16
	s_cbranch_execz .LBB6_14267
.LBB6_14266:                            ;   in Loop: Header=BB6_12577 Depth=3
	v_bfe_u32 v42, v113, 24, 2
	v_bfe_u32 v57, v113, 26, 5
	v_ffbh_u32_e32 v44, v42
	v_cmp_eq_u32_e32 vcc_lo, 0, v57
	v_min_u32_e32 v44, 32, v44
	v_subrev_nc_u32_e32 v45, 29, v44
	v_sub_nc_u32_e32 v44, 30, v44
	v_lshlrev_b32_sdwa v45, v45, v113 dst_sel:DWORD dst_unused:UNUSED_PAD src0_sel:DWORD src1_sel:BYTE_3
	v_cndmask_b32_e32 v44, v57, v44, vcc_lo
	v_and_b32_e32 v113, 0x80000000, v113
	v_and_b32_e32 v45, 3, v45
	v_lshl_add_u32 v44, v44, 23, 0x37800000
	v_cndmask_b32_e32 v42, v42, v45, vcc_lo
	v_lshlrev_b32_e32 v42, 21, v42
	v_or3_b32 v42, v113, v44, v42
.LBB6_14267:                            ;   in Loop: Header=BB6_12577 Depth=3
	s_or_b32 exec_lo, exec_lo, s23
	v_cmp_gt_i16_sdwa s23, v13, v116 src0_sel:BYTE_3 src1_sel:DWORD
	s_mov_b32 s16, 0
	s_and_saveexec_b32 s72, s23
	s_xor_b32 s23, exec_lo, s72
	s_cbranch_execz .LBB6_15045
; %bb.14268:                            ;   in Loop: Header=BB6_12577 Depth=3
	v_cmp_eq_u16_sdwa s73, v13, v117 src0_sel:BYTE_3 src1_sel:DWORD
	s_mov_b32 s16, -1
	s_and_saveexec_b32 s72, s73
; %bb.14269:                            ;   in Loop: Header=BB6_12577 Depth=3
	s_xor_b32 s16, exec_lo, -1
; %bb.14270:                            ;   in Loop: Header=BB6_12577 Depth=3
	s_or_b32 exec_lo, exec_lo, s72
	s_and_b32 s16, s16, exec_lo
	s_or_saveexec_b32 s23, s23
	v_mov_b32_e32 v113, 0x7f800001
	s_xor_b32 exec_lo, exec_lo, s23
	s_cbranch_execnz .LBB6_15046
.LBB6_14271:                            ;   in Loop: Header=BB6_12577 Depth=3
	s_or_b32 exec_lo, exec_lo, s23
	s_and_saveexec_b32 s23, s16
	s_cbranch_execz .LBB6_14273
.LBB6_14272:                            ;   in Loop: Header=BB6_12577 Depth=3
	v_bfe_u32 v113, v13, 24, 2
	v_bfe_u32 v57, v13, 26, 5
	v_ffbh_u32_e32 v44, v113
	v_cmp_eq_u32_e32 vcc_lo, 0, v57
	v_min_u32_e32 v44, 32, v44
	v_subrev_nc_u32_e32 v45, 29, v44
	v_sub_nc_u32_e32 v44, 30, v44
	v_lshlrev_b32_sdwa v45, v45, v13 dst_sel:DWORD dst_unused:UNUSED_PAD src0_sel:DWORD src1_sel:BYTE_3
	v_cndmask_b32_e32 v44, v57, v44, vcc_lo
	v_and_b32_e32 v13, 0x80000000, v13
	v_and_b32_e32 v45, 3, v45
	v_lshl_add_u32 v44, v44, 23, 0x37800000
	v_cndmask_b32_e32 v113, v113, v45, vcc_lo
	v_lshlrev_b32_e32 v113, 21, v113
	v_or3_b32 v113, v13, v44, v113
.LBB6_14273:                            ;   in Loop: Header=BB6_12577 Depth=3
	s_or_b32 exec_lo, exec_lo, s23
	v_add_f32_e32 v113, v42, v113
	v_and_b32_e32 v13, 0x7f800000, v113
	v_cmp_ne_u32_e32 vcc_lo, 0x7f800000, v13
	v_mov_b32_e32 v13, 0x8000
	s_and_saveexec_b32 s23, vcc_lo
	s_cbranch_execz .LBB6_14281
; %bb.14274:                            ;   in Loop: Header=BB6_12577 Depth=3
	v_mov_b32_e32 v13, 0
	s_mov_b32 s72, exec_lo
	v_cmpx_ne_u32_e32 0, v113
	s_cbranch_execz .LBB6_14280
; %bb.14275:                            ;   in Loop: Header=BB6_12577 Depth=3
	v_bfe_u32 v42, v113, 23, 8
	v_and_b32_e32 v13, 0x7fffff, v113
	v_cmp_gt_u32_e64 s16, 0x71, v42
	v_sub_nc_u32_e32 v44, 0x70, v42
	v_cmp_eq_u32_e32 vcc_lo, 0, v42
	v_or_b32_e32 v45, 0x800000, v13
	v_cndmask_b32_e64 v44, 0, v44, s16
	v_cndmask_b32_e32 v13, v45, v13, vcc_lo
	v_cndmask_b32_e64 v44, v44, 0x6f, vcc_lo
	v_lshl_add_u32 v45, 0x200000, v44, -1
	v_lshlrev_b32_e64 v57, v44, 0x100000
	v_and_b32_e32 v45, v45, v13
	v_cmp_eq_u32_e64 s16, v45, v57
	v_lshrrev_b32_e32 v45, v44, v13
	v_add_nc_u32_e32 v13, 0xffffff91, v42
	v_lshrrev_b32_e32 v42, 23, v45
	v_cndmask_b32_e64 v13, v13, 0xffffff92, vcc_lo
	v_xor_b32_e32 v42, 1, v42
	v_add_nc_u32_e32 v13, v44, v13
	v_bfe_u32 v44, v45, 21, 1
	v_add_nc_u32_e32 v44, -1, v44
	v_cndmask_b32_e64 v44, 0, v44, s16
	s_mov_b32 s16, exec_lo
	v_add_nc_u32_e32 v44, v44, v45
	v_and_b32_e32 v44, 0x1fffff, v44
	v_add_nc_u32_e32 v44, v44, v45
                                        ; implicit-def: $vgpr45
	v_cmpx_ne_u32_e64 v13, v42
	s_xor_b32 s16, exec_lo, s16
; %bb.14276:                            ;   in Loop: Header=BB6_12577 Depth=3
	v_cmp_lt_u32_e32 vcc_lo, 0xffffff, v44
	v_sub_nc_u32_e32 v13, v13, v42
	v_cndmask_b32_e64 v42, 0, 1, vcc_lo
	v_add_co_ci_u32_e64 v45, null, 0, v13, vcc_lo
	v_lshrrev_b32_e32 v44, v42, v44
; %bb.14277:                            ;   in Loop: Header=BB6_12577 Depth=3
	s_andn2_saveexec_b32 s16, s16
; %bb.14278:                            ;   in Loop: Header=BB6_12577 Depth=3
	v_bfe_u32 v45, v44, 23, 1
; %bb.14279:                            ;   in Loop: Header=BB6_12577 Depth=3
	s_or_b32 exec_lo, exec_lo, s16
	v_and_b32_sdwa v13, v113, v117 dst_sel:DWORD dst_unused:UNUSED_PAD src0_sel:BYTE_3 src1_sel:DWORD
	v_lshrrev_b32_e32 v113, 21, v44
	v_min_i32_e32 v42, 31, v45
	v_cmp_gt_i32_e32 vcc_lo, 32, v45
	v_lshlrev_b32_e32 v42, 2, v42
	v_cndmask_b32_e32 v113, 3, v113, vcc_lo
	v_and_b32_e32 v42, 0xfc, v42
	v_or_b32_e32 v44, v45, v113
	v_and_b32_e32 v113, 3, v113
	v_cmp_ne_u32_e32 vcc_lo, 0, v44
	v_or3_b32 v13, v13, v42, v113
	v_lshlrev_b32_e32 v13, 8, v13
	v_cndmask_b32_e32 v13, 0, v13, vcc_lo
.LBB6_14280:                            ;   in Loop: Header=BB6_12577 Depth=3
	s_or_b32 exec_lo, exec_lo, s72
.LBB6_14281:                            ;   in Loop: Header=BB6_12577 Depth=3
	s_or_b32 exec_lo, exec_lo, s23
	v_or_b32_e32 v44, v109, v106
	s_mov_b32 s23, 0
	v_cmp_gt_i16_sdwa s16, v44, v116 src0_sel:BYTE_0 src1_sel:DWORD
	s_and_saveexec_b32 s72, s16
	s_xor_b32 s16, exec_lo, s72
	s_cbranch_execz .LBB6_15047
; %bb.14282:                            ;   in Loop: Header=BB6_12577 Depth=3
	v_cmp_eq_u16_sdwa s73, v44, v117 src0_sel:BYTE_0 src1_sel:DWORD
	s_mov_b32 s23, -1
	s_and_saveexec_b32 s72, s73
; %bb.14283:                            ;   in Loop: Header=BB6_12577 Depth=3
	s_xor_b32 s23, exec_lo, -1
; %bb.14284:                            ;   in Loop: Header=BB6_12577 Depth=3
	s_or_b32 exec_lo, exec_lo, s72
	s_and_b32 s23, s23, exec_lo
	s_or_saveexec_b32 s16, s16
	v_mov_b32_e32 v113, 0x7f800001
	s_xor_b32 exec_lo, exec_lo, s16
	s_cbranch_execnz .LBB6_15048
.LBB6_14285:                            ;   in Loop: Header=BB6_12577 Depth=3
	s_or_b32 exec_lo, exec_lo, s16
	s_and_saveexec_b32 s16, s23
	s_cbranch_execz .LBB6_14287
.LBB6_14286:                            ;   in Loop: Header=BB6_12577 Depth=3
	v_and_b32_e32 v113, 3, v44
	v_bfe_u32 v42, v44, 2, 5
	v_ffbh_u32_e32 v45, v113
	v_cmp_eq_u32_e32 vcc_lo, 0, v42
	v_min_u32_e32 v45, 32, v45
	v_subrev_nc_u32_e32 v57, 29, v45
	v_sub_nc_u32_e32 v45, 30, v45
	v_lshlrev_b32_e32 v57, v57, v44
	v_cndmask_b32_e32 v42, v42, v45, vcc_lo
	v_lshlrev_b32_e32 v45, 24, v44
	v_and_b32_e32 v57, 3, v57
	v_lshl_add_u32 v42, v42, 23, 0x37800000
	v_and_b32_e32 v45, 0x80000000, v45
	v_cndmask_b32_e32 v113, v113, v57, vcc_lo
	v_lshlrev_b32_e32 v113, 21, v113
	v_or3_b32 v113, v45, v42, v113
.LBB6_14287:                            ;   in Loop: Header=BB6_12577 Depth=3
	s_or_b32 exec_lo, exec_lo, s16
	v_cmp_gt_i16_sdwa s16, v14, v116 src0_sel:BYTE_0 src1_sel:DWORD
	s_mov_b32 s23, 0
	s_and_saveexec_b32 s72, s16
	s_xor_b32 s16, exec_lo, s72
	s_cbranch_execz .LBB6_15049
; %bb.14288:                            ;   in Loop: Header=BB6_12577 Depth=3
	v_cmp_eq_u16_sdwa s73, v14, v117 src0_sel:BYTE_0 src1_sel:DWORD
	s_mov_b32 s23, -1
	s_and_saveexec_b32 s72, s73
; %bb.14289:                            ;   in Loop: Header=BB6_12577 Depth=3
	s_xor_b32 s23, exec_lo, -1
; %bb.14290:                            ;   in Loop: Header=BB6_12577 Depth=3
	s_or_b32 exec_lo, exec_lo, s72
	s_and_b32 s23, s23, exec_lo
	s_or_saveexec_b32 s16, s16
	v_mov_b32_e32 v42, 0x7f800001
	s_xor_b32 exec_lo, exec_lo, s16
	s_cbranch_execnz .LBB6_15050
.LBB6_14291:                            ;   in Loop: Header=BB6_12577 Depth=3
	s_or_b32 exec_lo, exec_lo, s16
	s_and_saveexec_b32 s16, s23
	s_cbranch_execz .LBB6_14293
.LBB6_14292:                            ;   in Loop: Header=BB6_12577 Depth=3
	v_and_b32_e32 v42, 3, v14
	v_bfe_u32 v45, v14, 2, 5
	v_ffbh_u32_e32 v57, v42
	v_cmp_eq_u32_e32 vcc_lo, 0, v45
	v_min_u32_e32 v57, 32, v57
	v_subrev_nc_u32_e32 v58, 29, v57
	v_sub_nc_u32_e32 v57, 30, v57
	v_lshlrev_b32_e32 v58, v58, v14
	v_cndmask_b32_e32 v45, v45, v57, vcc_lo
	v_lshlrev_b32_e32 v57, 24, v14
	v_and_b32_e32 v58, 3, v58
	v_lshl_add_u32 v45, v45, 23, 0x37800000
	v_and_b32_e32 v57, 0x80000000, v57
	v_cndmask_b32_e32 v42, v42, v58, vcc_lo
	v_lshlrev_b32_e32 v42, 21, v42
	v_or3_b32 v42, v57, v45, v42
.LBB6_14293:                            ;   in Loop: Header=BB6_12577 Depth=3
	s_or_b32 exec_lo, exec_lo, s16
	v_add_f32_e32 v42, v113, v42
	v_and_b32_e32 v113, 0x7f800000, v42
	v_cmp_ne_u32_e32 vcc_lo, 0x7f800000, v113
	v_mov_b32_e32 v113, 0x80
	s_and_saveexec_b32 s23, vcc_lo
	s_cbranch_execz .LBB6_14301
; %bb.14294:                            ;   in Loop: Header=BB6_12577 Depth=3
	v_mov_b32_e32 v113, 0
	s_mov_b32 s72, exec_lo
	v_cmpx_ne_u32_e32 0, v42
	s_cbranch_execz .LBB6_14300
; %bb.14295:                            ;   in Loop: Header=BB6_12577 Depth=3
	v_bfe_u32 v45, v42, 23, 8
	v_and_b32_e32 v113, 0x7fffff, v42
	v_cmp_gt_u32_e64 s16, 0x71, v45
	v_sub_nc_u32_e32 v57, 0x70, v45
	v_cmp_eq_u32_e32 vcc_lo, 0, v45
	v_or_b32_e32 v58, 0x800000, v113
	v_cndmask_b32_e64 v57, 0, v57, s16
	v_cndmask_b32_e32 v113, v58, v113, vcc_lo
	v_cndmask_b32_e64 v57, v57, 0x6f, vcc_lo
	v_lshl_add_u32 v58, 0x200000, v57, -1
	v_lshlrev_b32_e64 v60, v57, 0x100000
	v_and_b32_e32 v58, v58, v113
	v_cmp_eq_u32_e64 s16, v58, v60
	v_lshrrev_b32_e32 v58, v57, v113
	v_add_nc_u32_e32 v113, 0xffffff91, v45
	v_lshrrev_b32_e32 v45, 23, v58
	v_cndmask_b32_e64 v113, v113, 0xffffff92, vcc_lo
	v_xor_b32_e32 v45, 1, v45
	v_add_nc_u32_e32 v113, v57, v113
	v_bfe_u32 v57, v58, 21, 1
	v_add_nc_u32_e32 v57, -1, v57
	v_cndmask_b32_e64 v57, 0, v57, s16
	s_mov_b32 s16, exec_lo
	v_add_nc_u32_e32 v57, v57, v58
	v_and_b32_e32 v57, 0x1fffff, v57
	v_add_nc_u32_e32 v57, v57, v58
                                        ; implicit-def: $vgpr58
	v_cmpx_ne_u32_e64 v113, v45
	s_xor_b32 s16, exec_lo, s16
; %bb.14296:                            ;   in Loop: Header=BB6_12577 Depth=3
	v_cmp_lt_u32_e32 vcc_lo, 0xffffff, v57
	v_sub_nc_u32_e32 v113, v113, v45
	v_cndmask_b32_e64 v45, 0, 1, vcc_lo
	v_add_co_ci_u32_e64 v58, null, 0, v113, vcc_lo
	v_lshrrev_b32_e32 v57, v45, v57
; %bb.14297:                            ;   in Loop: Header=BB6_12577 Depth=3
	s_andn2_saveexec_b32 s16, s16
; %bb.14298:                            ;   in Loop: Header=BB6_12577 Depth=3
	v_bfe_u32 v58, v57, 23, 1
; %bb.14299:                            ;   in Loop: Header=BB6_12577 Depth=3
	s_or_b32 exec_lo, exec_lo, s16
	v_and_b32_sdwa v113, v42, v117 dst_sel:DWORD dst_unused:UNUSED_PAD src0_sel:BYTE_3 src1_sel:DWORD
	v_lshrrev_b32_e32 v42, 21, v57
	v_min_i32_e32 v45, 31, v58
	v_cmp_gt_i32_e32 vcc_lo, 32, v58
	v_lshlrev_b32_e32 v45, 2, v45
	v_cndmask_b32_e32 v42, 3, v42, vcc_lo
	v_and_b32_e32 v45, 0xfc, v45
	v_or_b32_e32 v57, v58, v42
	v_and_b32_e32 v42, 3, v42
	v_cmp_ne_u32_e32 vcc_lo, 0, v57
	v_or3_b32 v113, v45, v113, v42
	v_cndmask_b32_e32 v113, 0, v113, vcc_lo
.LBB6_14300:                            ;   in Loop: Header=BB6_12577 Depth=3
	s_or_b32 exec_lo, exec_lo, s72
.LBB6_14301:                            ;   in Loop: Header=BB6_12577 Depth=3
	s_or_b32 exec_lo, exec_lo, s23
	v_cmp_gt_i16_sdwa s23, v44, v116 src0_sel:BYTE_1 src1_sel:DWORD
	s_mov_b32 s16, 0
	s_and_saveexec_b32 s72, s23
	s_xor_b32 s23, exec_lo, s72
	s_cbranch_execz .LBB6_15051
; %bb.14302:                            ;   in Loop: Header=BB6_12577 Depth=3
	v_cmp_eq_u16_sdwa s73, v44, v117 src0_sel:BYTE_1 src1_sel:DWORD
	s_mov_b32 s16, -1
	s_and_saveexec_b32 s72, s73
; %bb.14303:                            ;   in Loop: Header=BB6_12577 Depth=3
	s_xor_b32 s16, exec_lo, -1
; %bb.14304:                            ;   in Loop: Header=BB6_12577 Depth=3
	s_or_b32 exec_lo, exec_lo, s72
	s_and_b32 s16, s16, exec_lo
	s_or_saveexec_b32 s23, s23
	v_mov_b32_e32 v42, 0x7f800001
	s_xor_b32 exec_lo, exec_lo, s23
	s_cbranch_execnz .LBB6_15052
.LBB6_14305:                            ;   in Loop: Header=BB6_12577 Depth=3
	s_or_b32 exec_lo, exec_lo, s23
	s_and_saveexec_b32 s23, s16
	s_cbranch_execz .LBB6_14307
.LBB6_14306:                            ;   in Loop: Header=BB6_12577 Depth=3
	v_and_b32_sdwa v42, v118, v44 dst_sel:DWORD dst_unused:UNUSED_PAD src0_sel:DWORD src1_sel:BYTE_1
	v_and_b32_e32 v45, 3, v42
	v_bfe_u32 v60, v42, 2, 5
	v_ffbh_u32_e32 v57, v45
	v_cmp_eq_u32_e32 vcc_lo, 0, v60
	v_min_u32_e32 v57, 32, v57
	v_subrev_nc_u32_e32 v58, 29, v57
	v_sub_nc_u32_e32 v57, 30, v57
	v_lshlrev_b32_e32 v42, v58, v42
	v_lshlrev_b32_sdwa v58, v119, v44 dst_sel:DWORD dst_unused:UNUSED_PAD src0_sel:DWORD src1_sel:BYTE_1
	v_cndmask_b32_e32 v57, v60, v57, vcc_lo
	v_and_b32_e32 v42, 3, v42
	v_lshl_add_u32 v57, v57, 23, 0x37800000
	v_cndmask_b32_e32 v42, v45, v42, vcc_lo
	v_and_b32_e32 v45, 0x80000000, v58
	v_lshlrev_b32_e32 v42, 21, v42
	v_or3_b32 v42, v45, v57, v42
.LBB6_14307:                            ;   in Loop: Header=BB6_12577 Depth=3
	s_or_b32 exec_lo, exec_lo, s23
	v_cmp_gt_i16_sdwa s23, v14, v116 src0_sel:BYTE_1 src1_sel:DWORD
	s_mov_b32 s16, 0
	s_and_saveexec_b32 s72, s23
	s_xor_b32 s23, exec_lo, s72
	s_cbranch_execz .LBB6_15053
; %bb.14308:                            ;   in Loop: Header=BB6_12577 Depth=3
	v_cmp_eq_u16_sdwa s73, v14, v117 src0_sel:BYTE_1 src1_sel:DWORD
	s_mov_b32 s16, -1
	s_and_saveexec_b32 s72, s73
; %bb.14309:                            ;   in Loop: Header=BB6_12577 Depth=3
	s_xor_b32 s16, exec_lo, -1
; %bb.14310:                            ;   in Loop: Header=BB6_12577 Depth=3
	s_or_b32 exec_lo, exec_lo, s72
	s_and_b32 s16, s16, exec_lo
	s_or_saveexec_b32 s23, s23
	v_mov_b32_e32 v45, 0x7f800001
	s_xor_b32 exec_lo, exec_lo, s23
	s_cbranch_execnz .LBB6_15054
.LBB6_14311:                            ;   in Loop: Header=BB6_12577 Depth=3
	s_or_b32 exec_lo, exec_lo, s23
	s_and_saveexec_b32 s23, s16
	s_cbranch_execz .LBB6_14313
.LBB6_14312:                            ;   in Loop: Header=BB6_12577 Depth=3
	v_and_b32_sdwa v45, v118, v14 dst_sel:DWORD dst_unused:UNUSED_PAD src0_sel:DWORD src1_sel:BYTE_1
	v_and_b32_e32 v57, 3, v45
	v_bfe_u32 v62, v45, 2, 5
	v_ffbh_u32_e32 v58, v57
	v_cmp_eq_u32_e32 vcc_lo, 0, v62
	v_min_u32_e32 v58, 32, v58
	v_subrev_nc_u32_e32 v60, 29, v58
	v_sub_nc_u32_e32 v58, 30, v58
	v_lshlrev_b32_e32 v45, v60, v45
	v_lshlrev_b32_sdwa v60, v119, v14 dst_sel:DWORD dst_unused:UNUSED_PAD src0_sel:DWORD src1_sel:BYTE_1
	v_cndmask_b32_e32 v58, v62, v58, vcc_lo
	v_and_b32_e32 v45, 3, v45
	v_lshl_add_u32 v58, v58, 23, 0x37800000
	v_cndmask_b32_e32 v45, v57, v45, vcc_lo
	v_and_b32_e32 v57, 0x80000000, v60
	v_lshlrev_b32_e32 v45, 21, v45
	v_or3_b32 v45, v57, v58, v45
.LBB6_14313:                            ;   in Loop: Header=BB6_12577 Depth=3
	s_or_b32 exec_lo, exec_lo, s23
	v_add_f32_e32 v45, v42, v45
	v_and_b32_e32 v42, 0x7f800000, v45
	v_cmp_ne_u32_e32 vcc_lo, 0x7f800000, v42
	v_mov_b32_e32 v42, 0x8000
	s_and_saveexec_b32 s23, vcc_lo
	s_cbranch_execz .LBB6_14321
; %bb.14314:                            ;   in Loop: Header=BB6_12577 Depth=3
	v_mov_b32_e32 v42, 0
	s_mov_b32 s72, exec_lo
	v_cmpx_ne_u32_e32 0, v45
	s_cbranch_execz .LBB6_14320
; %bb.14315:                            ;   in Loop: Header=BB6_12577 Depth=3
	v_bfe_u32 v57, v45, 23, 8
	v_and_b32_e32 v42, 0x7fffff, v45
	v_cmp_gt_u32_e64 s16, 0x71, v57
	v_sub_nc_u32_e32 v58, 0x70, v57
	v_cmp_eq_u32_e32 vcc_lo, 0, v57
	v_or_b32_e32 v60, 0x800000, v42
	v_cndmask_b32_e64 v58, 0, v58, s16
	v_cndmask_b32_e32 v42, v60, v42, vcc_lo
	v_cndmask_b32_e64 v58, v58, 0x6f, vcc_lo
	v_lshl_add_u32 v60, 0x200000, v58, -1
	v_lshlrev_b32_e64 v62, v58, 0x100000
	v_and_b32_e32 v60, v60, v42
	v_cmp_eq_u32_e64 s16, v60, v62
	v_lshrrev_b32_e32 v60, v58, v42
	v_add_nc_u32_e32 v42, 0xffffff91, v57
	v_lshrrev_b32_e32 v57, 23, v60
	v_cndmask_b32_e64 v42, v42, 0xffffff92, vcc_lo
	v_xor_b32_e32 v57, 1, v57
	v_add_nc_u32_e32 v42, v58, v42
	v_bfe_u32 v58, v60, 21, 1
	v_add_nc_u32_e32 v58, -1, v58
	v_cndmask_b32_e64 v58, 0, v58, s16
	s_mov_b32 s16, exec_lo
	v_add_nc_u32_e32 v58, v58, v60
	v_and_b32_e32 v58, 0x1fffff, v58
	v_add_nc_u32_e32 v58, v58, v60
                                        ; implicit-def: $vgpr60
	v_cmpx_ne_u32_e64 v42, v57
	s_xor_b32 s16, exec_lo, s16
; %bb.14316:                            ;   in Loop: Header=BB6_12577 Depth=3
	v_cmp_lt_u32_e32 vcc_lo, 0xffffff, v58
	v_sub_nc_u32_e32 v42, v42, v57
	v_cndmask_b32_e64 v57, 0, 1, vcc_lo
	v_add_co_ci_u32_e64 v60, null, 0, v42, vcc_lo
	v_lshrrev_b32_e32 v58, v57, v58
; %bb.14317:                            ;   in Loop: Header=BB6_12577 Depth=3
	s_andn2_saveexec_b32 s16, s16
; %bb.14318:                            ;   in Loop: Header=BB6_12577 Depth=3
	v_bfe_u32 v60, v58, 23, 1
; %bb.14319:                            ;   in Loop: Header=BB6_12577 Depth=3
	s_or_b32 exec_lo, exec_lo, s16
	v_and_b32_sdwa v42, v45, v117 dst_sel:DWORD dst_unused:UNUSED_PAD src0_sel:BYTE_3 src1_sel:DWORD
	v_lshrrev_b32_e32 v45, 21, v58
	v_min_i32_e32 v57, 31, v60
	v_cmp_gt_i32_e32 vcc_lo, 32, v60
	v_lshlrev_b32_e32 v57, 2, v57
	v_cndmask_b32_e32 v45, 3, v45, vcc_lo
	v_and_b32_e32 v57, 0xfc, v57
	v_or_b32_e32 v58, v60, v45
	v_and_b32_e32 v45, 3, v45
	v_cmp_ne_u32_e32 vcc_lo, 0, v58
	v_or3_b32 v42, v42, v57, v45
	v_lshlrev_b32_e32 v42, 8, v42
	v_cndmask_b32_e32 v42, 0, v42, vcc_lo
.LBB6_14320:                            ;   in Loop: Header=BB6_12577 Depth=3
	s_or_b32 exec_lo, exec_lo, s72
.LBB6_14321:                            ;   in Loop: Header=BB6_12577 Depth=3
	s_or_b32 exec_lo, exec_lo, s23
	v_or_b32_e32 v45, v112, v104
	s_mov_b32 s23, 0
	v_cmp_gt_i16_sdwa s16, v45, v116 src0_sel:BYTE_0 src1_sel:DWORD
	s_and_saveexec_b32 s72, s16
	s_xor_b32 s16, exec_lo, s72
	s_cbranch_execz .LBB6_15055
; %bb.14322:                            ;   in Loop: Header=BB6_12577 Depth=3
	v_cmp_eq_u16_sdwa s73, v45, v117 src0_sel:BYTE_0 src1_sel:DWORD
	s_mov_b32 s23, -1
	s_and_saveexec_b32 s72, s73
; %bb.14323:                            ;   in Loop: Header=BB6_12577 Depth=3
	s_xor_b32 s23, exec_lo, -1
; %bb.14324:                            ;   in Loop: Header=BB6_12577 Depth=3
	s_or_b32 exec_lo, exec_lo, s72
	s_and_b32 s23, s23, exec_lo
	s_or_saveexec_b32 s16, s16
	v_mov_b32_e32 v112, 0x7f800001
	s_xor_b32 exec_lo, exec_lo, s16
	s_cbranch_execnz .LBB6_15056
.LBB6_14325:                            ;   in Loop: Header=BB6_12577 Depth=3
	s_or_b32 exec_lo, exec_lo, s16
	v_lshl_or_b32 v44, v45, 16, v44
	s_and_saveexec_b32 s16, s23
	s_cbranch_execz .LBB6_14327
.LBB6_14326:                            ;   in Loop: Header=BB6_12577 Depth=3
	v_bfe_u32 v112, v44, 16, 2
	v_bfe_u32 v45, v44, 18, 5
	v_ffbh_u32_e32 v57, v112
	v_cmp_eq_u32_e32 vcc_lo, 0, v45
	v_min_u32_e32 v57, 32, v57
	v_subrev_nc_u32_e32 v58, 29, v57
	v_sub_nc_u32_e32 v57, 30, v57
	v_lshlrev_b32_sdwa v58, v58, v44 dst_sel:DWORD dst_unused:UNUSED_PAD src0_sel:DWORD src1_sel:WORD_1
	v_cndmask_b32_e32 v45, v45, v57, vcc_lo
	v_lshlrev_b32_e32 v57, 8, v44
	v_and_b32_e32 v58, 3, v58
	v_lshl_add_u32 v45, v45, 23, 0x37800000
	v_and_b32_e32 v57, 0x80000000, v57
	v_cndmask_b32_e32 v112, v112, v58, vcc_lo
	v_lshlrev_b32_e32 v112, 21, v112
	v_or3_b32 v112, v57, v45, v112
.LBB6_14327:                            ;   in Loop: Header=BB6_12577 Depth=3
	s_or_b32 exec_lo, exec_lo, s16
	v_and_b32_sdwa v57, v14, v40 dst_sel:DWORD dst_unused:UNUSED_PAD src0_sel:WORD_1 src1_sel:DWORD
	s_mov_b32 s23, 0
	s_mov_b32 s16, exec_lo
	v_cmpx_lt_i16_e32 0x7f, v57
	s_xor_b32 s16, exec_lo, s16
	s_cbranch_execz .LBB6_15057
; %bb.14328:                            ;   in Loop: Header=BB6_12577 Depth=3
	s_mov_b32 s23, -1
	s_mov_b32 s72, exec_lo
	v_cmpx_eq_u16_e32 0x80, v57
; %bb.14329:                            ;   in Loop: Header=BB6_12577 Depth=3
	s_xor_b32 s23, exec_lo, -1
; %bb.14330:                            ;   in Loop: Header=BB6_12577 Depth=3
	s_or_b32 exec_lo, exec_lo, s72
	s_and_b32 s23, s23, exec_lo
                                        ; implicit-def: $vgpr57
	s_or_saveexec_b32 s16, s16
	v_mov_b32_e32 v45, 0x7f800001
	s_xor_b32 exec_lo, exec_lo, s16
	s_cbranch_execnz .LBB6_15058
.LBB6_14331:                            ;   in Loop: Header=BB6_12577 Depth=3
	s_or_b32 exec_lo, exec_lo, s16
	s_and_saveexec_b32 s16, s23
	s_cbranch_execz .LBB6_14333
.LBB6_14332:                            ;   in Loop: Header=BB6_12577 Depth=3
	v_bfe_u32 v45, v14, 16, 2
	v_bfe_u32 v57, v14, 18, 5
	v_ffbh_u32_e32 v58, v45
	v_cmp_eq_u32_e32 vcc_lo, 0, v57
	v_min_u32_e32 v58, 32, v58
	v_subrev_nc_u32_e32 v60, 29, v58
	v_sub_nc_u32_e32 v58, 30, v58
	v_lshlrev_b32_sdwa v60, v60, v14 dst_sel:DWORD dst_unused:UNUSED_PAD src0_sel:DWORD src1_sel:WORD_1
	v_cndmask_b32_e32 v57, v57, v58, vcc_lo
	v_lshlrev_b32_e32 v58, 8, v14
	v_and_b32_e32 v60, 3, v60
	v_lshl_add_u32 v57, v57, 23, 0x37800000
	v_and_b32_e32 v58, 0x80000000, v58
	v_cndmask_b32_e32 v45, v45, v60, vcc_lo
	v_lshlrev_b32_e32 v45, 21, v45
	v_or3_b32 v45, v58, v57, v45
.LBB6_14333:                            ;   in Loop: Header=BB6_12577 Depth=3
	s_or_b32 exec_lo, exec_lo, s16
	v_add_f32_e32 v45, v112, v45
	v_and_b32_e32 v112, 0x7f800000, v45
	v_cmp_ne_u32_e32 vcc_lo, 0x7f800000, v112
	v_mov_b32_e32 v112, 0x80
	s_and_saveexec_b32 s23, vcc_lo
	s_cbranch_execz .LBB6_14341
; %bb.14334:                            ;   in Loop: Header=BB6_12577 Depth=3
	v_mov_b32_e32 v112, 0
	s_mov_b32 s72, exec_lo
	v_cmpx_ne_u32_e32 0, v45
	s_cbranch_execz .LBB6_14340
; %bb.14335:                            ;   in Loop: Header=BB6_12577 Depth=3
	v_bfe_u32 v57, v45, 23, 8
	v_and_b32_e32 v112, 0x7fffff, v45
	v_cmp_gt_u32_e64 s16, 0x71, v57
	v_sub_nc_u32_e32 v58, 0x70, v57
	v_cmp_eq_u32_e32 vcc_lo, 0, v57
	v_or_b32_e32 v60, 0x800000, v112
	v_cndmask_b32_e64 v58, 0, v58, s16
	v_cndmask_b32_e32 v112, v60, v112, vcc_lo
	v_cndmask_b32_e64 v58, v58, 0x6f, vcc_lo
	v_lshl_add_u32 v60, 0x200000, v58, -1
	v_lshlrev_b32_e64 v62, v58, 0x100000
	v_and_b32_e32 v60, v60, v112
	v_cmp_eq_u32_e64 s16, v60, v62
	v_lshrrev_b32_e32 v60, v58, v112
	v_add_nc_u32_e32 v112, 0xffffff91, v57
	v_lshrrev_b32_e32 v57, 23, v60
	v_cndmask_b32_e64 v112, v112, 0xffffff92, vcc_lo
	v_xor_b32_e32 v57, 1, v57
	v_add_nc_u32_e32 v112, v58, v112
	v_bfe_u32 v58, v60, 21, 1
	v_add_nc_u32_e32 v58, -1, v58
	v_cndmask_b32_e64 v58, 0, v58, s16
	s_mov_b32 s16, exec_lo
	v_add_nc_u32_e32 v58, v58, v60
	v_and_b32_e32 v58, 0x1fffff, v58
	v_add_nc_u32_e32 v58, v58, v60
                                        ; implicit-def: $vgpr60
	v_cmpx_ne_u32_e64 v112, v57
	s_xor_b32 s16, exec_lo, s16
; %bb.14336:                            ;   in Loop: Header=BB6_12577 Depth=3
	v_cmp_lt_u32_e32 vcc_lo, 0xffffff, v58
	v_sub_nc_u32_e32 v112, v112, v57
	v_cndmask_b32_e64 v57, 0, 1, vcc_lo
	v_add_co_ci_u32_e64 v60, null, 0, v112, vcc_lo
	v_lshrrev_b32_e32 v58, v57, v58
; %bb.14337:                            ;   in Loop: Header=BB6_12577 Depth=3
	s_andn2_saveexec_b32 s16, s16
; %bb.14338:                            ;   in Loop: Header=BB6_12577 Depth=3
	v_bfe_u32 v60, v58, 23, 1
; %bb.14339:                            ;   in Loop: Header=BB6_12577 Depth=3
	s_or_b32 exec_lo, exec_lo, s16
	v_and_b32_sdwa v112, v45, v117 dst_sel:DWORD dst_unused:UNUSED_PAD src0_sel:BYTE_3 src1_sel:DWORD
	v_lshrrev_b32_e32 v45, 21, v58
	v_min_i32_e32 v57, 31, v60
	v_cmp_gt_i32_e32 vcc_lo, 32, v60
	v_lshlrev_b32_e32 v57, 2, v57
	v_cndmask_b32_e32 v45, 3, v45, vcc_lo
	v_and_b32_e32 v57, 0xfc, v57
	v_or_b32_e32 v58, v60, v45
	v_and_b32_e32 v45, 3, v45
	v_cmp_ne_u32_e32 vcc_lo, 0, v58
	v_or3_b32 v112, v57, v112, v45
	v_cndmask_b32_e32 v112, 0, v112, vcc_lo
.LBB6_14340:                            ;   in Loop: Header=BB6_12577 Depth=3
	s_or_b32 exec_lo, exec_lo, s72
.LBB6_14341:                            ;   in Loop: Header=BB6_12577 Depth=3
	s_or_b32 exec_lo, exec_lo, s23
	v_cmp_gt_i16_sdwa s23, v44, v116 src0_sel:BYTE_3 src1_sel:DWORD
	s_mov_b32 s16, 0
	s_and_saveexec_b32 s72, s23
	s_xor_b32 s23, exec_lo, s72
	s_cbranch_execz .LBB6_15059
; %bb.14342:                            ;   in Loop: Header=BB6_12577 Depth=3
	v_cmp_eq_u16_sdwa s73, v44, v117 src0_sel:BYTE_3 src1_sel:DWORD
	s_mov_b32 s16, -1
	s_and_saveexec_b32 s72, s73
; %bb.14343:                            ;   in Loop: Header=BB6_12577 Depth=3
	s_xor_b32 s16, exec_lo, -1
; %bb.14344:                            ;   in Loop: Header=BB6_12577 Depth=3
	s_or_b32 exec_lo, exec_lo, s72
	s_and_b32 s16, s16, exec_lo
	s_or_saveexec_b32 s23, s23
	v_mov_b32_e32 v45, 0x7f800001
	s_xor_b32 exec_lo, exec_lo, s23
	s_cbranch_execnz .LBB6_15060
.LBB6_14345:                            ;   in Loop: Header=BB6_12577 Depth=3
	s_or_b32 exec_lo, exec_lo, s23
	s_and_saveexec_b32 s23, s16
	s_cbranch_execz .LBB6_14347
.LBB6_14346:                            ;   in Loop: Header=BB6_12577 Depth=3
	v_bfe_u32 v45, v44, 24, 2
	v_bfe_u32 v60, v44, 26, 5
	v_ffbh_u32_e32 v57, v45
	v_cmp_eq_u32_e32 vcc_lo, 0, v60
	v_min_u32_e32 v57, 32, v57
	v_subrev_nc_u32_e32 v58, 29, v57
	v_sub_nc_u32_e32 v57, 30, v57
	v_lshlrev_b32_sdwa v58, v58, v44 dst_sel:DWORD dst_unused:UNUSED_PAD src0_sel:DWORD src1_sel:BYTE_3
	v_cndmask_b32_e32 v57, v60, v57, vcc_lo
	v_and_b32_e32 v44, 0x80000000, v44
	v_and_b32_e32 v58, 3, v58
	v_lshl_add_u32 v57, v57, 23, 0x37800000
	v_cndmask_b32_e32 v45, v45, v58, vcc_lo
	v_lshlrev_b32_e32 v45, 21, v45
	v_or3_b32 v45, v44, v57, v45
.LBB6_14347:                            ;   in Loop: Header=BB6_12577 Depth=3
	s_or_b32 exec_lo, exec_lo, s23
	v_cmp_gt_i16_sdwa s23, v14, v116 src0_sel:BYTE_3 src1_sel:DWORD
	s_mov_b32 s16, 0
	s_and_saveexec_b32 s72, s23
	s_xor_b32 s23, exec_lo, s72
	s_cbranch_execz .LBB6_15061
; %bb.14348:                            ;   in Loop: Header=BB6_12577 Depth=3
	v_cmp_eq_u16_sdwa s73, v14, v117 src0_sel:BYTE_3 src1_sel:DWORD
	s_mov_b32 s16, -1
	s_and_saveexec_b32 s72, s73
; %bb.14349:                            ;   in Loop: Header=BB6_12577 Depth=3
	s_xor_b32 s16, exec_lo, -1
; %bb.14350:                            ;   in Loop: Header=BB6_12577 Depth=3
	s_or_b32 exec_lo, exec_lo, s72
	s_and_b32 s16, s16, exec_lo
	s_or_saveexec_b32 s23, s23
	v_mov_b32_e32 v44, 0x7f800001
	s_xor_b32 exec_lo, exec_lo, s23
	s_cbranch_execnz .LBB6_15062
.LBB6_14351:                            ;   in Loop: Header=BB6_12577 Depth=3
	s_or_b32 exec_lo, exec_lo, s23
	s_and_saveexec_b32 s23, s16
	s_cbranch_execz .LBB6_14353
.LBB6_14352:                            ;   in Loop: Header=BB6_12577 Depth=3
	v_bfe_u32 v44, v14, 24, 2
	v_bfe_u32 v60, v14, 26, 5
	v_ffbh_u32_e32 v57, v44
	v_cmp_eq_u32_e32 vcc_lo, 0, v60
	v_min_u32_e32 v57, 32, v57
	v_subrev_nc_u32_e32 v58, 29, v57
	v_sub_nc_u32_e32 v57, 30, v57
	v_lshlrev_b32_sdwa v58, v58, v14 dst_sel:DWORD dst_unused:UNUSED_PAD src0_sel:DWORD src1_sel:BYTE_3
	v_cndmask_b32_e32 v57, v60, v57, vcc_lo
	v_and_b32_e32 v14, 0x80000000, v14
	v_and_b32_e32 v58, 3, v58
	v_lshl_add_u32 v57, v57, 23, 0x37800000
	v_cndmask_b32_e32 v44, v44, v58, vcc_lo
	v_lshlrev_b32_e32 v44, 21, v44
	v_or3_b32 v44, v14, v57, v44
.LBB6_14353:                            ;   in Loop: Header=BB6_12577 Depth=3
	s_or_b32 exec_lo, exec_lo, s23
	v_add_f32_e32 v44, v45, v44
	v_and_b32_e32 v14, 0x7f800000, v44
	v_cmp_ne_u32_e32 vcc_lo, 0x7f800000, v14
	v_mov_b32_e32 v14, 0x8000
	s_and_saveexec_b32 s23, vcc_lo
	s_cbranch_execz .LBB6_14361
; %bb.14354:                            ;   in Loop: Header=BB6_12577 Depth=3
	v_mov_b32_e32 v14, 0
	s_mov_b32 s72, exec_lo
	v_cmpx_ne_u32_e32 0, v44
	s_cbranch_execz .LBB6_14360
; %bb.14355:                            ;   in Loop: Header=BB6_12577 Depth=3
	v_bfe_u32 v45, v44, 23, 8
	v_and_b32_e32 v14, 0x7fffff, v44
	v_cmp_gt_u32_e64 s16, 0x71, v45
	v_sub_nc_u32_e32 v57, 0x70, v45
	v_cmp_eq_u32_e32 vcc_lo, 0, v45
	v_or_b32_e32 v58, 0x800000, v14
	v_cndmask_b32_e64 v57, 0, v57, s16
	v_cndmask_b32_e32 v14, v58, v14, vcc_lo
	v_cndmask_b32_e64 v57, v57, 0x6f, vcc_lo
	v_lshl_add_u32 v58, 0x200000, v57, -1
	v_lshlrev_b32_e64 v60, v57, 0x100000
	v_and_b32_e32 v58, v58, v14
	v_cmp_eq_u32_e64 s16, v58, v60
	v_lshrrev_b32_e32 v58, v57, v14
	v_add_nc_u32_e32 v14, 0xffffff91, v45
	v_lshrrev_b32_e32 v45, 23, v58
	v_cndmask_b32_e64 v14, v14, 0xffffff92, vcc_lo
	v_xor_b32_e32 v45, 1, v45
	v_add_nc_u32_e32 v14, v57, v14
	v_bfe_u32 v57, v58, 21, 1
	v_add_nc_u32_e32 v57, -1, v57
	v_cndmask_b32_e64 v57, 0, v57, s16
	s_mov_b32 s16, exec_lo
	v_add_nc_u32_e32 v57, v57, v58
	v_and_b32_e32 v57, 0x1fffff, v57
	v_add_nc_u32_e32 v57, v57, v58
                                        ; implicit-def: $vgpr58
	v_cmpx_ne_u32_e64 v14, v45
	s_xor_b32 s16, exec_lo, s16
; %bb.14356:                            ;   in Loop: Header=BB6_12577 Depth=3
	v_cmp_lt_u32_e32 vcc_lo, 0xffffff, v57
	v_sub_nc_u32_e32 v14, v14, v45
	v_cndmask_b32_e64 v45, 0, 1, vcc_lo
	v_add_co_ci_u32_e64 v58, null, 0, v14, vcc_lo
	v_lshrrev_b32_e32 v57, v45, v57
; %bb.14357:                            ;   in Loop: Header=BB6_12577 Depth=3
	s_andn2_saveexec_b32 s16, s16
; %bb.14358:                            ;   in Loop: Header=BB6_12577 Depth=3
	v_bfe_u32 v58, v57, 23, 1
; %bb.14359:                            ;   in Loop: Header=BB6_12577 Depth=3
	s_or_b32 exec_lo, exec_lo, s16
	v_and_b32_sdwa v14, v44, v117 dst_sel:DWORD dst_unused:UNUSED_PAD src0_sel:BYTE_3 src1_sel:DWORD
	v_lshrrev_b32_e32 v44, 21, v57
	v_min_i32_e32 v45, 31, v58
	v_cmp_gt_i32_e32 vcc_lo, 32, v58
	v_lshlrev_b32_e32 v45, 2, v45
	v_cndmask_b32_e32 v44, 3, v44, vcc_lo
	v_and_b32_e32 v45, 0xfc, v45
	v_or_b32_e32 v57, v58, v44
	v_and_b32_e32 v44, 3, v44
	v_cmp_ne_u32_e32 vcc_lo, 0, v57
	v_or3_b32 v14, v14, v45, v44
	v_lshlrev_b32_e32 v14, 8, v14
	v_cndmask_b32_e32 v14, 0, v14, vcc_lo
.LBB6_14360:                            ;   in Loop: Header=BB6_12577 Depth=3
	s_or_b32 exec_lo, exec_lo, s72
.LBB6_14361:                            ;   in Loop: Header=BB6_12577 Depth=3
	s_or_b32 exec_lo, exec_lo, s23
	v_or_b32_e32 v45, v105, v51
	s_mov_b32 s23, 0
	v_cmp_gt_i16_sdwa s16, v45, v116 src0_sel:BYTE_0 src1_sel:DWORD
	s_and_saveexec_b32 s72, s16
	s_xor_b32 s16, exec_lo, s72
	s_cbranch_execz .LBB6_15063
; %bb.14362:                            ;   in Loop: Header=BB6_12577 Depth=3
	v_cmp_eq_u16_sdwa s73, v45, v117 src0_sel:BYTE_0 src1_sel:DWORD
	s_mov_b32 s23, -1
	s_and_saveexec_b32 s72, s73
; %bb.14363:                            ;   in Loop: Header=BB6_12577 Depth=3
	s_xor_b32 s23, exec_lo, -1
; %bb.14364:                            ;   in Loop: Header=BB6_12577 Depth=3
	s_or_b32 exec_lo, exec_lo, s72
	s_and_b32 s23, s23, exec_lo
	s_or_saveexec_b32 s16, s16
	v_mov_b32_e32 v51, 0x7f800001
	s_xor_b32 exec_lo, exec_lo, s16
	s_cbranch_execnz .LBB6_15064
.LBB6_14365:                            ;   in Loop: Header=BB6_12577 Depth=3
	s_or_b32 exec_lo, exec_lo, s16
	s_and_saveexec_b32 s16, s23
	s_cbranch_execz .LBB6_14367
.LBB6_14366:                            ;   in Loop: Header=BB6_12577 Depth=3
	v_and_b32_e32 v51, 3, v45
	v_bfe_u32 v44, v45, 2, 5
	v_ffbh_u32_e32 v57, v51
	v_cmp_eq_u32_e32 vcc_lo, 0, v44
	v_min_u32_e32 v57, 32, v57
	v_subrev_nc_u32_e32 v58, 29, v57
	v_sub_nc_u32_e32 v57, 30, v57
	v_lshlrev_b32_e32 v58, v58, v45
	v_cndmask_b32_e32 v44, v44, v57, vcc_lo
	v_lshlrev_b32_e32 v57, 24, v45
	v_and_b32_e32 v58, 3, v58
	v_lshl_add_u32 v44, v44, 23, 0x37800000
	v_and_b32_e32 v57, 0x80000000, v57
	v_cndmask_b32_e32 v51, v51, v58, vcc_lo
	v_lshlrev_b32_e32 v51, 21, v51
	v_or3_b32 v51, v57, v44, v51
.LBB6_14367:                            ;   in Loop: Header=BB6_12577 Depth=3
	s_or_b32 exec_lo, exec_lo, s16
	v_cmp_gt_i16_sdwa s16, v15, v116 src0_sel:BYTE_0 src1_sel:DWORD
	s_mov_b32 s23, 0
	s_and_saveexec_b32 s72, s16
	s_xor_b32 s16, exec_lo, s72
	s_cbranch_execz .LBB6_15065
; %bb.14368:                            ;   in Loop: Header=BB6_12577 Depth=3
	v_cmp_eq_u16_sdwa s73, v15, v117 src0_sel:BYTE_0 src1_sel:DWORD
	s_mov_b32 s23, -1
	s_and_saveexec_b32 s72, s73
; %bb.14369:                            ;   in Loop: Header=BB6_12577 Depth=3
	s_xor_b32 s23, exec_lo, -1
; %bb.14370:                            ;   in Loop: Header=BB6_12577 Depth=3
	s_or_b32 exec_lo, exec_lo, s72
	s_and_b32 s23, s23, exec_lo
	s_or_saveexec_b32 s16, s16
	v_mov_b32_e32 v44, 0x7f800001
	s_xor_b32 exec_lo, exec_lo, s16
	s_cbranch_execnz .LBB6_15066
.LBB6_14371:                            ;   in Loop: Header=BB6_12577 Depth=3
	s_or_b32 exec_lo, exec_lo, s16
	s_and_saveexec_b32 s16, s23
	s_cbranch_execz .LBB6_14373
.LBB6_14372:                            ;   in Loop: Header=BB6_12577 Depth=3
	v_and_b32_e32 v44, 3, v15
	v_bfe_u32 v57, v15, 2, 5
	v_ffbh_u32_e32 v58, v44
	v_cmp_eq_u32_e32 vcc_lo, 0, v57
	v_min_u32_e32 v58, 32, v58
	v_subrev_nc_u32_e32 v60, 29, v58
	v_sub_nc_u32_e32 v58, 30, v58
	v_lshlrev_b32_e32 v60, v60, v15
	v_cndmask_b32_e32 v57, v57, v58, vcc_lo
	v_lshlrev_b32_e32 v58, 24, v15
	v_and_b32_e32 v60, 3, v60
	v_lshl_add_u32 v57, v57, 23, 0x37800000
	v_and_b32_e32 v58, 0x80000000, v58
	v_cndmask_b32_e32 v44, v44, v60, vcc_lo
	v_lshlrev_b32_e32 v44, 21, v44
	v_or3_b32 v44, v58, v57, v44
.LBB6_14373:                            ;   in Loop: Header=BB6_12577 Depth=3
	s_or_b32 exec_lo, exec_lo, s16
	v_add_f32_e32 v44, v51, v44
	v_and_b32_e32 v51, 0x7f800000, v44
	v_cmp_ne_u32_e32 vcc_lo, 0x7f800000, v51
	v_mov_b32_e32 v51, 0x80
	s_and_saveexec_b32 s23, vcc_lo
	s_cbranch_execz .LBB6_14381
; %bb.14374:                            ;   in Loop: Header=BB6_12577 Depth=3
	v_mov_b32_e32 v51, 0
	s_mov_b32 s72, exec_lo
	v_cmpx_ne_u32_e32 0, v44
	s_cbranch_execz .LBB6_14380
; %bb.14375:                            ;   in Loop: Header=BB6_12577 Depth=3
	v_bfe_u32 v57, v44, 23, 8
	v_and_b32_e32 v51, 0x7fffff, v44
	v_cmp_gt_u32_e64 s16, 0x71, v57
	v_sub_nc_u32_e32 v58, 0x70, v57
	v_cmp_eq_u32_e32 vcc_lo, 0, v57
	v_or_b32_e32 v60, 0x800000, v51
	v_cndmask_b32_e64 v58, 0, v58, s16
	v_cndmask_b32_e32 v51, v60, v51, vcc_lo
	v_cndmask_b32_e64 v58, v58, 0x6f, vcc_lo
	v_lshl_add_u32 v60, 0x200000, v58, -1
	v_lshlrev_b32_e64 v62, v58, 0x100000
	v_and_b32_e32 v60, v60, v51
	v_cmp_eq_u32_e64 s16, v60, v62
	v_lshrrev_b32_e32 v60, v58, v51
	v_add_nc_u32_e32 v51, 0xffffff91, v57
	v_lshrrev_b32_e32 v57, 23, v60
	v_cndmask_b32_e64 v51, v51, 0xffffff92, vcc_lo
	v_xor_b32_e32 v57, 1, v57
	v_add_nc_u32_e32 v51, v58, v51
	v_bfe_u32 v58, v60, 21, 1
	v_add_nc_u32_e32 v58, -1, v58
	v_cndmask_b32_e64 v58, 0, v58, s16
	s_mov_b32 s16, exec_lo
	v_add_nc_u32_e32 v58, v58, v60
	v_and_b32_e32 v58, 0x1fffff, v58
	v_add_nc_u32_e32 v58, v58, v60
                                        ; implicit-def: $vgpr60
	v_cmpx_ne_u32_e64 v51, v57
	s_xor_b32 s16, exec_lo, s16
; %bb.14376:                            ;   in Loop: Header=BB6_12577 Depth=3
	v_cmp_lt_u32_e32 vcc_lo, 0xffffff, v58
	v_sub_nc_u32_e32 v51, v51, v57
	v_cndmask_b32_e64 v57, 0, 1, vcc_lo
	v_add_co_ci_u32_e64 v60, null, 0, v51, vcc_lo
	v_lshrrev_b32_e32 v58, v57, v58
; %bb.14377:                            ;   in Loop: Header=BB6_12577 Depth=3
	s_andn2_saveexec_b32 s16, s16
; %bb.14378:                            ;   in Loop: Header=BB6_12577 Depth=3
	v_bfe_u32 v60, v58, 23, 1
; %bb.14379:                            ;   in Loop: Header=BB6_12577 Depth=3
	s_or_b32 exec_lo, exec_lo, s16
	v_and_b32_sdwa v51, v44, v117 dst_sel:DWORD dst_unused:UNUSED_PAD src0_sel:BYTE_3 src1_sel:DWORD
	v_lshrrev_b32_e32 v44, 21, v58
	v_min_i32_e32 v57, 31, v60
	v_cmp_gt_i32_e32 vcc_lo, 32, v60
	v_lshlrev_b32_e32 v57, 2, v57
	v_cndmask_b32_e32 v44, 3, v44, vcc_lo
	v_and_b32_e32 v57, 0xfc, v57
	v_or_b32_e32 v58, v60, v44
	v_and_b32_e32 v44, 3, v44
	v_cmp_ne_u32_e32 vcc_lo, 0, v58
	v_or3_b32 v51, v57, v51, v44
	v_cndmask_b32_e32 v51, 0, v51, vcc_lo
.LBB6_14380:                            ;   in Loop: Header=BB6_12577 Depth=3
	s_or_b32 exec_lo, exec_lo, s72
.LBB6_14381:                            ;   in Loop: Header=BB6_12577 Depth=3
	s_or_b32 exec_lo, exec_lo, s23
	v_cmp_gt_i16_sdwa s23, v45, v116 src0_sel:BYTE_1 src1_sel:DWORD
	s_mov_b32 s16, 0
	s_and_saveexec_b32 s72, s23
	s_xor_b32 s23, exec_lo, s72
	s_cbranch_execz .LBB6_15067
; %bb.14382:                            ;   in Loop: Header=BB6_12577 Depth=3
	v_cmp_eq_u16_sdwa s73, v45, v117 src0_sel:BYTE_1 src1_sel:DWORD
	s_mov_b32 s16, -1
	s_and_saveexec_b32 s72, s73
; %bb.14383:                            ;   in Loop: Header=BB6_12577 Depth=3
	s_xor_b32 s16, exec_lo, -1
; %bb.14384:                            ;   in Loop: Header=BB6_12577 Depth=3
	s_or_b32 exec_lo, exec_lo, s72
	s_and_b32 s16, s16, exec_lo
	s_or_saveexec_b32 s23, s23
	v_mov_b32_e32 v44, 0x7f800001
	s_xor_b32 exec_lo, exec_lo, s23
	s_cbranch_execnz .LBB6_15068
.LBB6_14385:                            ;   in Loop: Header=BB6_12577 Depth=3
	s_or_b32 exec_lo, exec_lo, s23
	s_and_saveexec_b32 s23, s16
	s_cbranch_execz .LBB6_14387
.LBB6_14386:                            ;   in Loop: Header=BB6_12577 Depth=3
	v_and_b32_sdwa v44, v118, v45 dst_sel:DWORD dst_unused:UNUSED_PAD src0_sel:DWORD src1_sel:BYTE_1
	v_and_b32_e32 v57, 3, v44
	v_bfe_u32 v62, v44, 2, 5
	v_ffbh_u32_e32 v58, v57
	v_cmp_eq_u32_e32 vcc_lo, 0, v62
	v_min_u32_e32 v58, 32, v58
	v_subrev_nc_u32_e32 v60, 29, v58
	v_sub_nc_u32_e32 v58, 30, v58
	v_lshlrev_b32_e32 v44, v60, v44
	v_lshlrev_b32_sdwa v60, v119, v45 dst_sel:DWORD dst_unused:UNUSED_PAD src0_sel:DWORD src1_sel:BYTE_1
	v_cndmask_b32_e32 v58, v62, v58, vcc_lo
	v_and_b32_e32 v44, 3, v44
	v_lshl_add_u32 v58, v58, 23, 0x37800000
	v_cndmask_b32_e32 v44, v57, v44, vcc_lo
	v_and_b32_e32 v57, 0x80000000, v60
	v_lshlrev_b32_e32 v44, 21, v44
	v_or3_b32 v44, v57, v58, v44
.LBB6_14387:                            ;   in Loop: Header=BB6_12577 Depth=3
	s_or_b32 exec_lo, exec_lo, s23
	v_cmp_gt_i16_sdwa s23, v15, v116 src0_sel:BYTE_1 src1_sel:DWORD
	s_mov_b32 s16, 0
	s_and_saveexec_b32 s72, s23
	s_xor_b32 s23, exec_lo, s72
	s_cbranch_execz .LBB6_15069
; %bb.14388:                            ;   in Loop: Header=BB6_12577 Depth=3
	v_cmp_eq_u16_sdwa s73, v15, v117 src0_sel:BYTE_1 src1_sel:DWORD
	s_mov_b32 s16, -1
	s_and_saveexec_b32 s72, s73
; %bb.14389:                            ;   in Loop: Header=BB6_12577 Depth=3
	s_xor_b32 s16, exec_lo, -1
; %bb.14390:                            ;   in Loop: Header=BB6_12577 Depth=3
	s_or_b32 exec_lo, exec_lo, s72
	s_and_b32 s16, s16, exec_lo
	s_or_saveexec_b32 s23, s23
	v_mov_b32_e32 v57, 0x7f800001
	s_xor_b32 exec_lo, exec_lo, s23
	s_cbranch_execnz .LBB6_15070
.LBB6_14391:                            ;   in Loop: Header=BB6_12577 Depth=3
	s_or_b32 exec_lo, exec_lo, s23
	s_and_saveexec_b32 s23, s16
	s_cbranch_execz .LBB6_14393
.LBB6_14392:                            ;   in Loop: Header=BB6_12577 Depth=3
	v_and_b32_sdwa v57, v118, v15 dst_sel:DWORD dst_unused:UNUSED_PAD src0_sel:DWORD src1_sel:BYTE_1
	v_and_b32_e32 v58, 3, v57
	v_bfe_u32 v63, v57, 2, 5
	v_ffbh_u32_e32 v60, v58
	v_cmp_eq_u32_e32 vcc_lo, 0, v63
	v_min_u32_e32 v60, 32, v60
	v_subrev_nc_u32_e32 v62, 29, v60
	v_sub_nc_u32_e32 v60, 30, v60
	v_lshlrev_b32_e32 v57, v62, v57
	v_lshlrev_b32_sdwa v62, v119, v15 dst_sel:DWORD dst_unused:UNUSED_PAD src0_sel:DWORD src1_sel:BYTE_1
	v_cndmask_b32_e32 v60, v63, v60, vcc_lo
	v_and_b32_e32 v57, 3, v57
	v_lshl_add_u32 v60, v60, 23, 0x37800000
	v_cndmask_b32_e32 v57, v58, v57, vcc_lo
	v_and_b32_e32 v58, 0x80000000, v62
	v_lshlrev_b32_e32 v57, 21, v57
	v_or3_b32 v57, v58, v60, v57
.LBB6_14393:                            ;   in Loop: Header=BB6_12577 Depth=3
	s_or_b32 exec_lo, exec_lo, s23
	v_add_f32_e32 v57, v44, v57
	v_and_b32_e32 v44, 0x7f800000, v57
	v_cmp_ne_u32_e32 vcc_lo, 0x7f800000, v44
	v_mov_b32_e32 v44, 0x8000
	s_and_saveexec_b32 s23, vcc_lo
	s_cbranch_execz .LBB6_14401
; %bb.14394:                            ;   in Loop: Header=BB6_12577 Depth=3
	v_mov_b32_e32 v44, 0
	s_mov_b32 s72, exec_lo
	v_cmpx_ne_u32_e32 0, v57
	s_cbranch_execz .LBB6_14400
; %bb.14395:                            ;   in Loop: Header=BB6_12577 Depth=3
	v_bfe_u32 v58, v57, 23, 8
	v_and_b32_e32 v44, 0x7fffff, v57
	v_cmp_gt_u32_e64 s16, 0x71, v58
	v_sub_nc_u32_e32 v60, 0x70, v58
	v_cmp_eq_u32_e32 vcc_lo, 0, v58
	v_or_b32_e32 v62, 0x800000, v44
	v_cndmask_b32_e64 v60, 0, v60, s16
	v_cndmask_b32_e32 v44, v62, v44, vcc_lo
	v_cndmask_b32_e64 v60, v60, 0x6f, vcc_lo
	v_lshl_add_u32 v62, 0x200000, v60, -1
	v_lshlrev_b32_e64 v63, v60, 0x100000
	v_and_b32_e32 v62, v62, v44
	v_cmp_eq_u32_e64 s16, v62, v63
	v_lshrrev_b32_e32 v62, v60, v44
	v_add_nc_u32_e32 v44, 0xffffff91, v58
	v_lshrrev_b32_e32 v58, 23, v62
	v_cndmask_b32_e64 v44, v44, 0xffffff92, vcc_lo
	v_xor_b32_e32 v58, 1, v58
	v_add_nc_u32_e32 v44, v60, v44
	v_bfe_u32 v60, v62, 21, 1
	v_add_nc_u32_e32 v60, -1, v60
	v_cndmask_b32_e64 v60, 0, v60, s16
	s_mov_b32 s16, exec_lo
	v_add_nc_u32_e32 v60, v60, v62
	v_and_b32_e32 v60, 0x1fffff, v60
	v_add_nc_u32_e32 v60, v60, v62
                                        ; implicit-def: $vgpr62
	v_cmpx_ne_u32_e64 v44, v58
	s_xor_b32 s16, exec_lo, s16
; %bb.14396:                            ;   in Loop: Header=BB6_12577 Depth=3
	v_cmp_lt_u32_e32 vcc_lo, 0xffffff, v60
	v_sub_nc_u32_e32 v44, v44, v58
	v_cndmask_b32_e64 v58, 0, 1, vcc_lo
	v_add_co_ci_u32_e64 v62, null, 0, v44, vcc_lo
	v_lshrrev_b32_e32 v60, v58, v60
; %bb.14397:                            ;   in Loop: Header=BB6_12577 Depth=3
	s_andn2_saveexec_b32 s16, s16
; %bb.14398:                            ;   in Loop: Header=BB6_12577 Depth=3
	v_bfe_u32 v62, v60, 23, 1
; %bb.14399:                            ;   in Loop: Header=BB6_12577 Depth=3
	s_or_b32 exec_lo, exec_lo, s16
	v_and_b32_sdwa v44, v57, v117 dst_sel:DWORD dst_unused:UNUSED_PAD src0_sel:BYTE_3 src1_sel:DWORD
	v_lshrrev_b32_e32 v57, 21, v60
	v_min_i32_e32 v58, 31, v62
	v_cmp_gt_i32_e32 vcc_lo, 32, v62
	v_lshlrev_b32_e32 v58, 2, v58
	v_cndmask_b32_e32 v57, 3, v57, vcc_lo
	v_and_b32_e32 v58, 0xfc, v58
	v_or_b32_e32 v60, v62, v57
	v_and_b32_e32 v57, 3, v57
	v_cmp_ne_u32_e32 vcc_lo, 0, v60
	v_or3_b32 v44, v44, v58, v57
	v_lshlrev_b32_e32 v44, 8, v44
	v_cndmask_b32_e32 v44, 0, v44, vcc_lo
.LBB6_14400:                            ;   in Loop: Header=BB6_12577 Depth=3
	s_or_b32 exec_lo, exec_lo, s72
.LBB6_14401:                            ;   in Loop: Header=BB6_12577 Depth=3
	s_or_b32 exec_lo, exec_lo, s23
	v_or_b32_e32 v58, v95, v93
	s_mov_b32 s23, 0
	v_cmp_gt_i16_sdwa s16, v58, v116 src0_sel:BYTE_0 src1_sel:DWORD
	s_and_saveexec_b32 s72, s16
	s_xor_b32 s16, exec_lo, s72
	s_cbranch_execz .LBB6_15071
; %bb.14402:                            ;   in Loop: Header=BB6_12577 Depth=3
	v_cmp_eq_u16_sdwa s73, v58, v117 src0_sel:BYTE_0 src1_sel:DWORD
	s_mov_b32 s23, -1
	s_and_saveexec_b32 s72, s73
; %bb.14403:                            ;   in Loop: Header=BB6_12577 Depth=3
	s_xor_b32 s23, exec_lo, -1
; %bb.14404:                            ;   in Loop: Header=BB6_12577 Depth=3
	s_or_b32 exec_lo, exec_lo, s72
	s_and_b32 s23, s23, exec_lo
	s_or_saveexec_b32 s16, s16
	v_mov_b32_e32 v57, 0x7f800001
	s_xor_b32 exec_lo, exec_lo, s16
	s_cbranch_execnz .LBB6_15072
.LBB6_14405:                            ;   in Loop: Header=BB6_12577 Depth=3
	s_or_b32 exec_lo, exec_lo, s16
	v_lshl_or_b32 v45, v58, 16, v45
	s_and_saveexec_b32 s16, s23
	s_cbranch_execz .LBB6_14407
.LBB6_14406:                            ;   in Loop: Header=BB6_12577 Depth=3
	v_bfe_u32 v57, v45, 16, 2
	v_bfe_u32 v58, v45, 18, 5
	v_ffbh_u32_e32 v60, v57
	v_cmp_eq_u32_e32 vcc_lo, 0, v58
	v_min_u32_e32 v60, 32, v60
	v_subrev_nc_u32_e32 v62, 29, v60
	v_sub_nc_u32_e32 v60, 30, v60
	v_lshlrev_b32_sdwa v62, v62, v45 dst_sel:DWORD dst_unused:UNUSED_PAD src0_sel:DWORD src1_sel:WORD_1
	v_cndmask_b32_e32 v58, v58, v60, vcc_lo
	v_lshlrev_b32_e32 v60, 8, v45
	v_and_b32_e32 v62, 3, v62
	v_lshl_add_u32 v58, v58, 23, 0x37800000
	v_and_b32_e32 v60, 0x80000000, v60
	v_cndmask_b32_e32 v57, v57, v62, vcc_lo
	v_lshlrev_b32_e32 v57, 21, v57
	v_or3_b32 v57, v60, v58, v57
.LBB6_14407:                            ;   in Loop: Header=BB6_12577 Depth=3
	s_or_b32 exec_lo, exec_lo, s16
	v_and_b32_sdwa v60, v15, v40 dst_sel:DWORD dst_unused:UNUSED_PAD src0_sel:WORD_1 src1_sel:DWORD
	s_mov_b32 s23, 0
	s_mov_b32 s16, exec_lo
	v_cmpx_lt_i16_e32 0x7f, v60
	s_xor_b32 s16, exec_lo, s16
	s_cbranch_execz .LBB6_15073
; %bb.14408:                            ;   in Loop: Header=BB6_12577 Depth=3
	s_mov_b32 s23, -1
	s_mov_b32 s72, exec_lo
	v_cmpx_eq_u16_e32 0x80, v60
; %bb.14409:                            ;   in Loop: Header=BB6_12577 Depth=3
	s_xor_b32 s23, exec_lo, -1
; %bb.14410:                            ;   in Loop: Header=BB6_12577 Depth=3
	s_or_b32 exec_lo, exec_lo, s72
	s_and_b32 s23, s23, exec_lo
                                        ; implicit-def: $vgpr60
	s_or_saveexec_b32 s16, s16
	v_mov_b32_e32 v58, 0x7f800001
	s_xor_b32 exec_lo, exec_lo, s16
	s_cbranch_execnz .LBB6_15074
.LBB6_14411:                            ;   in Loop: Header=BB6_12577 Depth=3
	s_or_b32 exec_lo, exec_lo, s16
	s_and_saveexec_b32 s16, s23
	s_cbranch_execz .LBB6_14413
.LBB6_14412:                            ;   in Loop: Header=BB6_12577 Depth=3
	v_bfe_u32 v58, v15, 16, 2
	v_bfe_u32 v60, v15, 18, 5
	v_ffbh_u32_e32 v62, v58
	v_cmp_eq_u32_e32 vcc_lo, 0, v60
	v_min_u32_e32 v62, 32, v62
	v_subrev_nc_u32_e32 v63, 29, v62
	v_sub_nc_u32_e32 v62, 30, v62
	v_lshlrev_b32_sdwa v63, v63, v15 dst_sel:DWORD dst_unused:UNUSED_PAD src0_sel:DWORD src1_sel:WORD_1
	v_cndmask_b32_e32 v60, v60, v62, vcc_lo
	v_lshlrev_b32_e32 v62, 8, v15
	v_and_b32_e32 v63, 3, v63
	v_lshl_add_u32 v60, v60, 23, 0x37800000
	v_and_b32_e32 v62, 0x80000000, v62
	v_cndmask_b32_e32 v58, v58, v63, vcc_lo
	v_lshlrev_b32_e32 v58, 21, v58
	v_or3_b32 v58, v62, v60, v58
.LBB6_14413:                            ;   in Loop: Header=BB6_12577 Depth=3
	s_or_b32 exec_lo, exec_lo, s16
	v_add_f32_e32 v58, v57, v58
	v_and_b32_e32 v57, 0x7f800000, v58
	v_cmp_ne_u32_e32 vcc_lo, 0x7f800000, v57
	v_mov_b32_e32 v57, 0x80
	s_and_saveexec_b32 s23, vcc_lo
	s_cbranch_execz .LBB6_14421
; %bb.14414:                            ;   in Loop: Header=BB6_12577 Depth=3
	v_mov_b32_e32 v57, 0
	s_mov_b32 s72, exec_lo
	v_cmpx_ne_u32_e32 0, v58
	s_cbranch_execz .LBB6_14420
; %bb.14415:                            ;   in Loop: Header=BB6_12577 Depth=3
	v_bfe_u32 v60, v58, 23, 8
	v_and_b32_e32 v57, 0x7fffff, v58
	v_cmp_gt_u32_e64 s16, 0x71, v60
	v_sub_nc_u32_e32 v62, 0x70, v60
	v_cmp_eq_u32_e32 vcc_lo, 0, v60
	v_or_b32_e32 v63, 0x800000, v57
	v_cndmask_b32_e64 v62, 0, v62, s16
	v_cndmask_b32_e32 v57, v63, v57, vcc_lo
	v_cndmask_b32_e64 v62, v62, 0x6f, vcc_lo
	v_lshl_add_u32 v63, 0x200000, v62, -1
	v_lshlrev_b32_e64 v72, v62, 0x100000
	v_and_b32_e32 v63, v63, v57
	v_cmp_eq_u32_e64 s16, v63, v72
	v_lshrrev_b32_e32 v63, v62, v57
	v_add_nc_u32_e32 v57, 0xffffff91, v60
	v_lshrrev_b32_e32 v60, 23, v63
	v_cndmask_b32_e64 v57, v57, 0xffffff92, vcc_lo
	v_xor_b32_e32 v60, 1, v60
	v_add_nc_u32_e32 v57, v62, v57
	v_bfe_u32 v62, v63, 21, 1
	v_add_nc_u32_e32 v62, -1, v62
	v_cndmask_b32_e64 v62, 0, v62, s16
	s_mov_b32 s16, exec_lo
	v_add_nc_u32_e32 v62, v62, v63
	v_and_b32_e32 v62, 0x1fffff, v62
	v_add_nc_u32_e32 v62, v62, v63
                                        ; implicit-def: $vgpr63
	v_cmpx_ne_u32_e64 v57, v60
	s_xor_b32 s16, exec_lo, s16
; %bb.14416:                            ;   in Loop: Header=BB6_12577 Depth=3
	v_cmp_lt_u32_e32 vcc_lo, 0xffffff, v62
	v_sub_nc_u32_e32 v57, v57, v60
	v_cndmask_b32_e64 v60, 0, 1, vcc_lo
	v_add_co_ci_u32_e64 v63, null, 0, v57, vcc_lo
	v_lshrrev_b32_e32 v62, v60, v62
; %bb.14417:                            ;   in Loop: Header=BB6_12577 Depth=3
	s_andn2_saveexec_b32 s16, s16
; %bb.14418:                            ;   in Loop: Header=BB6_12577 Depth=3
	v_bfe_u32 v63, v62, 23, 1
; %bb.14419:                            ;   in Loop: Header=BB6_12577 Depth=3
	s_or_b32 exec_lo, exec_lo, s16
	v_and_b32_sdwa v57, v58, v117 dst_sel:DWORD dst_unused:UNUSED_PAD src0_sel:BYTE_3 src1_sel:DWORD
	v_lshrrev_b32_e32 v58, 21, v62
	v_min_i32_e32 v60, 31, v63
	v_cmp_gt_i32_e32 vcc_lo, 32, v63
	v_lshlrev_b32_e32 v60, 2, v60
	v_cndmask_b32_e32 v58, 3, v58, vcc_lo
	v_and_b32_e32 v60, 0xfc, v60
	v_or_b32_e32 v62, v63, v58
	v_and_b32_e32 v58, 3, v58
	v_cmp_ne_u32_e32 vcc_lo, 0, v62
	v_or3_b32 v57, v60, v57, v58
	v_cndmask_b32_e32 v57, 0, v57, vcc_lo
.LBB6_14420:                            ;   in Loop: Header=BB6_12577 Depth=3
	s_or_b32 exec_lo, exec_lo, s72
.LBB6_14421:                            ;   in Loop: Header=BB6_12577 Depth=3
	s_or_b32 exec_lo, exec_lo, s23
	v_cmp_gt_i16_sdwa s23, v45, v116 src0_sel:BYTE_3 src1_sel:DWORD
	s_mov_b32 s16, 0
	s_and_saveexec_b32 s72, s23
	s_xor_b32 s23, exec_lo, s72
	s_cbranch_execz .LBB6_15075
; %bb.14422:                            ;   in Loop: Header=BB6_12577 Depth=3
	v_cmp_eq_u16_sdwa s73, v45, v117 src0_sel:BYTE_3 src1_sel:DWORD
	s_mov_b32 s16, -1
	s_and_saveexec_b32 s72, s73
; %bb.14423:                            ;   in Loop: Header=BB6_12577 Depth=3
	s_xor_b32 s16, exec_lo, -1
; %bb.14424:                            ;   in Loop: Header=BB6_12577 Depth=3
	s_or_b32 exec_lo, exec_lo, s72
	s_and_b32 s16, s16, exec_lo
	s_or_saveexec_b32 s23, s23
	v_mov_b32_e32 v58, 0x7f800001
	s_xor_b32 exec_lo, exec_lo, s23
	s_cbranch_execnz .LBB6_15076
.LBB6_14425:                            ;   in Loop: Header=BB6_12577 Depth=3
	s_or_b32 exec_lo, exec_lo, s23
	s_and_saveexec_b32 s23, s16
	s_cbranch_execz .LBB6_14427
.LBB6_14426:                            ;   in Loop: Header=BB6_12577 Depth=3
	v_bfe_u32 v58, v45, 24, 2
	v_bfe_u32 v63, v45, 26, 5
	v_ffbh_u32_e32 v60, v58
	v_cmp_eq_u32_e32 vcc_lo, 0, v63
	v_min_u32_e32 v60, 32, v60
	v_subrev_nc_u32_e32 v62, 29, v60
	v_sub_nc_u32_e32 v60, 30, v60
	v_lshlrev_b32_sdwa v62, v62, v45 dst_sel:DWORD dst_unused:UNUSED_PAD src0_sel:DWORD src1_sel:BYTE_3
	v_cndmask_b32_e32 v60, v63, v60, vcc_lo
	v_and_b32_e32 v45, 0x80000000, v45
	v_and_b32_e32 v62, 3, v62
	v_lshl_add_u32 v60, v60, 23, 0x37800000
	v_cndmask_b32_e32 v58, v58, v62, vcc_lo
	v_lshlrev_b32_e32 v58, 21, v58
	v_or3_b32 v58, v45, v60, v58
.LBB6_14427:                            ;   in Loop: Header=BB6_12577 Depth=3
	s_or_b32 exec_lo, exec_lo, s23
	v_cmp_gt_i16_sdwa s23, v15, v116 src0_sel:BYTE_3 src1_sel:DWORD
	s_mov_b32 s16, 0
	s_and_saveexec_b32 s72, s23
	s_xor_b32 s23, exec_lo, s72
	s_cbranch_execz .LBB6_15077
; %bb.14428:                            ;   in Loop: Header=BB6_12577 Depth=3
	v_cmp_eq_u16_sdwa s73, v15, v117 src0_sel:BYTE_3 src1_sel:DWORD
	s_mov_b32 s16, -1
	s_and_saveexec_b32 s72, s73
; %bb.14429:                            ;   in Loop: Header=BB6_12577 Depth=3
	s_xor_b32 s16, exec_lo, -1
; %bb.14430:                            ;   in Loop: Header=BB6_12577 Depth=3
	s_or_b32 exec_lo, exec_lo, s72
	s_and_b32 s16, s16, exec_lo
	s_or_saveexec_b32 s23, s23
	v_mov_b32_e32 v45, 0x7f800001
	s_xor_b32 exec_lo, exec_lo, s23
	s_cbranch_execnz .LBB6_15078
.LBB6_14431:                            ;   in Loop: Header=BB6_12577 Depth=3
	s_or_b32 exec_lo, exec_lo, s23
	s_and_saveexec_b32 s23, s16
	s_cbranch_execz .LBB6_14433
.LBB6_14432:                            ;   in Loop: Header=BB6_12577 Depth=3
	v_bfe_u32 v45, v15, 24, 2
	v_bfe_u32 v63, v15, 26, 5
	v_ffbh_u32_e32 v60, v45
	v_cmp_eq_u32_e32 vcc_lo, 0, v63
	v_min_u32_e32 v60, 32, v60
	v_subrev_nc_u32_e32 v62, 29, v60
	v_sub_nc_u32_e32 v60, 30, v60
	v_lshlrev_b32_sdwa v62, v62, v15 dst_sel:DWORD dst_unused:UNUSED_PAD src0_sel:DWORD src1_sel:BYTE_3
	v_cndmask_b32_e32 v60, v63, v60, vcc_lo
	v_and_b32_e32 v15, 0x80000000, v15
	v_and_b32_e32 v62, 3, v62
	v_lshl_add_u32 v60, v60, 23, 0x37800000
	v_cndmask_b32_e32 v45, v45, v62, vcc_lo
	v_lshlrev_b32_e32 v45, 21, v45
	v_or3_b32 v45, v15, v60, v45
.LBB6_14433:                            ;   in Loop: Header=BB6_12577 Depth=3
	s_or_b32 exec_lo, exec_lo, s23
	v_add_f32_e32 v45, v58, v45
	v_and_b32_e32 v15, 0x7f800000, v45
	v_cmp_ne_u32_e32 vcc_lo, 0x7f800000, v15
	v_mov_b32_e32 v15, 0x8000
	s_and_saveexec_b32 s23, vcc_lo
	s_cbranch_execz .LBB6_14441
; %bb.14434:                            ;   in Loop: Header=BB6_12577 Depth=3
	v_mov_b32_e32 v15, 0
	s_mov_b32 s72, exec_lo
	v_cmpx_ne_u32_e32 0, v45
	s_cbranch_execz .LBB6_14440
; %bb.14435:                            ;   in Loop: Header=BB6_12577 Depth=3
	v_bfe_u32 v58, v45, 23, 8
	v_and_b32_e32 v15, 0x7fffff, v45
	v_cmp_gt_u32_e64 s16, 0x71, v58
	v_sub_nc_u32_e32 v60, 0x70, v58
	v_cmp_eq_u32_e32 vcc_lo, 0, v58
	v_or_b32_e32 v62, 0x800000, v15
	v_cndmask_b32_e64 v60, 0, v60, s16
	v_cndmask_b32_e32 v15, v62, v15, vcc_lo
	v_cndmask_b32_e64 v60, v60, 0x6f, vcc_lo
	v_lshl_add_u32 v62, 0x200000, v60, -1
	v_lshlrev_b32_e64 v63, v60, 0x100000
	v_and_b32_e32 v62, v62, v15
	v_cmp_eq_u32_e64 s16, v62, v63
	v_lshrrev_b32_e32 v62, v60, v15
	v_add_nc_u32_e32 v15, 0xffffff91, v58
	v_lshrrev_b32_e32 v58, 23, v62
	v_cndmask_b32_e64 v15, v15, 0xffffff92, vcc_lo
	v_xor_b32_e32 v58, 1, v58
	v_add_nc_u32_e32 v15, v60, v15
	v_bfe_u32 v60, v62, 21, 1
	v_add_nc_u32_e32 v60, -1, v60
	v_cndmask_b32_e64 v60, 0, v60, s16
	s_mov_b32 s16, exec_lo
	v_add_nc_u32_e32 v60, v60, v62
	v_and_b32_e32 v60, 0x1fffff, v60
	v_add_nc_u32_e32 v60, v60, v62
                                        ; implicit-def: $vgpr62
	v_cmpx_ne_u32_e64 v15, v58
	s_xor_b32 s16, exec_lo, s16
; %bb.14436:                            ;   in Loop: Header=BB6_12577 Depth=3
	v_cmp_lt_u32_e32 vcc_lo, 0xffffff, v60
	v_sub_nc_u32_e32 v15, v15, v58
	v_cndmask_b32_e64 v58, 0, 1, vcc_lo
	v_add_co_ci_u32_e64 v62, null, 0, v15, vcc_lo
	v_lshrrev_b32_e32 v60, v58, v60
; %bb.14437:                            ;   in Loop: Header=BB6_12577 Depth=3
	s_andn2_saveexec_b32 s16, s16
; %bb.14438:                            ;   in Loop: Header=BB6_12577 Depth=3
	v_bfe_u32 v62, v60, 23, 1
; %bb.14439:                            ;   in Loop: Header=BB6_12577 Depth=3
	s_or_b32 exec_lo, exec_lo, s16
	v_and_b32_sdwa v15, v45, v117 dst_sel:DWORD dst_unused:UNUSED_PAD src0_sel:BYTE_3 src1_sel:DWORD
	v_lshrrev_b32_e32 v45, 21, v60
	v_min_i32_e32 v58, 31, v62
	v_cmp_gt_i32_e32 vcc_lo, 32, v62
	v_lshlrev_b32_e32 v58, 2, v58
	v_cndmask_b32_e32 v45, 3, v45, vcc_lo
	v_and_b32_e32 v58, 0xfc, v58
	v_or_b32_e32 v60, v62, v45
	v_and_b32_e32 v45, 3, v45
	v_cmp_ne_u32_e32 vcc_lo, 0, v60
	v_or3_b32 v15, v15, v58, v45
	v_lshlrev_b32_e32 v15, 8, v15
	v_cndmask_b32_e32 v15, 0, v15, vcc_lo
.LBB6_14440:                            ;   in Loop: Header=BB6_12577 Depth=3
	s_or_b32 exec_lo, exec_lo, s72
.LBB6_14441:                            ;   in Loop: Header=BB6_12577 Depth=3
	s_or_b32 exec_lo, exec_lo, s23
	v_or_b32_e32 v45, v50, v90
	s_mov_b32 s23, 0
	v_cmp_gt_i16_sdwa s16, v45, v116 src0_sel:BYTE_0 src1_sel:DWORD
	s_and_saveexec_b32 s72, s16
	s_xor_b32 s16, exec_lo, s72
	s_cbranch_execz .LBB6_15079
; %bb.14442:                            ;   in Loop: Header=BB6_12577 Depth=3
	v_cmp_eq_u16_sdwa s73, v45, v117 src0_sel:BYTE_0 src1_sel:DWORD
	s_mov_b32 s23, -1
	s_and_saveexec_b32 s72, s73
; %bb.14443:                            ;   in Loop: Header=BB6_12577 Depth=3
	s_xor_b32 s23, exec_lo, -1
; %bb.14444:                            ;   in Loop: Header=BB6_12577 Depth=3
	s_or_b32 exec_lo, exec_lo, s72
	s_and_b32 s23, s23, exec_lo
	s_or_saveexec_b32 s16, s16
	v_mov_b32_e32 v50, 0x7f800001
	s_xor_b32 exec_lo, exec_lo, s16
	s_cbranch_execnz .LBB6_15080
.LBB6_14445:                            ;   in Loop: Header=BB6_12577 Depth=3
	s_or_b32 exec_lo, exec_lo, s16
	s_and_saveexec_b32 s16, s23
	s_cbranch_execz .LBB6_14447
.LBB6_14446:                            ;   in Loop: Header=BB6_12577 Depth=3
	v_and_b32_e32 v50, 3, v45
	v_bfe_u32 v58, v45, 2, 5
	v_ffbh_u32_e32 v60, v50
	v_cmp_eq_u32_e32 vcc_lo, 0, v58
	v_min_u32_e32 v60, 32, v60
	v_subrev_nc_u32_e32 v62, 29, v60
	v_sub_nc_u32_e32 v60, 30, v60
	v_lshlrev_b32_e32 v62, v62, v45
	v_cndmask_b32_e32 v58, v58, v60, vcc_lo
	v_lshlrev_b32_e32 v60, 24, v45
	v_and_b32_e32 v62, 3, v62
	v_lshl_add_u32 v58, v58, 23, 0x37800000
	v_and_b32_e32 v60, 0x80000000, v60
	v_cndmask_b32_e32 v50, v50, v62, vcc_lo
	v_lshlrev_b32_e32 v50, 21, v50
	v_or3_b32 v50, v60, v58, v50
.LBB6_14447:                            ;   in Loop: Header=BB6_12577 Depth=3
	s_or_b32 exec_lo, exec_lo, s16
	s_waitcnt vmcnt(0)
	v_cmp_gt_i16_sdwa s16, v8, v116 src0_sel:BYTE_0 src1_sel:DWORD
	s_mov_b32 s23, 0
	s_and_saveexec_b32 s72, s16
	s_xor_b32 s16, exec_lo, s72
	s_cbranch_execz .LBB6_15081
; %bb.14448:                            ;   in Loop: Header=BB6_12577 Depth=3
	v_cmp_eq_u16_sdwa s73, v8, v117 src0_sel:BYTE_0 src1_sel:DWORD
	s_mov_b32 s23, -1
	s_and_saveexec_b32 s72, s73
; %bb.14449:                            ;   in Loop: Header=BB6_12577 Depth=3
	s_xor_b32 s23, exec_lo, -1
; %bb.14450:                            ;   in Loop: Header=BB6_12577 Depth=3
	s_or_b32 exec_lo, exec_lo, s72
	s_and_b32 s23, s23, exec_lo
	s_or_saveexec_b32 s16, s16
	v_mov_b32_e32 v58, 0x7f800001
	s_xor_b32 exec_lo, exec_lo, s16
	s_cbranch_execnz .LBB6_15082
.LBB6_14451:                            ;   in Loop: Header=BB6_12577 Depth=3
	s_or_b32 exec_lo, exec_lo, s16
	s_and_saveexec_b32 s16, s23
	s_cbranch_execz .LBB6_14453
.LBB6_14452:                            ;   in Loop: Header=BB6_12577 Depth=3
	v_and_b32_e32 v58, 3, v8
	v_bfe_u32 v60, v8, 2, 5
	v_ffbh_u32_e32 v62, v58
	v_cmp_eq_u32_e32 vcc_lo, 0, v60
	v_min_u32_e32 v62, 32, v62
	v_subrev_nc_u32_e32 v63, 29, v62
	v_sub_nc_u32_e32 v62, 30, v62
	v_lshlrev_b32_e32 v63, v63, v8
	v_cndmask_b32_e32 v60, v60, v62, vcc_lo
	v_lshlrev_b32_e32 v62, 24, v8
	v_and_b32_e32 v63, 3, v63
	v_lshl_add_u32 v60, v60, 23, 0x37800000
	v_and_b32_e32 v62, 0x80000000, v62
	v_cndmask_b32_e32 v58, v58, v63, vcc_lo
	v_lshlrev_b32_e32 v58, 21, v58
	v_or3_b32 v58, v62, v60, v58
.LBB6_14453:                            ;   in Loop: Header=BB6_12577 Depth=3
	s_or_b32 exec_lo, exec_lo, s16
	v_add_f32_e32 v58, v50, v58
	v_and_b32_e32 v50, 0x7f800000, v58
	v_cmp_ne_u32_e32 vcc_lo, 0x7f800000, v50
	v_mov_b32_e32 v50, 0x80
	s_and_saveexec_b32 s23, vcc_lo
	s_cbranch_execz .LBB6_14461
; %bb.14454:                            ;   in Loop: Header=BB6_12577 Depth=3
	v_mov_b32_e32 v50, 0
	s_mov_b32 s72, exec_lo
	v_cmpx_ne_u32_e32 0, v58
	s_cbranch_execz .LBB6_14460
; %bb.14455:                            ;   in Loop: Header=BB6_12577 Depth=3
	v_bfe_u32 v60, v58, 23, 8
	v_and_b32_e32 v50, 0x7fffff, v58
	v_cmp_gt_u32_e64 s16, 0x71, v60
	v_sub_nc_u32_e32 v62, 0x70, v60
	v_cmp_eq_u32_e32 vcc_lo, 0, v60
	v_or_b32_e32 v63, 0x800000, v50
	v_cndmask_b32_e64 v62, 0, v62, s16
	v_cndmask_b32_e32 v50, v63, v50, vcc_lo
	v_cndmask_b32_e64 v62, v62, 0x6f, vcc_lo
	v_lshl_add_u32 v63, 0x200000, v62, -1
	v_lshlrev_b32_e64 v72, v62, 0x100000
	v_and_b32_e32 v63, v63, v50
	v_cmp_eq_u32_e64 s16, v63, v72
	v_lshrrev_b32_e32 v63, v62, v50
	v_add_nc_u32_e32 v50, 0xffffff91, v60
	v_lshrrev_b32_e32 v60, 23, v63
	v_cndmask_b32_e64 v50, v50, 0xffffff92, vcc_lo
	v_xor_b32_e32 v60, 1, v60
	v_add_nc_u32_e32 v50, v62, v50
	v_bfe_u32 v62, v63, 21, 1
	v_add_nc_u32_e32 v62, -1, v62
	v_cndmask_b32_e64 v62, 0, v62, s16
	s_mov_b32 s16, exec_lo
	v_add_nc_u32_e32 v62, v62, v63
	v_and_b32_e32 v62, 0x1fffff, v62
	v_add_nc_u32_e32 v62, v62, v63
                                        ; implicit-def: $vgpr63
	v_cmpx_ne_u32_e64 v50, v60
	s_xor_b32 s16, exec_lo, s16
; %bb.14456:                            ;   in Loop: Header=BB6_12577 Depth=3
	v_cmp_lt_u32_e32 vcc_lo, 0xffffff, v62
	v_sub_nc_u32_e32 v50, v50, v60
	v_cndmask_b32_e64 v60, 0, 1, vcc_lo
	v_add_co_ci_u32_e64 v63, null, 0, v50, vcc_lo
	v_lshrrev_b32_e32 v62, v60, v62
; %bb.14457:                            ;   in Loop: Header=BB6_12577 Depth=3
	s_andn2_saveexec_b32 s16, s16
; %bb.14458:                            ;   in Loop: Header=BB6_12577 Depth=3
	v_bfe_u32 v63, v62, 23, 1
; %bb.14459:                            ;   in Loop: Header=BB6_12577 Depth=3
	s_or_b32 exec_lo, exec_lo, s16
	v_and_b32_sdwa v50, v58, v117 dst_sel:DWORD dst_unused:UNUSED_PAD src0_sel:BYTE_3 src1_sel:DWORD
	v_lshrrev_b32_e32 v58, 21, v62
	v_min_i32_e32 v60, 31, v63
	v_cmp_gt_i32_e32 vcc_lo, 32, v63
	v_lshlrev_b32_e32 v60, 2, v60
	v_cndmask_b32_e32 v58, 3, v58, vcc_lo
	v_and_b32_e32 v60, 0xfc, v60
	v_or_b32_e32 v62, v63, v58
	v_and_b32_e32 v58, 3, v58
	v_cmp_ne_u32_e32 vcc_lo, 0, v62
	v_or3_b32 v50, v60, v50, v58
	v_cndmask_b32_e32 v50, 0, v50, vcc_lo
.LBB6_14460:                            ;   in Loop: Header=BB6_12577 Depth=3
	s_or_b32 exec_lo, exec_lo, s72
.LBB6_14461:                            ;   in Loop: Header=BB6_12577 Depth=3
	s_or_b32 exec_lo, exec_lo, s23
	v_cmp_gt_i16_sdwa s23, v45, v116 src0_sel:BYTE_1 src1_sel:DWORD
	s_mov_b32 s16, 0
	s_and_saveexec_b32 s72, s23
	s_xor_b32 s23, exec_lo, s72
	s_cbranch_execz .LBB6_15083
; %bb.14462:                            ;   in Loop: Header=BB6_12577 Depth=3
	v_cmp_eq_u16_sdwa s73, v45, v117 src0_sel:BYTE_1 src1_sel:DWORD
	s_mov_b32 s16, -1
	s_and_saveexec_b32 s72, s73
; %bb.14463:                            ;   in Loop: Header=BB6_12577 Depth=3
	s_xor_b32 s16, exec_lo, -1
; %bb.14464:                            ;   in Loop: Header=BB6_12577 Depth=3
	s_or_b32 exec_lo, exec_lo, s72
	s_and_b32 s16, s16, exec_lo
	s_or_saveexec_b32 s23, s23
	v_mov_b32_e32 v58, 0x7f800001
	s_xor_b32 exec_lo, exec_lo, s23
	s_cbranch_execnz .LBB6_15084
.LBB6_14465:                            ;   in Loop: Header=BB6_12577 Depth=3
	s_or_b32 exec_lo, exec_lo, s23
	s_and_saveexec_b32 s23, s16
	s_cbranch_execz .LBB6_14467
.LBB6_14466:                            ;   in Loop: Header=BB6_12577 Depth=3
	v_and_b32_sdwa v58, v118, v45 dst_sel:DWORD dst_unused:UNUSED_PAD src0_sel:DWORD src1_sel:BYTE_1
	v_and_b32_e32 v60, 3, v58
	v_bfe_u32 v72, v58, 2, 5
	v_ffbh_u32_e32 v62, v60
	v_cmp_eq_u32_e32 vcc_lo, 0, v72
	v_min_u32_e32 v62, 32, v62
	v_subrev_nc_u32_e32 v63, 29, v62
	v_sub_nc_u32_e32 v62, 30, v62
	v_lshlrev_b32_e32 v58, v63, v58
	v_lshlrev_b32_sdwa v63, v119, v45 dst_sel:DWORD dst_unused:UNUSED_PAD src0_sel:DWORD src1_sel:BYTE_1
	v_cndmask_b32_e32 v62, v72, v62, vcc_lo
	v_and_b32_e32 v58, 3, v58
	v_lshl_add_u32 v62, v62, 23, 0x37800000
	v_cndmask_b32_e32 v58, v60, v58, vcc_lo
	v_and_b32_e32 v60, 0x80000000, v63
	v_lshlrev_b32_e32 v58, 21, v58
	v_or3_b32 v58, v60, v62, v58
.LBB6_14467:                            ;   in Loop: Header=BB6_12577 Depth=3
	s_or_b32 exec_lo, exec_lo, s23
	v_cmp_gt_i16_sdwa s23, v8, v116 src0_sel:BYTE_1 src1_sel:DWORD
	s_mov_b32 s16, 0
	s_and_saveexec_b32 s72, s23
	s_xor_b32 s23, exec_lo, s72
	s_cbranch_execz .LBB6_15085
; %bb.14468:                            ;   in Loop: Header=BB6_12577 Depth=3
	v_cmp_eq_u16_sdwa s73, v8, v117 src0_sel:BYTE_1 src1_sel:DWORD
	s_mov_b32 s16, -1
	s_and_saveexec_b32 s72, s73
; %bb.14469:                            ;   in Loop: Header=BB6_12577 Depth=3
	s_xor_b32 s16, exec_lo, -1
; %bb.14470:                            ;   in Loop: Header=BB6_12577 Depth=3
	s_or_b32 exec_lo, exec_lo, s72
	s_and_b32 s16, s16, exec_lo
	s_or_saveexec_b32 s23, s23
	v_mov_b32_e32 v60, 0x7f800001
	s_xor_b32 exec_lo, exec_lo, s23
	s_cbranch_execnz .LBB6_15086
.LBB6_14471:                            ;   in Loop: Header=BB6_12577 Depth=3
	s_or_b32 exec_lo, exec_lo, s23
	s_and_saveexec_b32 s23, s16
	s_cbranch_execz .LBB6_14473
.LBB6_14472:                            ;   in Loop: Header=BB6_12577 Depth=3
	v_and_b32_sdwa v60, v118, v8 dst_sel:DWORD dst_unused:UNUSED_PAD src0_sel:DWORD src1_sel:BYTE_1
	v_and_b32_e32 v62, 3, v60
	v_bfe_u32 v73, v60, 2, 5
	v_ffbh_u32_e32 v63, v62
	v_cmp_eq_u32_e32 vcc_lo, 0, v73
	v_min_u32_e32 v63, 32, v63
	v_subrev_nc_u32_e32 v72, 29, v63
	v_sub_nc_u32_e32 v63, 30, v63
	v_lshlrev_b32_e32 v60, v72, v60
	v_lshlrev_b32_sdwa v72, v119, v8 dst_sel:DWORD dst_unused:UNUSED_PAD src0_sel:DWORD src1_sel:BYTE_1
	v_cndmask_b32_e32 v63, v73, v63, vcc_lo
	v_and_b32_e32 v60, 3, v60
	v_lshl_add_u32 v63, v63, 23, 0x37800000
	v_cndmask_b32_e32 v60, v62, v60, vcc_lo
	v_and_b32_e32 v62, 0x80000000, v72
	v_lshlrev_b32_e32 v60, 21, v60
	v_or3_b32 v60, v62, v63, v60
.LBB6_14473:                            ;   in Loop: Header=BB6_12577 Depth=3
	s_or_b32 exec_lo, exec_lo, s23
	v_add_f32_e32 v60, v58, v60
	v_and_b32_e32 v58, 0x7f800000, v60
	v_cmp_ne_u32_e32 vcc_lo, 0x7f800000, v58
	v_mov_b32_e32 v58, 0x8000
	s_and_saveexec_b32 s23, vcc_lo
	s_cbranch_execz .LBB6_14481
; %bb.14474:                            ;   in Loop: Header=BB6_12577 Depth=3
	v_mov_b32_e32 v58, 0
	s_mov_b32 s72, exec_lo
	v_cmpx_ne_u32_e32 0, v60
	s_cbranch_execz .LBB6_14480
; %bb.14475:                            ;   in Loop: Header=BB6_12577 Depth=3
	v_bfe_u32 v62, v60, 23, 8
	v_and_b32_e32 v58, 0x7fffff, v60
	v_cmp_gt_u32_e64 s16, 0x71, v62
	v_sub_nc_u32_e32 v63, 0x70, v62
	v_cmp_eq_u32_e32 vcc_lo, 0, v62
	v_or_b32_e32 v72, 0x800000, v58
	v_cndmask_b32_e64 v63, 0, v63, s16
	v_cndmask_b32_e32 v58, v72, v58, vcc_lo
	v_cndmask_b32_e64 v63, v63, 0x6f, vcc_lo
	v_lshl_add_u32 v72, 0x200000, v63, -1
	v_lshlrev_b32_e64 v73, v63, 0x100000
	v_and_b32_e32 v72, v72, v58
	v_cmp_eq_u32_e64 s16, v72, v73
	v_lshrrev_b32_e32 v72, v63, v58
	v_add_nc_u32_e32 v58, 0xffffff91, v62
	v_lshrrev_b32_e32 v62, 23, v72
	v_cndmask_b32_e64 v58, v58, 0xffffff92, vcc_lo
	v_xor_b32_e32 v62, 1, v62
	v_add_nc_u32_e32 v58, v63, v58
	v_bfe_u32 v63, v72, 21, 1
	v_add_nc_u32_e32 v63, -1, v63
	v_cndmask_b32_e64 v63, 0, v63, s16
	s_mov_b32 s16, exec_lo
	v_add_nc_u32_e32 v63, v63, v72
	v_and_b32_e32 v63, 0x1fffff, v63
	v_add_nc_u32_e32 v63, v63, v72
                                        ; implicit-def: $vgpr72
	v_cmpx_ne_u32_e64 v58, v62
	s_xor_b32 s16, exec_lo, s16
; %bb.14476:                            ;   in Loop: Header=BB6_12577 Depth=3
	v_cmp_lt_u32_e32 vcc_lo, 0xffffff, v63
	v_sub_nc_u32_e32 v58, v58, v62
	v_cndmask_b32_e64 v62, 0, 1, vcc_lo
	v_add_co_ci_u32_e64 v72, null, 0, v58, vcc_lo
	v_lshrrev_b32_e32 v63, v62, v63
; %bb.14477:                            ;   in Loop: Header=BB6_12577 Depth=3
	s_andn2_saveexec_b32 s16, s16
; %bb.14478:                            ;   in Loop: Header=BB6_12577 Depth=3
	v_bfe_u32 v72, v63, 23, 1
; %bb.14479:                            ;   in Loop: Header=BB6_12577 Depth=3
	s_or_b32 exec_lo, exec_lo, s16
	v_and_b32_sdwa v58, v60, v117 dst_sel:DWORD dst_unused:UNUSED_PAD src0_sel:BYTE_3 src1_sel:DWORD
	v_lshrrev_b32_e32 v60, 21, v63
	v_min_i32_e32 v62, 31, v72
	v_cmp_gt_i32_e32 vcc_lo, 32, v72
	v_lshlrev_b32_e32 v62, 2, v62
	v_cndmask_b32_e32 v60, 3, v60, vcc_lo
	v_and_b32_e32 v62, 0xfc, v62
	v_or_b32_e32 v63, v72, v60
	v_and_b32_e32 v60, 3, v60
	v_cmp_ne_u32_e32 vcc_lo, 0, v63
	v_or3_b32 v58, v58, v62, v60
	v_lshlrev_b32_e32 v58, 8, v58
	v_cndmask_b32_e32 v58, 0, v58, vcc_lo
.LBB6_14480:                            ;   in Loop: Header=BB6_12577 Depth=3
	s_or_b32 exec_lo, exec_lo, s72
.LBB6_14481:                            ;   in Loop: Header=BB6_12577 Depth=3
	s_or_b32 exec_lo, exec_lo, s23
	v_or_b32_e32 v60, v92, v5
	s_mov_b32 s23, 0
	v_cmp_gt_i16_sdwa s16, v60, v116 src0_sel:BYTE_0 src1_sel:DWORD
	s_and_saveexec_b32 s72, s16
	s_xor_b32 s16, exec_lo, s72
	s_cbranch_execz .LBB6_15087
; %bb.14482:                            ;   in Loop: Header=BB6_12577 Depth=3
	v_cmp_eq_u16_sdwa s73, v60, v117 src0_sel:BYTE_0 src1_sel:DWORD
	s_mov_b32 s23, -1
	s_and_saveexec_b32 s72, s73
; %bb.14483:                            ;   in Loop: Header=BB6_12577 Depth=3
	s_xor_b32 s23, exec_lo, -1
; %bb.14484:                            ;   in Loop: Header=BB6_12577 Depth=3
	s_or_b32 exec_lo, exec_lo, s72
	s_and_b32 s23, s23, exec_lo
	s_or_saveexec_b32 s16, s16
	v_mov_b32_e32 v5, 0x7f800001
	s_xor_b32 exec_lo, exec_lo, s16
	s_cbranch_execnz .LBB6_15088
.LBB6_14485:                            ;   in Loop: Header=BB6_12577 Depth=3
	s_or_b32 exec_lo, exec_lo, s16
	v_lshl_or_b32 v45, v60, 16, v45
	s_and_saveexec_b32 s16, s23
	s_cbranch_execz .LBB6_14487
.LBB6_14486:                            ;   in Loop: Header=BB6_12577 Depth=3
	v_bfe_u32 v5, v45, 16, 2
	v_bfe_u32 v60, v45, 18, 5
	v_ffbh_u32_e32 v62, v5
	v_cmp_eq_u32_e32 vcc_lo, 0, v60
	v_min_u32_e32 v62, 32, v62
	v_subrev_nc_u32_e32 v63, 29, v62
	v_sub_nc_u32_e32 v62, 30, v62
	v_lshlrev_b32_sdwa v63, v63, v45 dst_sel:DWORD dst_unused:UNUSED_PAD src0_sel:DWORD src1_sel:WORD_1
	v_cndmask_b32_e32 v60, v60, v62, vcc_lo
	v_lshlrev_b32_e32 v62, 8, v45
	v_and_b32_e32 v63, 3, v63
	v_lshl_add_u32 v60, v60, 23, 0x37800000
	v_and_b32_e32 v62, 0x80000000, v62
	v_cndmask_b32_e32 v5, v5, v63, vcc_lo
	v_lshlrev_b32_e32 v5, 21, v5
	v_or3_b32 v5, v62, v60, v5
.LBB6_14487:                            ;   in Loop: Header=BB6_12577 Depth=3
	s_or_b32 exec_lo, exec_lo, s16
	v_and_b32_sdwa v62, v8, v40 dst_sel:DWORD dst_unused:UNUSED_PAD src0_sel:WORD_1 src1_sel:DWORD
	s_mov_b32 s23, 0
	s_mov_b32 s16, exec_lo
	v_cmpx_lt_i16_e32 0x7f, v62
	s_xor_b32 s16, exec_lo, s16
	s_cbranch_execz .LBB6_15089
; %bb.14488:                            ;   in Loop: Header=BB6_12577 Depth=3
	s_mov_b32 s23, -1
	s_mov_b32 s72, exec_lo
	v_cmpx_eq_u16_e32 0x80, v62
; %bb.14489:                            ;   in Loop: Header=BB6_12577 Depth=3
	s_xor_b32 s23, exec_lo, -1
; %bb.14490:                            ;   in Loop: Header=BB6_12577 Depth=3
	s_or_b32 exec_lo, exec_lo, s72
	s_and_b32 s23, s23, exec_lo
                                        ; implicit-def: $vgpr62
	s_or_saveexec_b32 s16, s16
	v_mov_b32_e32 v60, 0x7f800001
	s_xor_b32 exec_lo, exec_lo, s16
	s_cbranch_execnz .LBB6_15090
.LBB6_14491:                            ;   in Loop: Header=BB6_12577 Depth=3
	s_or_b32 exec_lo, exec_lo, s16
	s_and_saveexec_b32 s16, s23
	s_cbranch_execz .LBB6_14493
.LBB6_14492:                            ;   in Loop: Header=BB6_12577 Depth=3
	v_bfe_u32 v60, v8, 16, 2
	v_bfe_u32 v62, v8, 18, 5
	v_ffbh_u32_e32 v63, v60
	v_cmp_eq_u32_e32 vcc_lo, 0, v62
	v_min_u32_e32 v63, 32, v63
	v_subrev_nc_u32_e32 v72, 29, v63
	v_sub_nc_u32_e32 v63, 30, v63
	v_lshlrev_b32_sdwa v72, v72, v8 dst_sel:DWORD dst_unused:UNUSED_PAD src0_sel:DWORD src1_sel:WORD_1
	v_cndmask_b32_e32 v62, v62, v63, vcc_lo
	v_lshlrev_b32_e32 v63, 8, v8
	v_and_b32_e32 v72, 3, v72
	v_lshl_add_u32 v62, v62, 23, 0x37800000
	v_and_b32_e32 v63, 0x80000000, v63
	v_cndmask_b32_e32 v60, v60, v72, vcc_lo
	v_lshlrev_b32_e32 v60, 21, v60
	v_or3_b32 v60, v63, v62, v60
.LBB6_14493:                            ;   in Loop: Header=BB6_12577 Depth=3
	s_or_b32 exec_lo, exec_lo, s16
	v_add_f32_e32 v60, v5, v60
	v_and_b32_e32 v5, 0x7f800000, v60
	v_cmp_ne_u32_e32 vcc_lo, 0x7f800000, v5
	v_mov_b32_e32 v5, 0x80
	s_and_saveexec_b32 s23, vcc_lo
	s_cbranch_execz .LBB6_14501
; %bb.14494:                            ;   in Loop: Header=BB6_12577 Depth=3
	v_mov_b32_e32 v5, 0
	s_mov_b32 s72, exec_lo
	v_cmpx_ne_u32_e32 0, v60
	s_cbranch_execz .LBB6_14500
; %bb.14495:                            ;   in Loop: Header=BB6_12577 Depth=3
	v_bfe_u32 v62, v60, 23, 8
	v_and_b32_e32 v5, 0x7fffff, v60
	v_cmp_gt_u32_e64 s16, 0x71, v62
	v_sub_nc_u32_e32 v63, 0x70, v62
	v_cmp_eq_u32_e32 vcc_lo, 0, v62
	v_or_b32_e32 v72, 0x800000, v5
	v_cndmask_b32_e64 v63, 0, v63, s16
	v_cndmask_b32_e32 v5, v72, v5, vcc_lo
	v_cndmask_b32_e64 v63, v63, 0x6f, vcc_lo
	v_lshl_add_u32 v72, 0x200000, v63, -1
	v_lshlrev_b32_e64 v73, v63, 0x100000
	v_and_b32_e32 v72, v72, v5
	v_cmp_eq_u32_e64 s16, v72, v73
	v_lshrrev_b32_e32 v72, v63, v5
	v_add_nc_u32_e32 v5, 0xffffff91, v62
	v_lshrrev_b32_e32 v62, 23, v72
	v_cndmask_b32_e64 v5, v5, 0xffffff92, vcc_lo
	v_xor_b32_e32 v62, 1, v62
	v_add_nc_u32_e32 v5, v63, v5
	v_bfe_u32 v63, v72, 21, 1
	v_add_nc_u32_e32 v63, -1, v63
	v_cndmask_b32_e64 v63, 0, v63, s16
	s_mov_b32 s16, exec_lo
	v_add_nc_u32_e32 v63, v63, v72
	v_and_b32_e32 v63, 0x1fffff, v63
	v_add_nc_u32_e32 v63, v63, v72
                                        ; implicit-def: $vgpr72
	v_cmpx_ne_u32_e64 v5, v62
	s_xor_b32 s16, exec_lo, s16
; %bb.14496:                            ;   in Loop: Header=BB6_12577 Depth=3
	v_cmp_lt_u32_e32 vcc_lo, 0xffffff, v63
	v_sub_nc_u32_e32 v5, v5, v62
	v_cndmask_b32_e64 v62, 0, 1, vcc_lo
	v_add_co_ci_u32_e64 v72, null, 0, v5, vcc_lo
	v_lshrrev_b32_e32 v63, v62, v63
; %bb.14497:                            ;   in Loop: Header=BB6_12577 Depth=3
	s_andn2_saveexec_b32 s16, s16
; %bb.14498:                            ;   in Loop: Header=BB6_12577 Depth=3
	v_bfe_u32 v72, v63, 23, 1
; %bb.14499:                            ;   in Loop: Header=BB6_12577 Depth=3
	s_or_b32 exec_lo, exec_lo, s16
	v_and_b32_sdwa v5, v60, v117 dst_sel:DWORD dst_unused:UNUSED_PAD src0_sel:BYTE_3 src1_sel:DWORD
	v_lshrrev_b32_e32 v60, 21, v63
	v_min_i32_e32 v62, 31, v72
	v_cmp_gt_i32_e32 vcc_lo, 32, v72
	v_lshlrev_b32_e32 v62, 2, v62
	v_cndmask_b32_e32 v60, 3, v60, vcc_lo
	v_and_b32_e32 v62, 0xfc, v62
	v_or_b32_e32 v63, v72, v60
	v_and_b32_e32 v60, 3, v60
	v_cmp_ne_u32_e32 vcc_lo, 0, v63
	v_or3_b32 v5, v62, v5, v60
	v_cndmask_b32_e32 v5, 0, v5, vcc_lo
.LBB6_14500:                            ;   in Loop: Header=BB6_12577 Depth=3
	s_or_b32 exec_lo, exec_lo, s72
.LBB6_14501:                            ;   in Loop: Header=BB6_12577 Depth=3
	s_or_b32 exec_lo, exec_lo, s23
	v_cmp_gt_i16_sdwa s23, v45, v116 src0_sel:BYTE_3 src1_sel:DWORD
	s_mov_b32 s16, 0
	s_and_saveexec_b32 s72, s23
	s_xor_b32 s23, exec_lo, s72
	s_cbranch_execz .LBB6_15091
; %bb.14502:                            ;   in Loop: Header=BB6_12577 Depth=3
	v_cmp_eq_u16_sdwa s73, v45, v117 src0_sel:BYTE_3 src1_sel:DWORD
	s_mov_b32 s16, -1
	s_and_saveexec_b32 s72, s73
; %bb.14503:                            ;   in Loop: Header=BB6_12577 Depth=3
	s_xor_b32 s16, exec_lo, -1
; %bb.14504:                            ;   in Loop: Header=BB6_12577 Depth=3
	s_or_b32 exec_lo, exec_lo, s72
	s_and_b32 s16, s16, exec_lo
	s_or_saveexec_b32 s23, s23
	v_mov_b32_e32 v60, 0x7f800001
	s_xor_b32 exec_lo, exec_lo, s23
	s_cbranch_execnz .LBB6_15092
.LBB6_14505:                            ;   in Loop: Header=BB6_12577 Depth=3
	s_or_b32 exec_lo, exec_lo, s23
	s_and_saveexec_b32 s23, s16
	s_cbranch_execz .LBB6_14507
.LBB6_14506:                            ;   in Loop: Header=BB6_12577 Depth=3
	v_bfe_u32 v60, v45, 24, 2
	v_bfe_u32 v72, v45, 26, 5
	v_ffbh_u32_e32 v62, v60
	v_cmp_eq_u32_e32 vcc_lo, 0, v72
	v_min_u32_e32 v62, 32, v62
	v_subrev_nc_u32_e32 v63, 29, v62
	v_sub_nc_u32_e32 v62, 30, v62
	v_lshlrev_b32_sdwa v63, v63, v45 dst_sel:DWORD dst_unused:UNUSED_PAD src0_sel:DWORD src1_sel:BYTE_3
	v_cndmask_b32_e32 v62, v72, v62, vcc_lo
	v_and_b32_e32 v45, 0x80000000, v45
	v_and_b32_e32 v63, 3, v63
	v_lshl_add_u32 v62, v62, 23, 0x37800000
	v_cndmask_b32_e32 v60, v60, v63, vcc_lo
	v_lshlrev_b32_e32 v60, 21, v60
	v_or3_b32 v60, v45, v62, v60
.LBB6_14507:                            ;   in Loop: Header=BB6_12577 Depth=3
	s_or_b32 exec_lo, exec_lo, s23
	v_cmp_gt_i16_sdwa s23, v8, v116 src0_sel:BYTE_3 src1_sel:DWORD
	s_mov_b32 s16, 0
	s_and_saveexec_b32 s72, s23
	s_xor_b32 s23, exec_lo, s72
	s_cbranch_execz .LBB6_15093
; %bb.14508:                            ;   in Loop: Header=BB6_12577 Depth=3
	v_cmp_eq_u16_sdwa s73, v8, v117 src0_sel:BYTE_3 src1_sel:DWORD
	s_mov_b32 s16, -1
	s_and_saveexec_b32 s72, s73
; %bb.14509:                            ;   in Loop: Header=BB6_12577 Depth=3
	s_xor_b32 s16, exec_lo, -1
; %bb.14510:                            ;   in Loop: Header=BB6_12577 Depth=3
	s_or_b32 exec_lo, exec_lo, s72
	s_and_b32 s16, s16, exec_lo
	s_or_saveexec_b32 s23, s23
	v_mov_b32_e32 v45, 0x7f800001
	s_xor_b32 exec_lo, exec_lo, s23
	s_cbranch_execnz .LBB6_15094
.LBB6_14511:                            ;   in Loop: Header=BB6_12577 Depth=3
	s_or_b32 exec_lo, exec_lo, s23
	s_and_saveexec_b32 s23, s16
	s_cbranch_execz .LBB6_14513
.LBB6_14512:                            ;   in Loop: Header=BB6_12577 Depth=3
	v_bfe_u32 v45, v8, 24, 2
	v_bfe_u32 v72, v8, 26, 5
	v_ffbh_u32_e32 v62, v45
	v_cmp_eq_u32_e32 vcc_lo, 0, v72
	v_min_u32_e32 v62, 32, v62
	v_subrev_nc_u32_e32 v63, 29, v62
	v_sub_nc_u32_e32 v62, 30, v62
	v_lshlrev_b32_sdwa v63, v63, v8 dst_sel:DWORD dst_unused:UNUSED_PAD src0_sel:DWORD src1_sel:BYTE_3
	v_cndmask_b32_e32 v62, v72, v62, vcc_lo
	v_and_b32_e32 v8, 0x80000000, v8
	v_and_b32_e32 v63, 3, v63
	v_lshl_add_u32 v62, v62, 23, 0x37800000
	v_cndmask_b32_e32 v45, v45, v63, vcc_lo
	v_lshlrev_b32_e32 v45, 21, v45
	v_or3_b32 v45, v8, v62, v45
.LBB6_14513:                            ;   in Loop: Header=BB6_12577 Depth=3
	s_or_b32 exec_lo, exec_lo, s23
	v_add_f32_e32 v45, v60, v45
	v_and_b32_e32 v8, 0x7f800000, v45
	v_cmp_ne_u32_e32 vcc_lo, 0x7f800000, v8
	v_mov_b32_e32 v8, 0x8000
	s_and_saveexec_b32 s23, vcc_lo
	s_cbranch_execz .LBB6_14521
; %bb.14514:                            ;   in Loop: Header=BB6_12577 Depth=3
	v_mov_b32_e32 v8, 0
	s_mov_b32 s72, exec_lo
	v_cmpx_ne_u32_e32 0, v45
	s_cbranch_execz .LBB6_14520
; %bb.14515:                            ;   in Loop: Header=BB6_12577 Depth=3
	v_bfe_u32 v60, v45, 23, 8
	v_and_b32_e32 v8, 0x7fffff, v45
	v_cmp_gt_u32_e64 s16, 0x71, v60
	v_sub_nc_u32_e32 v62, 0x70, v60
	v_cmp_eq_u32_e32 vcc_lo, 0, v60
	v_or_b32_e32 v63, 0x800000, v8
	v_cndmask_b32_e64 v62, 0, v62, s16
	v_cndmask_b32_e32 v8, v63, v8, vcc_lo
	v_cndmask_b32_e64 v62, v62, 0x6f, vcc_lo
	v_lshl_add_u32 v63, 0x200000, v62, -1
	v_lshlrev_b32_e64 v72, v62, 0x100000
	v_and_b32_e32 v63, v63, v8
	v_cmp_eq_u32_e64 s16, v63, v72
	v_lshrrev_b32_e32 v63, v62, v8
	v_add_nc_u32_e32 v8, 0xffffff91, v60
	v_lshrrev_b32_e32 v60, 23, v63
	v_cndmask_b32_e64 v8, v8, 0xffffff92, vcc_lo
	v_xor_b32_e32 v60, 1, v60
	v_add_nc_u32_e32 v8, v62, v8
	v_bfe_u32 v62, v63, 21, 1
	v_add_nc_u32_e32 v62, -1, v62
	v_cndmask_b32_e64 v62, 0, v62, s16
	s_mov_b32 s16, exec_lo
	v_add_nc_u32_e32 v62, v62, v63
	v_and_b32_e32 v62, 0x1fffff, v62
	v_add_nc_u32_e32 v62, v62, v63
                                        ; implicit-def: $vgpr63
	v_cmpx_ne_u32_e64 v8, v60
	s_xor_b32 s16, exec_lo, s16
; %bb.14516:                            ;   in Loop: Header=BB6_12577 Depth=3
	v_cmp_lt_u32_e32 vcc_lo, 0xffffff, v62
	v_sub_nc_u32_e32 v8, v8, v60
	v_cndmask_b32_e64 v60, 0, 1, vcc_lo
	v_add_co_ci_u32_e64 v63, null, 0, v8, vcc_lo
	v_lshrrev_b32_e32 v62, v60, v62
; %bb.14517:                            ;   in Loop: Header=BB6_12577 Depth=3
	s_andn2_saveexec_b32 s16, s16
; %bb.14518:                            ;   in Loop: Header=BB6_12577 Depth=3
	v_bfe_u32 v63, v62, 23, 1
; %bb.14519:                            ;   in Loop: Header=BB6_12577 Depth=3
	s_or_b32 exec_lo, exec_lo, s16
	v_and_b32_sdwa v8, v45, v117 dst_sel:DWORD dst_unused:UNUSED_PAD src0_sel:BYTE_3 src1_sel:DWORD
	v_lshrrev_b32_e32 v45, 21, v62
	v_min_i32_e32 v60, 31, v63
	v_cmp_gt_i32_e32 vcc_lo, 32, v63
	v_lshlrev_b32_e32 v60, 2, v60
	v_cndmask_b32_e32 v45, 3, v45, vcc_lo
	v_and_b32_e32 v60, 0xfc, v60
	v_or_b32_e32 v62, v63, v45
	v_and_b32_e32 v45, 3, v45
	v_cmp_ne_u32_e32 vcc_lo, 0, v62
	v_or3_b32 v8, v8, v60, v45
	v_lshlrev_b32_e32 v8, 8, v8
	v_cndmask_b32_e32 v8, 0, v8, vcc_lo
.LBB6_14520:                            ;   in Loop: Header=BB6_12577 Depth=3
	s_or_b32 exec_lo, exec_lo, s72
.LBB6_14521:                            ;   in Loop: Header=BB6_12577 Depth=3
	s_or_b32 exec_lo, exec_lo, s23
	v_or_b32_e32 v62, v89, v88
	s_mov_b32 s23, 0
	v_cmp_gt_i16_sdwa s16, v62, v116 src0_sel:BYTE_0 src1_sel:DWORD
	s_and_saveexec_b32 s72, s16
	s_xor_b32 s16, exec_lo, s72
	s_cbranch_execz .LBB6_15095
; %bb.14522:                            ;   in Loop: Header=BB6_12577 Depth=3
	v_cmp_eq_u16_sdwa s73, v62, v117 src0_sel:BYTE_0 src1_sel:DWORD
	s_mov_b32 s23, -1
	s_and_saveexec_b32 s72, s73
; %bb.14523:                            ;   in Loop: Header=BB6_12577 Depth=3
	s_xor_b32 s23, exec_lo, -1
; %bb.14524:                            ;   in Loop: Header=BB6_12577 Depth=3
	s_or_b32 exec_lo, exec_lo, s72
	s_and_b32 s23, s23, exec_lo
	s_or_saveexec_b32 s16, s16
	v_mov_b32_e32 v45, 0x7f800001
	s_xor_b32 exec_lo, exec_lo, s16
	s_cbranch_execnz .LBB6_15096
.LBB6_14525:                            ;   in Loop: Header=BB6_12577 Depth=3
	s_or_b32 exec_lo, exec_lo, s16
	s_and_saveexec_b32 s16, s23
	s_cbranch_execz .LBB6_14527
.LBB6_14526:                            ;   in Loop: Header=BB6_12577 Depth=3
	v_and_b32_e32 v45, 3, v62
	v_bfe_u32 v60, v62, 2, 5
	v_ffbh_u32_e32 v63, v45
	v_cmp_eq_u32_e32 vcc_lo, 0, v60
	v_min_u32_e32 v63, 32, v63
	v_subrev_nc_u32_e32 v72, 29, v63
	v_sub_nc_u32_e32 v63, 30, v63
	v_lshlrev_b32_e32 v72, v72, v62
	v_cndmask_b32_e32 v60, v60, v63, vcc_lo
	v_lshlrev_b32_e32 v63, 24, v62
	v_and_b32_e32 v72, 3, v72
	v_lshl_add_u32 v60, v60, 23, 0x37800000
	v_and_b32_e32 v63, 0x80000000, v63
	v_cndmask_b32_e32 v45, v45, v72, vcc_lo
	v_lshlrev_b32_e32 v45, 21, v45
	v_or3_b32 v45, v63, v60, v45
.LBB6_14527:                            ;   in Loop: Header=BB6_12577 Depth=3
	s_or_b32 exec_lo, exec_lo, s16
	v_cmp_gt_i16_sdwa s16, v9, v116 src0_sel:BYTE_0 src1_sel:DWORD
	s_mov_b32 s23, 0
	s_and_saveexec_b32 s72, s16
	s_xor_b32 s16, exec_lo, s72
	s_cbranch_execz .LBB6_15097
; %bb.14528:                            ;   in Loop: Header=BB6_12577 Depth=3
	v_cmp_eq_u16_sdwa s73, v9, v117 src0_sel:BYTE_0 src1_sel:DWORD
	s_mov_b32 s23, -1
	s_and_saveexec_b32 s72, s73
; %bb.14529:                            ;   in Loop: Header=BB6_12577 Depth=3
	s_xor_b32 s23, exec_lo, -1
; %bb.14530:                            ;   in Loop: Header=BB6_12577 Depth=3
	s_or_b32 exec_lo, exec_lo, s72
	s_and_b32 s23, s23, exec_lo
	s_or_saveexec_b32 s16, s16
	v_mov_b32_e32 v60, 0x7f800001
	s_xor_b32 exec_lo, exec_lo, s16
	s_cbranch_execnz .LBB6_15098
.LBB6_14531:                            ;   in Loop: Header=BB6_12577 Depth=3
	s_or_b32 exec_lo, exec_lo, s16
	s_and_saveexec_b32 s16, s23
	s_cbranch_execz .LBB6_14533
.LBB6_14532:                            ;   in Loop: Header=BB6_12577 Depth=3
	v_and_b32_e32 v60, 3, v9
	v_bfe_u32 v63, v9, 2, 5
	v_ffbh_u32_e32 v72, v60
	v_cmp_eq_u32_e32 vcc_lo, 0, v63
	v_min_u32_e32 v72, 32, v72
	v_subrev_nc_u32_e32 v73, 29, v72
	v_sub_nc_u32_e32 v72, 30, v72
	v_lshlrev_b32_e32 v73, v73, v9
	v_cndmask_b32_e32 v63, v63, v72, vcc_lo
	v_lshlrev_b32_e32 v72, 24, v9
	v_and_b32_e32 v73, 3, v73
	v_lshl_add_u32 v63, v63, 23, 0x37800000
	v_and_b32_e32 v72, 0x80000000, v72
	v_cndmask_b32_e32 v60, v60, v73, vcc_lo
	v_lshlrev_b32_e32 v60, 21, v60
	v_or3_b32 v60, v72, v63, v60
.LBB6_14533:                            ;   in Loop: Header=BB6_12577 Depth=3
	s_or_b32 exec_lo, exec_lo, s16
	v_add_f32_e32 v60, v45, v60
	v_and_b32_e32 v45, 0x7f800000, v60
	v_cmp_ne_u32_e32 vcc_lo, 0x7f800000, v45
	v_mov_b32_e32 v45, 0x80
	s_and_saveexec_b32 s23, vcc_lo
	s_cbranch_execz .LBB6_14541
; %bb.14534:                            ;   in Loop: Header=BB6_12577 Depth=3
	v_mov_b32_e32 v45, 0
	s_mov_b32 s72, exec_lo
	v_cmpx_ne_u32_e32 0, v60
	s_cbranch_execz .LBB6_14540
; %bb.14535:                            ;   in Loop: Header=BB6_12577 Depth=3
	v_bfe_u32 v63, v60, 23, 8
	v_and_b32_e32 v45, 0x7fffff, v60
	v_cmp_gt_u32_e64 s16, 0x71, v63
	v_sub_nc_u32_e32 v72, 0x70, v63
	v_cmp_eq_u32_e32 vcc_lo, 0, v63
	v_or_b32_e32 v73, 0x800000, v45
	v_cndmask_b32_e64 v72, 0, v72, s16
	v_cndmask_b32_e32 v45, v73, v45, vcc_lo
	v_cndmask_b32_e64 v72, v72, 0x6f, vcc_lo
	v_lshl_add_u32 v73, 0x200000, v72, -1
	v_lshlrev_b32_e64 v75, v72, 0x100000
	v_and_b32_e32 v73, v73, v45
	v_cmp_eq_u32_e64 s16, v73, v75
	v_lshrrev_b32_e32 v73, v72, v45
	v_add_nc_u32_e32 v45, 0xffffff91, v63
	v_lshrrev_b32_e32 v63, 23, v73
	v_cndmask_b32_e64 v45, v45, 0xffffff92, vcc_lo
	v_xor_b32_e32 v63, 1, v63
	v_add_nc_u32_e32 v45, v72, v45
	v_bfe_u32 v72, v73, 21, 1
	v_add_nc_u32_e32 v72, -1, v72
	v_cndmask_b32_e64 v72, 0, v72, s16
	s_mov_b32 s16, exec_lo
	v_add_nc_u32_e32 v72, v72, v73
	v_and_b32_e32 v72, 0x1fffff, v72
	v_add_nc_u32_e32 v72, v72, v73
                                        ; implicit-def: $vgpr73
	v_cmpx_ne_u32_e64 v45, v63
	s_xor_b32 s16, exec_lo, s16
; %bb.14536:                            ;   in Loop: Header=BB6_12577 Depth=3
	v_cmp_lt_u32_e32 vcc_lo, 0xffffff, v72
	v_sub_nc_u32_e32 v45, v45, v63
	v_cndmask_b32_e64 v63, 0, 1, vcc_lo
	v_add_co_ci_u32_e64 v73, null, 0, v45, vcc_lo
	v_lshrrev_b32_e32 v72, v63, v72
; %bb.14537:                            ;   in Loop: Header=BB6_12577 Depth=3
	s_andn2_saveexec_b32 s16, s16
; %bb.14538:                            ;   in Loop: Header=BB6_12577 Depth=3
	v_bfe_u32 v73, v72, 23, 1
; %bb.14539:                            ;   in Loop: Header=BB6_12577 Depth=3
	s_or_b32 exec_lo, exec_lo, s16
	v_and_b32_sdwa v45, v60, v117 dst_sel:DWORD dst_unused:UNUSED_PAD src0_sel:BYTE_3 src1_sel:DWORD
	v_lshrrev_b32_e32 v60, 21, v72
	v_min_i32_e32 v63, 31, v73
	v_cmp_gt_i32_e32 vcc_lo, 32, v73
	v_lshlrev_b32_e32 v63, 2, v63
	v_cndmask_b32_e32 v60, 3, v60, vcc_lo
	v_and_b32_e32 v63, 0xfc, v63
	v_or_b32_e32 v72, v73, v60
	v_and_b32_e32 v60, 3, v60
	v_cmp_ne_u32_e32 vcc_lo, 0, v72
	v_or3_b32 v45, v63, v45, v60
	v_cndmask_b32_e32 v45, 0, v45, vcc_lo
.LBB6_14540:                            ;   in Loop: Header=BB6_12577 Depth=3
	s_or_b32 exec_lo, exec_lo, s72
.LBB6_14541:                            ;   in Loop: Header=BB6_12577 Depth=3
	s_or_b32 exec_lo, exec_lo, s23
	v_cmp_gt_i16_sdwa s23, v62, v116 src0_sel:BYTE_1 src1_sel:DWORD
	s_mov_b32 s16, 0
	s_and_saveexec_b32 s72, s23
	s_xor_b32 s23, exec_lo, s72
	s_cbranch_execz .LBB6_15099
; %bb.14542:                            ;   in Loop: Header=BB6_12577 Depth=3
	v_cmp_eq_u16_sdwa s73, v62, v117 src0_sel:BYTE_1 src1_sel:DWORD
	s_mov_b32 s16, -1
	s_and_saveexec_b32 s72, s73
; %bb.14543:                            ;   in Loop: Header=BB6_12577 Depth=3
	s_xor_b32 s16, exec_lo, -1
; %bb.14544:                            ;   in Loop: Header=BB6_12577 Depth=3
	s_or_b32 exec_lo, exec_lo, s72
	s_and_b32 s16, s16, exec_lo
	s_or_saveexec_b32 s23, s23
	v_mov_b32_e32 v60, 0x7f800001
	s_xor_b32 exec_lo, exec_lo, s23
	s_cbranch_execnz .LBB6_15100
.LBB6_14545:                            ;   in Loop: Header=BB6_12577 Depth=3
	s_or_b32 exec_lo, exec_lo, s23
	s_and_saveexec_b32 s23, s16
	s_cbranch_execz .LBB6_14547
.LBB6_14546:                            ;   in Loop: Header=BB6_12577 Depth=3
	v_and_b32_sdwa v60, v118, v62 dst_sel:DWORD dst_unused:UNUSED_PAD src0_sel:DWORD src1_sel:BYTE_1
	v_and_b32_e32 v63, 3, v60
	v_bfe_u32 v75, v60, 2, 5
	v_ffbh_u32_e32 v72, v63
	v_cmp_eq_u32_e32 vcc_lo, 0, v75
	v_min_u32_e32 v72, 32, v72
	v_subrev_nc_u32_e32 v73, 29, v72
	v_sub_nc_u32_e32 v72, 30, v72
	v_lshlrev_b32_e32 v60, v73, v60
	v_lshlrev_b32_sdwa v73, v119, v62 dst_sel:DWORD dst_unused:UNUSED_PAD src0_sel:DWORD src1_sel:BYTE_1
	v_cndmask_b32_e32 v72, v75, v72, vcc_lo
	v_and_b32_e32 v60, 3, v60
	v_lshl_add_u32 v72, v72, 23, 0x37800000
	v_cndmask_b32_e32 v60, v63, v60, vcc_lo
	v_and_b32_e32 v63, 0x80000000, v73
	v_lshlrev_b32_e32 v60, 21, v60
	v_or3_b32 v60, v63, v72, v60
.LBB6_14547:                            ;   in Loop: Header=BB6_12577 Depth=3
	s_or_b32 exec_lo, exec_lo, s23
	v_cmp_gt_i16_sdwa s23, v9, v116 src0_sel:BYTE_1 src1_sel:DWORD
	s_mov_b32 s16, 0
	s_and_saveexec_b32 s72, s23
	s_xor_b32 s23, exec_lo, s72
	s_cbranch_execz .LBB6_15101
; %bb.14548:                            ;   in Loop: Header=BB6_12577 Depth=3
	v_cmp_eq_u16_sdwa s73, v9, v117 src0_sel:BYTE_1 src1_sel:DWORD
	s_mov_b32 s16, -1
	s_and_saveexec_b32 s72, s73
; %bb.14549:                            ;   in Loop: Header=BB6_12577 Depth=3
	s_xor_b32 s16, exec_lo, -1
; %bb.14550:                            ;   in Loop: Header=BB6_12577 Depth=3
	s_or_b32 exec_lo, exec_lo, s72
	s_and_b32 s16, s16, exec_lo
	s_or_saveexec_b32 s23, s23
	v_mov_b32_e32 v63, 0x7f800001
	s_xor_b32 exec_lo, exec_lo, s23
	s_cbranch_execnz .LBB6_15102
.LBB6_14551:                            ;   in Loop: Header=BB6_12577 Depth=3
	s_or_b32 exec_lo, exec_lo, s23
	s_and_saveexec_b32 s23, s16
	s_cbranch_execz .LBB6_14553
.LBB6_14552:                            ;   in Loop: Header=BB6_12577 Depth=3
	v_and_b32_sdwa v63, v118, v9 dst_sel:DWORD dst_unused:UNUSED_PAD src0_sel:DWORD src1_sel:BYTE_1
	v_and_b32_e32 v72, 3, v63
	v_bfe_u32 v76, v63, 2, 5
	v_ffbh_u32_e32 v73, v72
	v_cmp_eq_u32_e32 vcc_lo, 0, v76
	v_min_u32_e32 v73, 32, v73
	v_subrev_nc_u32_e32 v75, 29, v73
	v_sub_nc_u32_e32 v73, 30, v73
	v_lshlrev_b32_e32 v63, v75, v63
	v_lshlrev_b32_sdwa v75, v119, v9 dst_sel:DWORD dst_unused:UNUSED_PAD src0_sel:DWORD src1_sel:BYTE_1
	v_cndmask_b32_e32 v73, v76, v73, vcc_lo
	v_and_b32_e32 v63, 3, v63
	v_lshl_add_u32 v73, v73, 23, 0x37800000
	v_cndmask_b32_e32 v63, v72, v63, vcc_lo
	v_and_b32_e32 v72, 0x80000000, v75
	v_lshlrev_b32_e32 v63, 21, v63
	v_or3_b32 v63, v72, v73, v63
.LBB6_14553:                            ;   in Loop: Header=BB6_12577 Depth=3
	s_or_b32 exec_lo, exec_lo, s23
	v_add_f32_e32 v63, v60, v63
	v_and_b32_e32 v60, 0x7f800000, v63
	v_cmp_ne_u32_e32 vcc_lo, 0x7f800000, v60
	v_mov_b32_e32 v60, 0x8000
	s_and_saveexec_b32 s23, vcc_lo
	s_cbranch_execz .LBB6_14561
; %bb.14554:                            ;   in Loop: Header=BB6_12577 Depth=3
	v_mov_b32_e32 v60, 0
	s_mov_b32 s72, exec_lo
	v_cmpx_ne_u32_e32 0, v63
	s_cbranch_execz .LBB6_14560
; %bb.14555:                            ;   in Loop: Header=BB6_12577 Depth=3
	v_bfe_u32 v72, v63, 23, 8
	v_and_b32_e32 v60, 0x7fffff, v63
	v_cmp_gt_u32_e64 s16, 0x71, v72
	v_sub_nc_u32_e32 v73, 0x70, v72
	v_cmp_eq_u32_e32 vcc_lo, 0, v72
	v_or_b32_e32 v75, 0x800000, v60
	v_cndmask_b32_e64 v73, 0, v73, s16
	v_cndmask_b32_e32 v60, v75, v60, vcc_lo
	v_cndmask_b32_e64 v73, v73, 0x6f, vcc_lo
	v_lshl_add_u32 v75, 0x200000, v73, -1
	v_lshlrev_b32_e64 v76, v73, 0x100000
	v_and_b32_e32 v75, v75, v60
	v_cmp_eq_u32_e64 s16, v75, v76
	v_lshrrev_b32_e32 v75, v73, v60
	v_add_nc_u32_e32 v60, 0xffffff91, v72
	v_lshrrev_b32_e32 v72, 23, v75
	v_cndmask_b32_e64 v60, v60, 0xffffff92, vcc_lo
	v_xor_b32_e32 v72, 1, v72
	v_add_nc_u32_e32 v60, v73, v60
	v_bfe_u32 v73, v75, 21, 1
	v_add_nc_u32_e32 v73, -1, v73
	v_cndmask_b32_e64 v73, 0, v73, s16
	s_mov_b32 s16, exec_lo
	v_add_nc_u32_e32 v73, v73, v75
	v_and_b32_e32 v73, 0x1fffff, v73
	v_add_nc_u32_e32 v73, v73, v75
                                        ; implicit-def: $vgpr75
	v_cmpx_ne_u32_e64 v60, v72
	s_xor_b32 s16, exec_lo, s16
; %bb.14556:                            ;   in Loop: Header=BB6_12577 Depth=3
	v_cmp_lt_u32_e32 vcc_lo, 0xffffff, v73
	v_sub_nc_u32_e32 v60, v60, v72
	v_cndmask_b32_e64 v72, 0, 1, vcc_lo
	v_add_co_ci_u32_e64 v75, null, 0, v60, vcc_lo
	v_lshrrev_b32_e32 v73, v72, v73
; %bb.14557:                            ;   in Loop: Header=BB6_12577 Depth=3
	s_andn2_saveexec_b32 s16, s16
; %bb.14558:                            ;   in Loop: Header=BB6_12577 Depth=3
	v_bfe_u32 v75, v73, 23, 1
; %bb.14559:                            ;   in Loop: Header=BB6_12577 Depth=3
	s_or_b32 exec_lo, exec_lo, s16
	v_and_b32_sdwa v60, v63, v117 dst_sel:DWORD dst_unused:UNUSED_PAD src0_sel:BYTE_3 src1_sel:DWORD
	v_lshrrev_b32_e32 v63, 21, v73
	v_min_i32_e32 v72, 31, v75
	v_cmp_gt_i32_e32 vcc_lo, 32, v75
	v_lshlrev_b32_e32 v72, 2, v72
	v_cndmask_b32_e32 v63, 3, v63, vcc_lo
	v_and_b32_e32 v72, 0xfc, v72
	v_or_b32_e32 v73, v75, v63
	v_and_b32_e32 v63, 3, v63
	v_cmp_ne_u32_e32 vcc_lo, 0, v73
	v_or3_b32 v60, v60, v72, v63
	v_lshlrev_b32_e32 v60, 8, v60
	v_cndmask_b32_e32 v60, 0, v60, vcc_lo
.LBB6_14560:                            ;   in Loop: Header=BB6_12577 Depth=3
	s_or_b32 exec_lo, exec_lo, s72
.LBB6_14561:                            ;   in Loop: Header=BB6_12577 Depth=3
	s_or_b32 exec_lo, exec_lo, s23
	v_or_b32_e32 v99, v4, v99
	s_mov_b32 s23, 0
	v_cmp_gt_i16_sdwa s16, v99, v116 src0_sel:BYTE_0 src1_sel:DWORD
	s_and_saveexec_b32 s72, s16
	s_xor_b32 s16, exec_lo, s72
	s_cbranch_execz .LBB6_15103
; %bb.14562:                            ;   in Loop: Header=BB6_12577 Depth=3
	v_cmp_eq_u16_sdwa s73, v99, v117 src0_sel:BYTE_0 src1_sel:DWORD
	s_mov_b32 s23, -1
	s_and_saveexec_b32 s72, s73
; %bb.14563:                            ;   in Loop: Header=BB6_12577 Depth=3
	s_xor_b32 s23, exec_lo, -1
; %bb.14564:                            ;   in Loop: Header=BB6_12577 Depth=3
	s_or_b32 exec_lo, exec_lo, s72
	s_and_b32 s23, s23, exec_lo
	s_or_saveexec_b32 s16, s16
	v_mov_b32_e32 v4, 0x7f800001
	s_xor_b32 exec_lo, exec_lo, s16
	s_cbranch_execnz .LBB6_15104
.LBB6_14565:                            ;   in Loop: Header=BB6_12577 Depth=3
	s_or_b32 exec_lo, exec_lo, s16
	v_lshl_or_b32 v99, v99, 16, v62
	s_and_saveexec_b32 s16, s23
	s_cbranch_execz .LBB6_14567
.LBB6_14566:                            ;   in Loop: Header=BB6_12577 Depth=3
	v_bfe_u32 v4, v99, 16, 2
	v_bfe_u32 v62, v99, 18, 5
	v_ffbh_u32_e32 v63, v4
	v_cmp_eq_u32_e32 vcc_lo, 0, v62
	v_min_u32_e32 v63, 32, v63
	v_subrev_nc_u32_e32 v72, 29, v63
	v_sub_nc_u32_e32 v63, 30, v63
	v_lshlrev_b32_sdwa v72, v72, v99 dst_sel:DWORD dst_unused:UNUSED_PAD src0_sel:DWORD src1_sel:WORD_1
	v_cndmask_b32_e32 v62, v62, v63, vcc_lo
	v_lshlrev_b32_e32 v63, 8, v99
	v_and_b32_e32 v72, 3, v72
	v_lshl_add_u32 v62, v62, 23, 0x37800000
	v_and_b32_e32 v63, 0x80000000, v63
	v_cndmask_b32_e32 v4, v4, v72, vcc_lo
	v_lshlrev_b32_e32 v4, 21, v4
	v_or3_b32 v4, v63, v62, v4
.LBB6_14567:                            ;   in Loop: Header=BB6_12577 Depth=3
	s_or_b32 exec_lo, exec_lo, s16
	v_and_b32_sdwa v63, v9, v40 dst_sel:DWORD dst_unused:UNUSED_PAD src0_sel:WORD_1 src1_sel:DWORD
	s_mov_b32 s23, 0
	s_mov_b32 s16, exec_lo
	v_cmpx_lt_i16_e32 0x7f, v63
	s_xor_b32 s16, exec_lo, s16
	s_cbranch_execz .LBB6_15105
; %bb.14568:                            ;   in Loop: Header=BB6_12577 Depth=3
	s_mov_b32 s23, -1
	s_mov_b32 s72, exec_lo
	v_cmpx_eq_u16_e32 0x80, v63
; %bb.14569:                            ;   in Loop: Header=BB6_12577 Depth=3
	s_xor_b32 s23, exec_lo, -1
; %bb.14570:                            ;   in Loop: Header=BB6_12577 Depth=3
	s_or_b32 exec_lo, exec_lo, s72
	s_and_b32 s23, s23, exec_lo
                                        ; implicit-def: $vgpr63
	s_or_saveexec_b32 s16, s16
	v_mov_b32_e32 v62, 0x7f800001
	s_xor_b32 exec_lo, exec_lo, s16
	s_cbranch_execnz .LBB6_15106
.LBB6_14571:                            ;   in Loop: Header=BB6_12577 Depth=3
	s_or_b32 exec_lo, exec_lo, s16
	s_and_saveexec_b32 s16, s23
	s_cbranch_execz .LBB6_14573
.LBB6_14572:                            ;   in Loop: Header=BB6_12577 Depth=3
	v_bfe_u32 v62, v9, 16, 2
	v_bfe_u32 v63, v9, 18, 5
	v_ffbh_u32_e32 v72, v62
	v_cmp_eq_u32_e32 vcc_lo, 0, v63
	v_min_u32_e32 v72, 32, v72
	v_subrev_nc_u32_e32 v73, 29, v72
	v_sub_nc_u32_e32 v72, 30, v72
	v_lshlrev_b32_sdwa v73, v73, v9 dst_sel:DWORD dst_unused:UNUSED_PAD src0_sel:DWORD src1_sel:WORD_1
	v_cndmask_b32_e32 v63, v63, v72, vcc_lo
	v_lshlrev_b32_e32 v72, 8, v9
	v_and_b32_e32 v73, 3, v73
	v_lshl_add_u32 v63, v63, 23, 0x37800000
	v_and_b32_e32 v72, 0x80000000, v72
	v_cndmask_b32_e32 v62, v62, v73, vcc_lo
	v_lshlrev_b32_e32 v62, 21, v62
	v_or3_b32 v62, v72, v63, v62
.LBB6_14573:                            ;   in Loop: Header=BB6_12577 Depth=3
	s_or_b32 exec_lo, exec_lo, s16
	v_add_f32_e32 v62, v4, v62
	v_and_b32_e32 v4, 0x7f800000, v62
	v_cmp_ne_u32_e32 vcc_lo, 0x7f800000, v4
	v_mov_b32_e32 v4, 0x80
	s_and_saveexec_b32 s23, vcc_lo
	s_cbranch_execz .LBB6_14581
; %bb.14574:                            ;   in Loop: Header=BB6_12577 Depth=3
	v_mov_b32_e32 v4, 0
	s_mov_b32 s72, exec_lo
	v_cmpx_ne_u32_e32 0, v62
	s_cbranch_execz .LBB6_14580
; %bb.14575:                            ;   in Loop: Header=BB6_12577 Depth=3
	v_bfe_u32 v63, v62, 23, 8
	v_and_b32_e32 v4, 0x7fffff, v62
	v_cmp_gt_u32_e64 s16, 0x71, v63
	v_sub_nc_u32_e32 v72, 0x70, v63
	v_cmp_eq_u32_e32 vcc_lo, 0, v63
	v_or_b32_e32 v73, 0x800000, v4
	v_cndmask_b32_e64 v72, 0, v72, s16
	v_cndmask_b32_e32 v4, v73, v4, vcc_lo
	v_cndmask_b32_e64 v72, v72, 0x6f, vcc_lo
	v_lshl_add_u32 v73, 0x200000, v72, -1
	v_lshlrev_b32_e64 v75, v72, 0x100000
	v_and_b32_e32 v73, v73, v4
	v_cmp_eq_u32_e64 s16, v73, v75
	v_lshrrev_b32_e32 v73, v72, v4
	v_add_nc_u32_e32 v4, 0xffffff91, v63
	v_lshrrev_b32_e32 v63, 23, v73
	v_cndmask_b32_e64 v4, v4, 0xffffff92, vcc_lo
	v_xor_b32_e32 v63, 1, v63
	v_add_nc_u32_e32 v4, v72, v4
	v_bfe_u32 v72, v73, 21, 1
	v_add_nc_u32_e32 v72, -1, v72
	v_cndmask_b32_e64 v72, 0, v72, s16
	s_mov_b32 s16, exec_lo
	v_add_nc_u32_e32 v72, v72, v73
	v_and_b32_e32 v72, 0x1fffff, v72
	v_add_nc_u32_e32 v72, v72, v73
                                        ; implicit-def: $vgpr73
	v_cmpx_ne_u32_e64 v4, v63
	s_xor_b32 s16, exec_lo, s16
; %bb.14576:                            ;   in Loop: Header=BB6_12577 Depth=3
	v_cmp_lt_u32_e32 vcc_lo, 0xffffff, v72
	v_sub_nc_u32_e32 v4, v4, v63
	v_cndmask_b32_e64 v63, 0, 1, vcc_lo
	v_add_co_ci_u32_e64 v73, null, 0, v4, vcc_lo
	v_lshrrev_b32_e32 v72, v63, v72
; %bb.14577:                            ;   in Loop: Header=BB6_12577 Depth=3
	s_andn2_saveexec_b32 s16, s16
; %bb.14578:                            ;   in Loop: Header=BB6_12577 Depth=3
	v_bfe_u32 v73, v72, 23, 1
; %bb.14579:                            ;   in Loop: Header=BB6_12577 Depth=3
	s_or_b32 exec_lo, exec_lo, s16
	v_and_b32_sdwa v4, v62, v117 dst_sel:DWORD dst_unused:UNUSED_PAD src0_sel:BYTE_3 src1_sel:DWORD
	v_lshrrev_b32_e32 v62, 21, v72
	v_min_i32_e32 v63, 31, v73
	v_cmp_gt_i32_e32 vcc_lo, 32, v73
	v_lshlrev_b32_e32 v63, 2, v63
	v_cndmask_b32_e32 v62, 3, v62, vcc_lo
	v_and_b32_e32 v63, 0xfc, v63
	v_or_b32_e32 v72, v73, v62
	v_and_b32_e32 v62, 3, v62
	v_cmp_ne_u32_e32 vcc_lo, 0, v72
	v_or3_b32 v4, v63, v4, v62
	v_cndmask_b32_e32 v4, 0, v4, vcc_lo
.LBB6_14580:                            ;   in Loop: Header=BB6_12577 Depth=3
	s_or_b32 exec_lo, exec_lo, s72
.LBB6_14581:                            ;   in Loop: Header=BB6_12577 Depth=3
	s_or_b32 exec_lo, exec_lo, s23
	v_cmp_gt_i16_sdwa s23, v99, v116 src0_sel:BYTE_3 src1_sel:DWORD
	s_mov_b32 s16, 0
	s_and_saveexec_b32 s72, s23
	s_xor_b32 s23, exec_lo, s72
	s_cbranch_execz .LBB6_15107
; %bb.14582:                            ;   in Loop: Header=BB6_12577 Depth=3
	v_cmp_eq_u16_sdwa s73, v99, v117 src0_sel:BYTE_3 src1_sel:DWORD
	s_mov_b32 s16, -1
	s_and_saveexec_b32 s72, s73
; %bb.14583:                            ;   in Loop: Header=BB6_12577 Depth=3
	s_xor_b32 s16, exec_lo, -1
; %bb.14584:                            ;   in Loop: Header=BB6_12577 Depth=3
	s_or_b32 exec_lo, exec_lo, s72
	s_and_b32 s16, s16, exec_lo
	s_or_saveexec_b32 s23, s23
	v_mov_b32_e32 v62, 0x7f800001
	s_xor_b32 exec_lo, exec_lo, s23
	s_cbranch_execnz .LBB6_15108
.LBB6_14585:                            ;   in Loop: Header=BB6_12577 Depth=3
	s_or_b32 exec_lo, exec_lo, s23
	s_and_saveexec_b32 s23, s16
	s_cbranch_execz .LBB6_14587
.LBB6_14586:                            ;   in Loop: Header=BB6_12577 Depth=3
	v_bfe_u32 v62, v99, 24, 2
	v_bfe_u32 v73, v99, 26, 5
	v_ffbh_u32_e32 v63, v62
	v_cmp_eq_u32_e32 vcc_lo, 0, v73
	v_min_u32_e32 v63, 32, v63
	v_subrev_nc_u32_e32 v72, 29, v63
	v_sub_nc_u32_e32 v63, 30, v63
	v_lshlrev_b32_sdwa v72, v72, v99 dst_sel:DWORD dst_unused:UNUSED_PAD src0_sel:DWORD src1_sel:BYTE_3
	v_cndmask_b32_e32 v63, v73, v63, vcc_lo
	v_and_b32_e32 v99, 0x80000000, v99
	v_and_b32_e32 v72, 3, v72
	v_lshl_add_u32 v63, v63, 23, 0x37800000
	v_cndmask_b32_e32 v62, v62, v72, vcc_lo
	v_lshlrev_b32_e32 v62, 21, v62
	v_or3_b32 v62, v99, v63, v62
.LBB6_14587:                            ;   in Loop: Header=BB6_12577 Depth=3
	s_or_b32 exec_lo, exec_lo, s23
	v_cmp_gt_i16_sdwa s23, v9, v116 src0_sel:BYTE_3 src1_sel:DWORD
	s_mov_b32 s16, 0
	s_and_saveexec_b32 s72, s23
	s_xor_b32 s23, exec_lo, s72
	s_cbranch_execz .LBB6_15109
; %bb.14588:                            ;   in Loop: Header=BB6_12577 Depth=3
	v_cmp_eq_u16_sdwa s73, v9, v117 src0_sel:BYTE_3 src1_sel:DWORD
	s_mov_b32 s16, -1
	s_and_saveexec_b32 s72, s73
; %bb.14589:                            ;   in Loop: Header=BB6_12577 Depth=3
	s_xor_b32 s16, exec_lo, -1
; %bb.14590:                            ;   in Loop: Header=BB6_12577 Depth=3
	s_or_b32 exec_lo, exec_lo, s72
	s_and_b32 s16, s16, exec_lo
	s_or_saveexec_b32 s23, s23
	v_mov_b32_e32 v99, 0x7f800001
	s_xor_b32 exec_lo, exec_lo, s23
	s_cbranch_execnz .LBB6_15110
.LBB6_14591:                            ;   in Loop: Header=BB6_12577 Depth=3
	s_or_b32 exec_lo, exec_lo, s23
	s_and_saveexec_b32 s23, s16
	s_cbranch_execz .LBB6_14593
.LBB6_14592:                            ;   in Loop: Header=BB6_12577 Depth=3
	v_bfe_u32 v99, v9, 24, 2
	v_bfe_u32 v73, v9, 26, 5
	v_ffbh_u32_e32 v63, v99
	v_cmp_eq_u32_e32 vcc_lo, 0, v73
	v_min_u32_e32 v63, 32, v63
	v_subrev_nc_u32_e32 v72, 29, v63
	v_sub_nc_u32_e32 v63, 30, v63
	v_lshlrev_b32_sdwa v72, v72, v9 dst_sel:DWORD dst_unused:UNUSED_PAD src0_sel:DWORD src1_sel:BYTE_3
	v_cndmask_b32_e32 v63, v73, v63, vcc_lo
	v_and_b32_e32 v9, 0x80000000, v9
	v_and_b32_e32 v72, 3, v72
	v_lshl_add_u32 v63, v63, 23, 0x37800000
	v_cndmask_b32_e32 v99, v99, v72, vcc_lo
	v_lshlrev_b32_e32 v99, 21, v99
	v_or3_b32 v99, v9, v63, v99
.LBB6_14593:                            ;   in Loop: Header=BB6_12577 Depth=3
	s_or_b32 exec_lo, exec_lo, s23
	v_add_f32_e32 v99, v62, v99
	v_and_b32_e32 v9, 0x7f800000, v99
	v_cmp_ne_u32_e32 vcc_lo, 0x7f800000, v9
	v_mov_b32_e32 v9, 0x8000
	s_and_saveexec_b32 s23, vcc_lo
	s_cbranch_execz .LBB6_14601
; %bb.14594:                            ;   in Loop: Header=BB6_12577 Depth=3
	v_mov_b32_e32 v9, 0
	s_mov_b32 s72, exec_lo
	v_cmpx_ne_u32_e32 0, v99
	s_cbranch_execz .LBB6_14600
; %bb.14595:                            ;   in Loop: Header=BB6_12577 Depth=3
	v_bfe_u32 v62, v99, 23, 8
	v_and_b32_e32 v9, 0x7fffff, v99
	v_cmp_gt_u32_e64 s16, 0x71, v62
	v_sub_nc_u32_e32 v63, 0x70, v62
	v_cmp_eq_u32_e32 vcc_lo, 0, v62
	v_or_b32_e32 v72, 0x800000, v9
	v_cndmask_b32_e64 v63, 0, v63, s16
	v_cndmask_b32_e32 v9, v72, v9, vcc_lo
	v_cndmask_b32_e64 v63, v63, 0x6f, vcc_lo
	v_lshl_add_u32 v72, 0x200000, v63, -1
	v_lshlrev_b32_e64 v73, v63, 0x100000
	v_and_b32_e32 v72, v72, v9
	v_cmp_eq_u32_e64 s16, v72, v73
	v_lshrrev_b32_e32 v72, v63, v9
	v_add_nc_u32_e32 v9, 0xffffff91, v62
	v_lshrrev_b32_e32 v62, 23, v72
	v_cndmask_b32_e64 v9, v9, 0xffffff92, vcc_lo
	v_xor_b32_e32 v62, 1, v62
	v_add_nc_u32_e32 v9, v63, v9
	v_bfe_u32 v63, v72, 21, 1
	v_add_nc_u32_e32 v63, -1, v63
	v_cndmask_b32_e64 v63, 0, v63, s16
	s_mov_b32 s16, exec_lo
	v_add_nc_u32_e32 v63, v63, v72
	v_and_b32_e32 v63, 0x1fffff, v63
	v_add_nc_u32_e32 v63, v63, v72
                                        ; implicit-def: $vgpr72
	v_cmpx_ne_u32_e64 v9, v62
	s_xor_b32 s16, exec_lo, s16
; %bb.14596:                            ;   in Loop: Header=BB6_12577 Depth=3
	v_cmp_lt_u32_e32 vcc_lo, 0xffffff, v63
	v_sub_nc_u32_e32 v9, v9, v62
	v_cndmask_b32_e64 v62, 0, 1, vcc_lo
	v_add_co_ci_u32_e64 v72, null, 0, v9, vcc_lo
	v_lshrrev_b32_e32 v63, v62, v63
; %bb.14597:                            ;   in Loop: Header=BB6_12577 Depth=3
	s_andn2_saveexec_b32 s16, s16
; %bb.14598:                            ;   in Loop: Header=BB6_12577 Depth=3
	v_bfe_u32 v72, v63, 23, 1
; %bb.14599:                            ;   in Loop: Header=BB6_12577 Depth=3
	s_or_b32 exec_lo, exec_lo, s16
	v_and_b32_sdwa v9, v99, v117 dst_sel:DWORD dst_unused:UNUSED_PAD src0_sel:BYTE_3 src1_sel:DWORD
	v_lshrrev_b32_e32 v99, 21, v63
	v_min_i32_e32 v62, 31, v72
	v_cmp_gt_i32_e32 vcc_lo, 32, v72
	v_lshlrev_b32_e32 v62, 2, v62
	v_cndmask_b32_e32 v99, 3, v99, vcc_lo
	v_and_b32_e32 v62, 0xfc, v62
	v_or_b32_e32 v63, v72, v99
	v_and_b32_e32 v99, 3, v99
	v_cmp_ne_u32_e32 vcc_lo, 0, v63
	v_or3_b32 v9, v9, v62, v99
	v_lshlrev_b32_e32 v9, 8, v9
	v_cndmask_b32_e32 v9, 0, v9, vcc_lo
.LBB6_14600:                            ;   in Loop: Header=BB6_12577 Depth=3
	s_or_b32 exec_lo, exec_lo, s72
.LBB6_14601:                            ;   in Loop: Header=BB6_12577 Depth=3
	s_or_b32 exec_lo, exec_lo, s23
	v_or_b32_e32 v62, v79, v52
	s_mov_b32 s23, 0
	v_cmp_gt_i16_sdwa s16, v62, v116 src0_sel:BYTE_0 src1_sel:DWORD
	s_and_saveexec_b32 s72, s16
	s_xor_b32 s16, exec_lo, s72
	s_cbranch_execz .LBB6_15111
; %bb.14602:                            ;   in Loop: Header=BB6_12577 Depth=3
	v_cmp_eq_u16_sdwa s73, v62, v117 src0_sel:BYTE_0 src1_sel:DWORD
	s_mov_b32 s23, -1
	s_and_saveexec_b32 s72, s73
; %bb.14603:                            ;   in Loop: Header=BB6_12577 Depth=3
	s_xor_b32 s23, exec_lo, -1
; %bb.14604:                            ;   in Loop: Header=BB6_12577 Depth=3
	s_or_b32 exec_lo, exec_lo, s72
	s_and_b32 s23, s23, exec_lo
	s_or_saveexec_b32 s16, s16
	v_mov_b32_e32 v52, 0x7f800001
	s_xor_b32 exec_lo, exec_lo, s16
	s_cbranch_execnz .LBB6_15112
.LBB6_14605:                            ;   in Loop: Header=BB6_12577 Depth=3
	s_or_b32 exec_lo, exec_lo, s16
	s_and_saveexec_b32 s16, s23
	s_cbranch_execz .LBB6_14607
.LBB6_14606:                            ;   in Loop: Header=BB6_12577 Depth=3
	v_and_b32_e32 v52, 3, v62
	v_bfe_u32 v99, v62, 2, 5
	v_ffbh_u32_e32 v63, v52
	v_cmp_eq_u32_e32 vcc_lo, 0, v99
	v_min_u32_e32 v63, 32, v63
	v_subrev_nc_u32_e32 v72, 29, v63
	v_sub_nc_u32_e32 v63, 30, v63
	v_lshlrev_b32_e32 v72, v72, v62
	v_cndmask_b32_e32 v99, v99, v63, vcc_lo
	v_lshlrev_b32_e32 v63, 24, v62
	v_and_b32_e32 v72, 3, v72
	v_lshl_add_u32 v99, v99, 23, 0x37800000
	v_and_b32_e32 v63, 0x80000000, v63
	v_cndmask_b32_e32 v52, v52, v72, vcc_lo
	v_lshlrev_b32_e32 v52, 21, v52
	v_or3_b32 v52, v63, v99, v52
.LBB6_14607:                            ;   in Loop: Header=BB6_12577 Depth=3
	s_or_b32 exec_lo, exec_lo, s16
	v_cmp_gt_i16_sdwa s16, v10, v116 src0_sel:BYTE_0 src1_sel:DWORD
	s_mov_b32 s23, 0
	s_and_saveexec_b32 s72, s16
	s_xor_b32 s16, exec_lo, s72
	s_cbranch_execz .LBB6_15113
; %bb.14608:                            ;   in Loop: Header=BB6_12577 Depth=3
	v_cmp_eq_u16_sdwa s73, v10, v117 src0_sel:BYTE_0 src1_sel:DWORD
	s_mov_b32 s23, -1
	s_and_saveexec_b32 s72, s73
; %bb.14609:                            ;   in Loop: Header=BB6_12577 Depth=3
	s_xor_b32 s23, exec_lo, -1
; %bb.14610:                            ;   in Loop: Header=BB6_12577 Depth=3
	s_or_b32 exec_lo, exec_lo, s72
	s_and_b32 s23, s23, exec_lo
	s_or_saveexec_b32 s16, s16
	v_mov_b32_e32 v99, 0x7f800001
	s_xor_b32 exec_lo, exec_lo, s16
	s_cbranch_execnz .LBB6_15114
.LBB6_14611:                            ;   in Loop: Header=BB6_12577 Depth=3
	s_or_b32 exec_lo, exec_lo, s16
	s_and_saveexec_b32 s16, s23
	s_cbranch_execz .LBB6_14613
.LBB6_14612:                            ;   in Loop: Header=BB6_12577 Depth=3
	v_and_b32_e32 v99, 3, v10
	v_bfe_u32 v63, v10, 2, 5
	v_ffbh_u32_e32 v72, v99
	v_cmp_eq_u32_e32 vcc_lo, 0, v63
	v_min_u32_e32 v72, 32, v72
	v_subrev_nc_u32_e32 v73, 29, v72
	v_sub_nc_u32_e32 v72, 30, v72
	v_lshlrev_b32_e32 v73, v73, v10
	v_cndmask_b32_e32 v63, v63, v72, vcc_lo
	v_lshlrev_b32_e32 v72, 24, v10
	v_and_b32_e32 v73, 3, v73
	v_lshl_add_u32 v63, v63, 23, 0x37800000
	v_and_b32_e32 v72, 0x80000000, v72
	v_cndmask_b32_e32 v99, v99, v73, vcc_lo
	v_lshlrev_b32_e32 v99, 21, v99
	v_or3_b32 v99, v72, v63, v99
.LBB6_14613:                            ;   in Loop: Header=BB6_12577 Depth=3
	s_or_b32 exec_lo, exec_lo, s16
	v_add_f32_e32 v99, v52, v99
	v_and_b32_e32 v52, 0x7f800000, v99
	v_cmp_ne_u32_e32 vcc_lo, 0x7f800000, v52
	v_mov_b32_e32 v52, 0x80
	s_and_saveexec_b32 s23, vcc_lo
	s_cbranch_execz .LBB6_14621
; %bb.14614:                            ;   in Loop: Header=BB6_12577 Depth=3
	v_mov_b32_e32 v52, 0
	s_mov_b32 s72, exec_lo
	v_cmpx_ne_u32_e32 0, v99
	s_cbranch_execz .LBB6_14620
; %bb.14615:                            ;   in Loop: Header=BB6_12577 Depth=3
	v_bfe_u32 v63, v99, 23, 8
	v_and_b32_e32 v52, 0x7fffff, v99
	v_cmp_gt_u32_e64 s16, 0x71, v63
	v_sub_nc_u32_e32 v72, 0x70, v63
	v_cmp_eq_u32_e32 vcc_lo, 0, v63
	v_or_b32_e32 v73, 0x800000, v52
	v_cndmask_b32_e64 v72, 0, v72, s16
	v_cndmask_b32_e32 v52, v73, v52, vcc_lo
	v_cndmask_b32_e64 v72, v72, 0x6f, vcc_lo
	v_lshl_add_u32 v73, 0x200000, v72, -1
	v_lshlrev_b32_e64 v75, v72, 0x100000
	v_and_b32_e32 v73, v73, v52
	v_cmp_eq_u32_e64 s16, v73, v75
	v_lshrrev_b32_e32 v73, v72, v52
	v_add_nc_u32_e32 v52, 0xffffff91, v63
	v_lshrrev_b32_e32 v63, 23, v73
	v_cndmask_b32_e64 v52, v52, 0xffffff92, vcc_lo
	v_xor_b32_e32 v63, 1, v63
	v_add_nc_u32_e32 v52, v72, v52
	v_bfe_u32 v72, v73, 21, 1
	v_add_nc_u32_e32 v72, -1, v72
	v_cndmask_b32_e64 v72, 0, v72, s16
	s_mov_b32 s16, exec_lo
	v_add_nc_u32_e32 v72, v72, v73
	v_and_b32_e32 v72, 0x1fffff, v72
	v_add_nc_u32_e32 v72, v72, v73
                                        ; implicit-def: $vgpr73
	v_cmpx_ne_u32_e64 v52, v63
	s_xor_b32 s16, exec_lo, s16
; %bb.14616:                            ;   in Loop: Header=BB6_12577 Depth=3
	v_cmp_lt_u32_e32 vcc_lo, 0xffffff, v72
	v_sub_nc_u32_e32 v52, v52, v63
	v_cndmask_b32_e64 v63, 0, 1, vcc_lo
	v_add_co_ci_u32_e64 v73, null, 0, v52, vcc_lo
	v_lshrrev_b32_e32 v72, v63, v72
; %bb.14617:                            ;   in Loop: Header=BB6_12577 Depth=3
	s_andn2_saveexec_b32 s16, s16
; %bb.14618:                            ;   in Loop: Header=BB6_12577 Depth=3
	v_bfe_u32 v73, v72, 23, 1
; %bb.14619:                            ;   in Loop: Header=BB6_12577 Depth=3
	s_or_b32 exec_lo, exec_lo, s16
	v_and_b32_sdwa v52, v99, v117 dst_sel:DWORD dst_unused:UNUSED_PAD src0_sel:BYTE_3 src1_sel:DWORD
	v_lshrrev_b32_e32 v99, 21, v72
	v_min_i32_e32 v63, 31, v73
	v_cmp_gt_i32_e32 vcc_lo, 32, v73
	v_lshlrev_b32_e32 v63, 2, v63
	v_cndmask_b32_e32 v99, 3, v99, vcc_lo
	v_and_b32_e32 v63, 0xfc, v63
	v_or_b32_e32 v72, v73, v99
	v_and_b32_e32 v99, 3, v99
	v_cmp_ne_u32_e32 vcc_lo, 0, v72
	v_or3_b32 v52, v63, v52, v99
	v_cndmask_b32_e32 v52, 0, v52, vcc_lo
.LBB6_14620:                            ;   in Loop: Header=BB6_12577 Depth=3
	s_or_b32 exec_lo, exec_lo, s72
.LBB6_14621:                            ;   in Loop: Header=BB6_12577 Depth=3
	s_or_b32 exec_lo, exec_lo, s23
	v_cmp_gt_i16_sdwa s23, v62, v116 src0_sel:BYTE_1 src1_sel:DWORD
	s_mov_b32 s16, 0
	s_and_saveexec_b32 s72, s23
	s_xor_b32 s23, exec_lo, s72
	s_cbranch_execz .LBB6_15115
; %bb.14622:                            ;   in Loop: Header=BB6_12577 Depth=3
	v_cmp_eq_u16_sdwa s73, v62, v117 src0_sel:BYTE_1 src1_sel:DWORD
	s_mov_b32 s16, -1
	s_and_saveexec_b32 s72, s73
; %bb.14623:                            ;   in Loop: Header=BB6_12577 Depth=3
	s_xor_b32 s16, exec_lo, -1
; %bb.14624:                            ;   in Loop: Header=BB6_12577 Depth=3
	s_or_b32 exec_lo, exec_lo, s72
	s_and_b32 s16, s16, exec_lo
	s_or_saveexec_b32 s23, s23
	v_mov_b32_e32 v99, 0x7f800001
	s_xor_b32 exec_lo, exec_lo, s23
	s_cbranch_execnz .LBB6_15116
.LBB6_14625:                            ;   in Loop: Header=BB6_12577 Depth=3
	s_or_b32 exec_lo, exec_lo, s23
	s_and_saveexec_b32 s23, s16
	s_cbranch_execz .LBB6_14627
.LBB6_14626:                            ;   in Loop: Header=BB6_12577 Depth=3
	v_and_b32_sdwa v99, v118, v62 dst_sel:DWORD dst_unused:UNUSED_PAD src0_sel:DWORD src1_sel:BYTE_1
	v_and_b32_e32 v63, 3, v99
	v_bfe_u32 v75, v99, 2, 5
	v_ffbh_u32_e32 v72, v63
	v_cmp_eq_u32_e32 vcc_lo, 0, v75
	v_min_u32_e32 v72, 32, v72
	v_subrev_nc_u32_e32 v73, 29, v72
	v_sub_nc_u32_e32 v72, 30, v72
	v_lshlrev_b32_e32 v99, v73, v99
	v_lshlrev_b32_sdwa v73, v119, v62 dst_sel:DWORD dst_unused:UNUSED_PAD src0_sel:DWORD src1_sel:BYTE_1
	v_cndmask_b32_e32 v72, v75, v72, vcc_lo
	v_and_b32_e32 v99, 3, v99
	v_lshl_add_u32 v72, v72, 23, 0x37800000
	v_cndmask_b32_e32 v99, v63, v99, vcc_lo
	v_and_b32_e32 v63, 0x80000000, v73
	v_lshlrev_b32_e32 v99, 21, v99
	v_or3_b32 v99, v63, v72, v99
.LBB6_14627:                            ;   in Loop: Header=BB6_12577 Depth=3
	s_or_b32 exec_lo, exec_lo, s23
	v_cmp_gt_i16_sdwa s23, v10, v116 src0_sel:BYTE_1 src1_sel:DWORD
	s_mov_b32 s16, 0
	s_and_saveexec_b32 s72, s23
	s_xor_b32 s23, exec_lo, s72
	s_cbranch_execz .LBB6_15117
; %bb.14628:                            ;   in Loop: Header=BB6_12577 Depth=3
	v_cmp_eq_u16_sdwa s73, v10, v117 src0_sel:BYTE_1 src1_sel:DWORD
	s_mov_b32 s16, -1
	s_and_saveexec_b32 s72, s73
; %bb.14629:                            ;   in Loop: Header=BB6_12577 Depth=3
	s_xor_b32 s16, exec_lo, -1
; %bb.14630:                            ;   in Loop: Header=BB6_12577 Depth=3
	s_or_b32 exec_lo, exec_lo, s72
	s_and_b32 s16, s16, exec_lo
	s_or_saveexec_b32 s23, s23
	v_mov_b32_e32 v63, 0x7f800001
	s_xor_b32 exec_lo, exec_lo, s23
	s_cbranch_execnz .LBB6_15118
.LBB6_14631:                            ;   in Loop: Header=BB6_12577 Depth=3
	s_or_b32 exec_lo, exec_lo, s23
	s_and_saveexec_b32 s23, s16
	s_cbranch_execz .LBB6_14633
.LBB6_14632:                            ;   in Loop: Header=BB6_12577 Depth=3
	v_and_b32_sdwa v63, v118, v10 dst_sel:DWORD dst_unused:UNUSED_PAD src0_sel:DWORD src1_sel:BYTE_1
	v_and_b32_e32 v72, 3, v63
	v_bfe_u32 v76, v63, 2, 5
	v_ffbh_u32_e32 v73, v72
	v_cmp_eq_u32_e32 vcc_lo, 0, v76
	v_min_u32_e32 v73, 32, v73
	v_subrev_nc_u32_e32 v75, 29, v73
	v_sub_nc_u32_e32 v73, 30, v73
	v_lshlrev_b32_e32 v63, v75, v63
	v_lshlrev_b32_sdwa v75, v119, v10 dst_sel:DWORD dst_unused:UNUSED_PAD src0_sel:DWORD src1_sel:BYTE_1
	v_cndmask_b32_e32 v73, v76, v73, vcc_lo
	v_and_b32_e32 v63, 3, v63
	v_lshl_add_u32 v73, v73, 23, 0x37800000
	v_cndmask_b32_e32 v63, v72, v63, vcc_lo
	v_and_b32_e32 v72, 0x80000000, v75
	v_lshlrev_b32_e32 v63, 21, v63
	v_or3_b32 v63, v72, v73, v63
.LBB6_14633:                            ;   in Loop: Header=BB6_12577 Depth=3
	s_or_b32 exec_lo, exec_lo, s23
	v_add_f32_e32 v63, v99, v63
	v_and_b32_e32 v99, 0x7f800000, v63
	v_cmp_ne_u32_e32 vcc_lo, 0x7f800000, v99
	v_mov_b32_e32 v99, 0x8000
	s_and_saveexec_b32 s23, vcc_lo
	s_cbranch_execz .LBB6_14641
; %bb.14634:                            ;   in Loop: Header=BB6_12577 Depth=3
	v_mov_b32_e32 v99, 0
	s_mov_b32 s72, exec_lo
	v_cmpx_ne_u32_e32 0, v63
	s_cbranch_execz .LBB6_14640
; %bb.14635:                            ;   in Loop: Header=BB6_12577 Depth=3
	v_bfe_u32 v72, v63, 23, 8
	v_and_b32_e32 v99, 0x7fffff, v63
	v_cmp_gt_u32_e64 s16, 0x71, v72
	v_sub_nc_u32_e32 v73, 0x70, v72
	v_cmp_eq_u32_e32 vcc_lo, 0, v72
	v_or_b32_e32 v75, 0x800000, v99
	v_cndmask_b32_e64 v73, 0, v73, s16
	v_cndmask_b32_e32 v99, v75, v99, vcc_lo
	v_cndmask_b32_e64 v73, v73, 0x6f, vcc_lo
	v_lshl_add_u32 v75, 0x200000, v73, -1
	v_lshlrev_b32_e64 v76, v73, 0x100000
	v_and_b32_e32 v75, v75, v99
	v_cmp_eq_u32_e64 s16, v75, v76
	v_lshrrev_b32_e32 v75, v73, v99
	v_add_nc_u32_e32 v99, 0xffffff91, v72
	v_lshrrev_b32_e32 v72, 23, v75
	v_cndmask_b32_e64 v99, v99, 0xffffff92, vcc_lo
	v_xor_b32_e32 v72, 1, v72
	v_add_nc_u32_e32 v99, v73, v99
	v_bfe_u32 v73, v75, 21, 1
	v_add_nc_u32_e32 v73, -1, v73
	v_cndmask_b32_e64 v73, 0, v73, s16
	s_mov_b32 s16, exec_lo
	v_add_nc_u32_e32 v73, v73, v75
	v_and_b32_e32 v73, 0x1fffff, v73
	v_add_nc_u32_e32 v73, v73, v75
                                        ; implicit-def: $vgpr75
	v_cmpx_ne_u32_e64 v99, v72
	s_xor_b32 s16, exec_lo, s16
; %bb.14636:                            ;   in Loop: Header=BB6_12577 Depth=3
	v_cmp_lt_u32_e32 vcc_lo, 0xffffff, v73
	v_sub_nc_u32_e32 v99, v99, v72
	v_cndmask_b32_e64 v72, 0, 1, vcc_lo
	v_add_co_ci_u32_e64 v75, null, 0, v99, vcc_lo
	v_lshrrev_b32_e32 v73, v72, v73
; %bb.14637:                            ;   in Loop: Header=BB6_12577 Depth=3
	s_andn2_saveexec_b32 s16, s16
; %bb.14638:                            ;   in Loop: Header=BB6_12577 Depth=3
	v_bfe_u32 v75, v73, 23, 1
; %bb.14639:                            ;   in Loop: Header=BB6_12577 Depth=3
	s_or_b32 exec_lo, exec_lo, s16
	v_and_b32_sdwa v99, v63, v117 dst_sel:DWORD dst_unused:UNUSED_PAD src0_sel:BYTE_3 src1_sel:DWORD
	v_lshrrev_b32_e32 v63, 21, v73
	v_min_i32_e32 v72, 31, v75
	v_cmp_gt_i32_e32 vcc_lo, 32, v75
	v_lshlrev_b32_e32 v72, 2, v72
	v_cndmask_b32_e32 v63, 3, v63, vcc_lo
	v_and_b32_e32 v72, 0xfc, v72
	v_or_b32_e32 v73, v75, v63
	v_and_b32_e32 v63, 3, v63
	v_cmp_ne_u32_e32 vcc_lo, 0, v73
	v_or3_b32 v99, v99, v72, v63
	v_lshlrev_b32_e32 v99, 8, v99
	v_cndmask_b32_e32 v99, 0, v99, vcc_lo
.LBB6_14640:                            ;   in Loop: Header=BB6_12577 Depth=3
	s_or_b32 exec_lo, exec_lo, s72
.LBB6_14641:                            ;   in Loop: Header=BB6_12577 Depth=3
	s_or_b32 exec_lo, exec_lo, s23
	v_or_b32_e32 v98, v98, v29
	s_mov_b32 s23, 0
	v_cmp_gt_i16_sdwa s16, v98, v116 src0_sel:BYTE_0 src1_sel:DWORD
	s_and_saveexec_b32 s72, s16
	s_xor_b32 s16, exec_lo, s72
	s_cbranch_execz .LBB6_15119
; %bb.14642:                            ;   in Loop: Header=BB6_12577 Depth=3
	v_cmp_eq_u16_sdwa s73, v98, v117 src0_sel:BYTE_0 src1_sel:DWORD
	s_mov_b32 s23, -1
	s_and_saveexec_b32 s72, s73
; %bb.14643:                            ;   in Loop: Header=BB6_12577 Depth=3
	s_xor_b32 s23, exec_lo, -1
; %bb.14644:                            ;   in Loop: Header=BB6_12577 Depth=3
	s_or_b32 exec_lo, exec_lo, s72
	s_and_b32 s23, s23, exec_lo
	s_or_saveexec_b32 s16, s16
	v_mov_b32_e32 v29, 0x7f800001
	s_xor_b32 exec_lo, exec_lo, s16
	s_cbranch_execnz .LBB6_15120
.LBB6_14645:                            ;   in Loop: Header=BB6_12577 Depth=3
	s_or_b32 exec_lo, exec_lo, s16
	v_lshl_or_b32 v98, v98, 16, v62
	s_and_saveexec_b32 s16, s23
	s_cbranch_execz .LBB6_14647
.LBB6_14646:                            ;   in Loop: Header=BB6_12577 Depth=3
	v_bfe_u32 v29, v98, 16, 2
	v_bfe_u32 v62, v98, 18, 5
	v_ffbh_u32_e32 v63, v29
	v_cmp_eq_u32_e32 vcc_lo, 0, v62
	v_min_u32_e32 v63, 32, v63
	v_subrev_nc_u32_e32 v72, 29, v63
	v_sub_nc_u32_e32 v63, 30, v63
	v_lshlrev_b32_sdwa v72, v72, v98 dst_sel:DWORD dst_unused:UNUSED_PAD src0_sel:DWORD src1_sel:WORD_1
	v_cndmask_b32_e32 v62, v62, v63, vcc_lo
	v_lshlrev_b32_e32 v63, 8, v98
	v_and_b32_e32 v72, 3, v72
	v_lshl_add_u32 v62, v62, 23, 0x37800000
	v_and_b32_e32 v63, 0x80000000, v63
	v_cndmask_b32_e32 v29, v29, v72, vcc_lo
	v_lshlrev_b32_e32 v29, 21, v29
	v_or3_b32 v29, v63, v62, v29
.LBB6_14647:                            ;   in Loop: Header=BB6_12577 Depth=3
	s_or_b32 exec_lo, exec_lo, s16
	v_and_b32_sdwa v63, v10, v40 dst_sel:DWORD dst_unused:UNUSED_PAD src0_sel:WORD_1 src1_sel:DWORD
	s_mov_b32 s23, 0
	s_mov_b32 s16, exec_lo
	v_cmpx_lt_i16_e32 0x7f, v63
	s_xor_b32 s16, exec_lo, s16
	s_cbranch_execz .LBB6_15121
; %bb.14648:                            ;   in Loop: Header=BB6_12577 Depth=3
	s_mov_b32 s23, -1
	s_mov_b32 s72, exec_lo
	v_cmpx_eq_u16_e32 0x80, v63
; %bb.14649:                            ;   in Loop: Header=BB6_12577 Depth=3
	s_xor_b32 s23, exec_lo, -1
; %bb.14650:                            ;   in Loop: Header=BB6_12577 Depth=3
	s_or_b32 exec_lo, exec_lo, s72
	s_and_b32 s23, s23, exec_lo
                                        ; implicit-def: $vgpr63
	s_or_saveexec_b32 s16, s16
	v_mov_b32_e32 v62, 0x7f800001
	s_xor_b32 exec_lo, exec_lo, s16
	s_cbranch_execnz .LBB6_15122
.LBB6_14651:                            ;   in Loop: Header=BB6_12577 Depth=3
	s_or_b32 exec_lo, exec_lo, s16
	s_and_saveexec_b32 s16, s23
	s_cbranch_execz .LBB6_14653
.LBB6_14652:                            ;   in Loop: Header=BB6_12577 Depth=3
	v_bfe_u32 v62, v10, 16, 2
	v_bfe_u32 v63, v10, 18, 5
	v_ffbh_u32_e32 v72, v62
	v_cmp_eq_u32_e32 vcc_lo, 0, v63
	v_min_u32_e32 v72, 32, v72
	v_subrev_nc_u32_e32 v73, 29, v72
	v_sub_nc_u32_e32 v72, 30, v72
	v_lshlrev_b32_sdwa v73, v73, v10 dst_sel:DWORD dst_unused:UNUSED_PAD src0_sel:DWORD src1_sel:WORD_1
	v_cndmask_b32_e32 v63, v63, v72, vcc_lo
	v_lshlrev_b32_e32 v72, 8, v10
	v_and_b32_e32 v73, 3, v73
	v_lshl_add_u32 v63, v63, 23, 0x37800000
	v_and_b32_e32 v72, 0x80000000, v72
	v_cndmask_b32_e32 v62, v62, v73, vcc_lo
	v_lshlrev_b32_e32 v62, 21, v62
	v_or3_b32 v62, v72, v63, v62
.LBB6_14653:                            ;   in Loop: Header=BB6_12577 Depth=3
	s_or_b32 exec_lo, exec_lo, s16
	v_add_f32_e32 v62, v29, v62
	v_and_b32_e32 v29, 0x7f800000, v62
	v_cmp_ne_u32_e32 vcc_lo, 0x7f800000, v29
	v_mov_b32_e32 v29, 0x80
	s_and_saveexec_b32 s23, vcc_lo
	s_cbranch_execz .LBB6_14661
; %bb.14654:                            ;   in Loop: Header=BB6_12577 Depth=3
	v_mov_b32_e32 v29, 0
	s_mov_b32 s72, exec_lo
	v_cmpx_ne_u32_e32 0, v62
	s_cbranch_execz .LBB6_14660
; %bb.14655:                            ;   in Loop: Header=BB6_12577 Depth=3
	v_bfe_u32 v63, v62, 23, 8
	v_and_b32_e32 v29, 0x7fffff, v62
	v_cmp_gt_u32_e64 s16, 0x71, v63
	v_sub_nc_u32_e32 v72, 0x70, v63
	v_cmp_eq_u32_e32 vcc_lo, 0, v63
	v_or_b32_e32 v73, 0x800000, v29
	v_cndmask_b32_e64 v72, 0, v72, s16
	v_cndmask_b32_e32 v29, v73, v29, vcc_lo
	v_cndmask_b32_e64 v72, v72, 0x6f, vcc_lo
	v_lshl_add_u32 v73, 0x200000, v72, -1
	v_lshlrev_b32_e64 v75, v72, 0x100000
	v_and_b32_e32 v73, v73, v29
	v_cmp_eq_u32_e64 s16, v73, v75
	v_lshrrev_b32_e32 v73, v72, v29
	v_add_nc_u32_e32 v29, 0xffffff91, v63
	v_lshrrev_b32_e32 v63, 23, v73
	v_cndmask_b32_e64 v29, v29, 0xffffff92, vcc_lo
	v_xor_b32_e32 v63, 1, v63
	v_add_nc_u32_e32 v29, v72, v29
	v_bfe_u32 v72, v73, 21, 1
	v_add_nc_u32_e32 v72, -1, v72
	v_cndmask_b32_e64 v72, 0, v72, s16
	s_mov_b32 s16, exec_lo
	v_add_nc_u32_e32 v72, v72, v73
	v_and_b32_e32 v72, 0x1fffff, v72
	v_add_nc_u32_e32 v72, v72, v73
                                        ; implicit-def: $vgpr73
	v_cmpx_ne_u32_e64 v29, v63
	s_xor_b32 s16, exec_lo, s16
; %bb.14656:                            ;   in Loop: Header=BB6_12577 Depth=3
	v_cmp_lt_u32_e32 vcc_lo, 0xffffff, v72
	v_sub_nc_u32_e32 v29, v29, v63
	v_cndmask_b32_e64 v63, 0, 1, vcc_lo
	v_add_co_ci_u32_e64 v73, null, 0, v29, vcc_lo
	v_lshrrev_b32_e32 v72, v63, v72
; %bb.14657:                            ;   in Loop: Header=BB6_12577 Depth=3
	s_andn2_saveexec_b32 s16, s16
; %bb.14658:                            ;   in Loop: Header=BB6_12577 Depth=3
	v_bfe_u32 v73, v72, 23, 1
; %bb.14659:                            ;   in Loop: Header=BB6_12577 Depth=3
	s_or_b32 exec_lo, exec_lo, s16
	v_and_b32_sdwa v29, v62, v117 dst_sel:DWORD dst_unused:UNUSED_PAD src0_sel:BYTE_3 src1_sel:DWORD
	v_lshrrev_b32_e32 v62, 21, v72
	v_min_i32_e32 v63, 31, v73
	v_cmp_gt_i32_e32 vcc_lo, 32, v73
	v_lshlrev_b32_e32 v63, 2, v63
	v_cndmask_b32_e32 v62, 3, v62, vcc_lo
	v_and_b32_e32 v63, 0xfc, v63
	v_or_b32_e32 v72, v73, v62
	v_and_b32_e32 v62, 3, v62
	v_cmp_ne_u32_e32 vcc_lo, 0, v72
	v_or3_b32 v29, v63, v29, v62
	v_cndmask_b32_e32 v29, 0, v29, vcc_lo
.LBB6_14660:                            ;   in Loop: Header=BB6_12577 Depth=3
	s_or_b32 exec_lo, exec_lo, s72
.LBB6_14661:                            ;   in Loop: Header=BB6_12577 Depth=3
	s_or_b32 exec_lo, exec_lo, s23
	v_cmp_gt_i16_sdwa s23, v98, v116 src0_sel:BYTE_3 src1_sel:DWORD
	s_mov_b32 s16, 0
	s_and_saveexec_b32 s72, s23
	s_xor_b32 s23, exec_lo, s72
	s_cbranch_execz .LBB6_15123
; %bb.14662:                            ;   in Loop: Header=BB6_12577 Depth=3
	v_cmp_eq_u16_sdwa s73, v98, v117 src0_sel:BYTE_3 src1_sel:DWORD
	s_mov_b32 s16, -1
	s_and_saveexec_b32 s72, s73
; %bb.14663:                            ;   in Loop: Header=BB6_12577 Depth=3
	s_xor_b32 s16, exec_lo, -1
; %bb.14664:                            ;   in Loop: Header=BB6_12577 Depth=3
	s_or_b32 exec_lo, exec_lo, s72
	s_and_b32 s16, s16, exec_lo
	s_or_saveexec_b32 s23, s23
	v_mov_b32_e32 v62, 0x7f800001
	s_xor_b32 exec_lo, exec_lo, s23
	s_cbranch_execnz .LBB6_15124
.LBB6_14665:                            ;   in Loop: Header=BB6_12577 Depth=3
	s_or_b32 exec_lo, exec_lo, s23
	s_and_saveexec_b32 s23, s16
	s_cbranch_execz .LBB6_14667
.LBB6_14666:                            ;   in Loop: Header=BB6_12577 Depth=3
	v_bfe_u32 v62, v98, 24, 2
	v_bfe_u32 v73, v98, 26, 5
	v_ffbh_u32_e32 v63, v62
	v_cmp_eq_u32_e32 vcc_lo, 0, v73
	v_min_u32_e32 v63, 32, v63
	v_subrev_nc_u32_e32 v72, 29, v63
	v_sub_nc_u32_e32 v63, 30, v63
	v_lshlrev_b32_sdwa v72, v72, v98 dst_sel:DWORD dst_unused:UNUSED_PAD src0_sel:DWORD src1_sel:BYTE_3
	v_cndmask_b32_e32 v63, v73, v63, vcc_lo
	v_and_b32_e32 v98, 0x80000000, v98
	v_and_b32_e32 v72, 3, v72
	v_lshl_add_u32 v63, v63, 23, 0x37800000
	v_cndmask_b32_e32 v62, v62, v72, vcc_lo
	v_lshlrev_b32_e32 v62, 21, v62
	v_or3_b32 v62, v98, v63, v62
.LBB6_14667:                            ;   in Loop: Header=BB6_12577 Depth=3
	s_or_b32 exec_lo, exec_lo, s23
	v_cmp_gt_i16_sdwa s23, v10, v116 src0_sel:BYTE_3 src1_sel:DWORD
	s_mov_b32 s16, 0
	s_and_saveexec_b32 s72, s23
	s_xor_b32 s23, exec_lo, s72
	s_cbranch_execz .LBB6_15125
; %bb.14668:                            ;   in Loop: Header=BB6_12577 Depth=3
	v_cmp_eq_u16_sdwa s73, v10, v117 src0_sel:BYTE_3 src1_sel:DWORD
	s_mov_b32 s16, -1
	s_and_saveexec_b32 s72, s73
; %bb.14669:                            ;   in Loop: Header=BB6_12577 Depth=3
	s_xor_b32 s16, exec_lo, -1
; %bb.14670:                            ;   in Loop: Header=BB6_12577 Depth=3
	s_or_b32 exec_lo, exec_lo, s72
	s_and_b32 s16, s16, exec_lo
	s_or_saveexec_b32 s23, s23
	v_mov_b32_e32 v98, 0x7f800001
	s_xor_b32 exec_lo, exec_lo, s23
	s_cbranch_execnz .LBB6_15126
.LBB6_14671:                            ;   in Loop: Header=BB6_12577 Depth=3
	s_or_b32 exec_lo, exec_lo, s23
	s_and_saveexec_b32 s23, s16
	s_cbranch_execz .LBB6_14673
.LBB6_14672:                            ;   in Loop: Header=BB6_12577 Depth=3
	v_bfe_u32 v98, v10, 24, 2
	v_bfe_u32 v73, v10, 26, 5
	v_ffbh_u32_e32 v63, v98
	v_cmp_eq_u32_e32 vcc_lo, 0, v73
	v_min_u32_e32 v63, 32, v63
	v_subrev_nc_u32_e32 v72, 29, v63
	v_sub_nc_u32_e32 v63, 30, v63
	v_lshlrev_b32_sdwa v72, v72, v10 dst_sel:DWORD dst_unused:UNUSED_PAD src0_sel:DWORD src1_sel:BYTE_3
	v_cndmask_b32_e32 v63, v73, v63, vcc_lo
	v_and_b32_e32 v10, 0x80000000, v10
	v_and_b32_e32 v72, 3, v72
	v_lshl_add_u32 v63, v63, 23, 0x37800000
	v_cndmask_b32_e32 v98, v98, v72, vcc_lo
	v_lshlrev_b32_e32 v98, 21, v98
	v_or3_b32 v98, v10, v63, v98
.LBB6_14673:                            ;   in Loop: Header=BB6_12577 Depth=3
	s_or_b32 exec_lo, exec_lo, s23
	v_add_f32_e32 v98, v62, v98
	v_and_b32_e32 v10, 0x7f800000, v98
	v_cmp_ne_u32_e32 vcc_lo, 0x7f800000, v10
	v_mov_b32_e32 v10, 0x8000
	s_and_saveexec_b32 s23, vcc_lo
	s_cbranch_execz .LBB6_14681
; %bb.14674:                            ;   in Loop: Header=BB6_12577 Depth=3
	v_mov_b32_e32 v10, 0
	s_mov_b32 s72, exec_lo
	v_cmpx_ne_u32_e32 0, v98
	s_cbranch_execz .LBB6_14680
; %bb.14675:                            ;   in Loop: Header=BB6_12577 Depth=3
	v_bfe_u32 v62, v98, 23, 8
	v_and_b32_e32 v10, 0x7fffff, v98
	v_cmp_gt_u32_e64 s16, 0x71, v62
	v_sub_nc_u32_e32 v63, 0x70, v62
	v_cmp_eq_u32_e32 vcc_lo, 0, v62
	v_or_b32_e32 v72, 0x800000, v10
	v_cndmask_b32_e64 v63, 0, v63, s16
	v_cndmask_b32_e32 v10, v72, v10, vcc_lo
	v_cndmask_b32_e64 v63, v63, 0x6f, vcc_lo
	v_lshl_add_u32 v72, 0x200000, v63, -1
	v_lshlrev_b32_e64 v73, v63, 0x100000
	v_and_b32_e32 v72, v72, v10
	v_cmp_eq_u32_e64 s16, v72, v73
	v_lshrrev_b32_e32 v72, v63, v10
	v_add_nc_u32_e32 v10, 0xffffff91, v62
	v_lshrrev_b32_e32 v62, 23, v72
	v_cndmask_b32_e64 v10, v10, 0xffffff92, vcc_lo
	v_xor_b32_e32 v62, 1, v62
	v_add_nc_u32_e32 v10, v63, v10
	v_bfe_u32 v63, v72, 21, 1
	v_add_nc_u32_e32 v63, -1, v63
	v_cndmask_b32_e64 v63, 0, v63, s16
	s_mov_b32 s16, exec_lo
	v_add_nc_u32_e32 v63, v63, v72
	v_and_b32_e32 v63, 0x1fffff, v63
	v_add_nc_u32_e32 v63, v63, v72
                                        ; implicit-def: $vgpr72
	v_cmpx_ne_u32_e64 v10, v62
	s_xor_b32 s16, exec_lo, s16
; %bb.14676:                            ;   in Loop: Header=BB6_12577 Depth=3
	v_cmp_lt_u32_e32 vcc_lo, 0xffffff, v63
	v_sub_nc_u32_e32 v10, v10, v62
	v_cndmask_b32_e64 v62, 0, 1, vcc_lo
	v_add_co_ci_u32_e64 v72, null, 0, v10, vcc_lo
	v_lshrrev_b32_e32 v63, v62, v63
; %bb.14677:                            ;   in Loop: Header=BB6_12577 Depth=3
	s_andn2_saveexec_b32 s16, s16
; %bb.14678:                            ;   in Loop: Header=BB6_12577 Depth=3
	v_bfe_u32 v72, v63, 23, 1
; %bb.14679:                            ;   in Loop: Header=BB6_12577 Depth=3
	s_or_b32 exec_lo, exec_lo, s16
	v_and_b32_sdwa v10, v98, v117 dst_sel:DWORD dst_unused:UNUSED_PAD src0_sel:BYTE_3 src1_sel:DWORD
	v_lshrrev_b32_e32 v98, 21, v63
	v_min_i32_e32 v62, 31, v72
	v_cmp_gt_i32_e32 vcc_lo, 32, v72
	v_lshlrev_b32_e32 v62, 2, v62
	v_cndmask_b32_e32 v98, 3, v98, vcc_lo
	v_and_b32_e32 v62, 0xfc, v62
	v_or_b32_e32 v63, v72, v98
	v_and_b32_e32 v98, 3, v98
	v_cmp_ne_u32_e32 vcc_lo, 0, v63
	v_or3_b32 v10, v10, v62, v98
	v_lshlrev_b32_e32 v10, 8, v10
	v_cndmask_b32_e32 v10, 0, v10, vcc_lo
.LBB6_14680:                            ;   in Loop: Header=BB6_12577 Depth=3
	s_or_b32 exec_lo, exec_lo, s72
.LBB6_14681:                            ;   in Loop: Header=BB6_12577 Depth=3
	s_or_b32 exec_lo, exec_lo, s23
	v_or_b32_e32 v98, v30, v25
	s_mov_b32 s23, 0
	v_cmp_gt_i16_sdwa s16, v98, v116 src0_sel:BYTE_0 src1_sel:DWORD
	s_and_saveexec_b32 s72, s16
	s_xor_b32 s16, exec_lo, s72
	s_cbranch_execz .LBB6_15127
; %bb.14682:                            ;   in Loop: Header=BB6_12577 Depth=3
	v_cmp_eq_u16_sdwa s73, v98, v117 src0_sel:BYTE_0 src1_sel:DWORD
	s_mov_b32 s23, -1
	s_and_saveexec_b32 s72, s73
; %bb.14683:                            ;   in Loop: Header=BB6_12577 Depth=3
	s_xor_b32 s23, exec_lo, -1
; %bb.14684:                            ;   in Loop: Header=BB6_12577 Depth=3
	s_or_b32 exec_lo, exec_lo, s72
	s_and_b32 s23, s23, exec_lo
	s_or_saveexec_b32 s16, s16
	v_mov_b32_e32 v25, 0x7f800001
	s_xor_b32 exec_lo, exec_lo, s16
	s_cbranch_execnz .LBB6_15128
.LBB6_14685:                            ;   in Loop: Header=BB6_12577 Depth=3
	s_or_b32 exec_lo, exec_lo, s16
	s_and_saveexec_b32 s16, s23
	s_cbranch_execz .LBB6_14687
.LBB6_14686:                            ;   in Loop: Header=BB6_12577 Depth=3
	v_and_b32_e32 v25, 3, v98
	v_bfe_u32 v30, v98, 2, 5
	v_ffbh_u32_e32 v62, v25
	v_cmp_eq_u32_e32 vcc_lo, 0, v30
	v_min_u32_e32 v62, 32, v62
	v_subrev_nc_u32_e32 v63, 29, v62
	v_sub_nc_u32_e32 v62, 30, v62
	v_lshlrev_b32_e32 v63, v63, v98
	v_cndmask_b32_e32 v30, v30, v62, vcc_lo
	v_lshlrev_b32_e32 v62, 24, v98
	v_and_b32_e32 v63, 3, v63
	v_lshl_add_u32 v30, v30, 23, 0x37800000
	v_and_b32_e32 v62, 0x80000000, v62
	v_cndmask_b32_e32 v25, v25, v63, vcc_lo
	v_lshlrev_b32_e32 v25, 21, v25
	v_or3_b32 v25, v62, v30, v25
.LBB6_14687:                            ;   in Loop: Header=BB6_12577 Depth=3
	s_or_b32 exec_lo, exec_lo, s16
	v_cmp_gt_i16_sdwa s16, v11, v116 src0_sel:BYTE_0 src1_sel:DWORD
	s_mov_b32 s23, 0
	s_and_saveexec_b32 s72, s16
	s_xor_b32 s16, exec_lo, s72
	s_cbranch_execz .LBB6_15129
; %bb.14688:                            ;   in Loop: Header=BB6_12577 Depth=3
	v_cmp_eq_u16_sdwa s73, v11, v117 src0_sel:BYTE_0 src1_sel:DWORD
	s_mov_b32 s23, -1
	s_and_saveexec_b32 s72, s73
; %bb.14689:                            ;   in Loop: Header=BB6_12577 Depth=3
	s_xor_b32 s23, exec_lo, -1
; %bb.14690:                            ;   in Loop: Header=BB6_12577 Depth=3
	s_or_b32 exec_lo, exec_lo, s72
	s_and_b32 s23, s23, exec_lo
	s_or_saveexec_b32 s16, s16
	v_mov_b32_e32 v30, 0x7f800001
	s_xor_b32 exec_lo, exec_lo, s16
	s_cbranch_execnz .LBB6_15130
.LBB6_14691:                            ;   in Loop: Header=BB6_12577 Depth=3
	s_or_b32 exec_lo, exec_lo, s16
	s_and_saveexec_b32 s16, s23
	s_cbranch_execz .LBB6_14693
.LBB6_14692:                            ;   in Loop: Header=BB6_12577 Depth=3
	v_and_b32_e32 v30, 3, v11
	v_bfe_u32 v62, v11, 2, 5
	v_ffbh_u32_e32 v63, v30
	v_cmp_eq_u32_e32 vcc_lo, 0, v62
	v_min_u32_e32 v63, 32, v63
	v_subrev_nc_u32_e32 v72, 29, v63
	v_sub_nc_u32_e32 v63, 30, v63
	v_lshlrev_b32_e32 v72, v72, v11
	v_cndmask_b32_e32 v62, v62, v63, vcc_lo
	v_lshlrev_b32_e32 v63, 24, v11
	v_and_b32_e32 v72, 3, v72
	v_lshl_add_u32 v62, v62, 23, 0x37800000
	v_and_b32_e32 v63, 0x80000000, v63
	v_cndmask_b32_e32 v30, v30, v72, vcc_lo
	v_lshlrev_b32_e32 v30, 21, v30
	v_or3_b32 v30, v63, v62, v30
.LBB6_14693:                            ;   in Loop: Header=BB6_12577 Depth=3
	s_or_b32 exec_lo, exec_lo, s16
	v_add_f32_e32 v30, v25, v30
	v_and_b32_e32 v25, 0x7f800000, v30
	v_cmp_ne_u32_e32 vcc_lo, 0x7f800000, v25
	v_mov_b32_e32 v25, 0x80
	s_and_saveexec_b32 s23, vcc_lo
	s_cbranch_execz .LBB6_14701
; %bb.14694:                            ;   in Loop: Header=BB6_12577 Depth=3
	v_mov_b32_e32 v25, 0
	s_mov_b32 s72, exec_lo
	v_cmpx_ne_u32_e32 0, v30
	s_cbranch_execz .LBB6_14700
; %bb.14695:                            ;   in Loop: Header=BB6_12577 Depth=3
	v_bfe_u32 v62, v30, 23, 8
	v_and_b32_e32 v25, 0x7fffff, v30
	v_cmp_gt_u32_e64 s16, 0x71, v62
	v_sub_nc_u32_e32 v63, 0x70, v62
	v_cmp_eq_u32_e32 vcc_lo, 0, v62
	v_or_b32_e32 v72, 0x800000, v25
	v_cndmask_b32_e64 v63, 0, v63, s16
	v_cndmask_b32_e32 v25, v72, v25, vcc_lo
	v_cndmask_b32_e64 v63, v63, 0x6f, vcc_lo
	v_lshl_add_u32 v72, 0x200000, v63, -1
	v_lshlrev_b32_e64 v73, v63, 0x100000
	v_and_b32_e32 v72, v72, v25
	v_cmp_eq_u32_e64 s16, v72, v73
	v_lshrrev_b32_e32 v72, v63, v25
	v_add_nc_u32_e32 v25, 0xffffff91, v62
	v_lshrrev_b32_e32 v62, 23, v72
	v_cndmask_b32_e64 v25, v25, 0xffffff92, vcc_lo
	v_xor_b32_e32 v62, 1, v62
	v_add_nc_u32_e32 v25, v63, v25
	v_bfe_u32 v63, v72, 21, 1
	v_add_nc_u32_e32 v63, -1, v63
	v_cndmask_b32_e64 v63, 0, v63, s16
	s_mov_b32 s16, exec_lo
	v_add_nc_u32_e32 v63, v63, v72
	v_and_b32_e32 v63, 0x1fffff, v63
	v_add_nc_u32_e32 v63, v63, v72
                                        ; implicit-def: $vgpr72
	v_cmpx_ne_u32_e64 v25, v62
	s_xor_b32 s16, exec_lo, s16
; %bb.14696:                            ;   in Loop: Header=BB6_12577 Depth=3
	v_cmp_lt_u32_e32 vcc_lo, 0xffffff, v63
	v_sub_nc_u32_e32 v25, v25, v62
	v_cndmask_b32_e64 v62, 0, 1, vcc_lo
	v_add_co_ci_u32_e64 v72, null, 0, v25, vcc_lo
	v_lshrrev_b32_e32 v63, v62, v63
; %bb.14697:                            ;   in Loop: Header=BB6_12577 Depth=3
	s_andn2_saveexec_b32 s16, s16
; %bb.14698:                            ;   in Loop: Header=BB6_12577 Depth=3
	v_bfe_u32 v72, v63, 23, 1
; %bb.14699:                            ;   in Loop: Header=BB6_12577 Depth=3
	s_or_b32 exec_lo, exec_lo, s16
	v_and_b32_sdwa v25, v30, v117 dst_sel:DWORD dst_unused:UNUSED_PAD src0_sel:BYTE_3 src1_sel:DWORD
	v_lshrrev_b32_e32 v30, 21, v63
	v_min_i32_e32 v62, 31, v72
	v_cmp_gt_i32_e32 vcc_lo, 32, v72
	v_lshlrev_b32_e32 v62, 2, v62
	v_cndmask_b32_e32 v30, 3, v30, vcc_lo
	v_and_b32_e32 v62, 0xfc, v62
	v_or_b32_e32 v63, v72, v30
	v_and_b32_e32 v30, 3, v30
	v_cmp_ne_u32_e32 vcc_lo, 0, v63
	v_or3_b32 v25, v62, v25, v30
	v_cndmask_b32_e32 v25, 0, v25, vcc_lo
.LBB6_14700:                            ;   in Loop: Header=BB6_12577 Depth=3
	s_or_b32 exec_lo, exec_lo, s72
.LBB6_14701:                            ;   in Loop: Header=BB6_12577 Depth=3
	s_or_b32 exec_lo, exec_lo, s23
	v_cmp_gt_i16_sdwa s23, v98, v116 src0_sel:BYTE_1 src1_sel:DWORD
	s_mov_b32 s16, 0
	s_and_saveexec_b32 s72, s23
	s_xor_b32 s23, exec_lo, s72
	s_cbranch_execz .LBB6_15131
; %bb.14702:                            ;   in Loop: Header=BB6_12577 Depth=3
	v_cmp_eq_u16_sdwa s73, v98, v117 src0_sel:BYTE_1 src1_sel:DWORD
	s_mov_b32 s16, -1
	s_and_saveexec_b32 s72, s73
; %bb.14703:                            ;   in Loop: Header=BB6_12577 Depth=3
	s_xor_b32 s16, exec_lo, -1
; %bb.14704:                            ;   in Loop: Header=BB6_12577 Depth=3
	s_or_b32 exec_lo, exec_lo, s72
	s_and_b32 s16, s16, exec_lo
	s_or_saveexec_b32 s23, s23
	v_mov_b32_e32 v30, 0x7f800001
	s_xor_b32 exec_lo, exec_lo, s23
	s_cbranch_execnz .LBB6_15132
.LBB6_14705:                            ;   in Loop: Header=BB6_12577 Depth=3
	s_or_b32 exec_lo, exec_lo, s23
	s_and_saveexec_b32 s23, s16
	s_cbranch_execz .LBB6_14707
.LBB6_14706:                            ;   in Loop: Header=BB6_12577 Depth=3
	v_and_b32_sdwa v30, v118, v98 dst_sel:DWORD dst_unused:UNUSED_PAD src0_sel:DWORD src1_sel:BYTE_1
	v_and_b32_e32 v62, 3, v30
	v_bfe_u32 v73, v30, 2, 5
	v_ffbh_u32_e32 v63, v62
	v_cmp_eq_u32_e32 vcc_lo, 0, v73
	v_min_u32_e32 v63, 32, v63
	v_subrev_nc_u32_e32 v72, 29, v63
	v_sub_nc_u32_e32 v63, 30, v63
	v_lshlrev_b32_e32 v30, v72, v30
	v_lshlrev_b32_sdwa v72, v119, v98 dst_sel:DWORD dst_unused:UNUSED_PAD src0_sel:DWORD src1_sel:BYTE_1
	v_cndmask_b32_e32 v63, v73, v63, vcc_lo
	v_and_b32_e32 v30, 3, v30
	v_lshl_add_u32 v63, v63, 23, 0x37800000
	v_cndmask_b32_e32 v30, v62, v30, vcc_lo
	v_and_b32_e32 v62, 0x80000000, v72
	v_lshlrev_b32_e32 v30, 21, v30
	v_or3_b32 v30, v62, v63, v30
.LBB6_14707:                            ;   in Loop: Header=BB6_12577 Depth=3
	s_or_b32 exec_lo, exec_lo, s23
	v_cmp_gt_i16_sdwa s23, v11, v116 src0_sel:BYTE_1 src1_sel:DWORD
	s_mov_b32 s16, 0
	s_and_saveexec_b32 s72, s23
	s_xor_b32 s23, exec_lo, s72
	s_cbranch_execz .LBB6_15133
; %bb.14708:                            ;   in Loop: Header=BB6_12577 Depth=3
	v_cmp_eq_u16_sdwa s73, v11, v117 src0_sel:BYTE_1 src1_sel:DWORD
	s_mov_b32 s16, -1
	s_and_saveexec_b32 s72, s73
; %bb.14709:                            ;   in Loop: Header=BB6_12577 Depth=3
	s_xor_b32 s16, exec_lo, -1
; %bb.14710:                            ;   in Loop: Header=BB6_12577 Depth=3
	s_or_b32 exec_lo, exec_lo, s72
	s_and_b32 s16, s16, exec_lo
	s_or_saveexec_b32 s23, s23
	v_mov_b32_e32 v62, 0x7f800001
	s_xor_b32 exec_lo, exec_lo, s23
	s_cbranch_execnz .LBB6_15134
.LBB6_14711:                            ;   in Loop: Header=BB6_12577 Depth=3
	s_or_b32 exec_lo, exec_lo, s23
	s_and_saveexec_b32 s23, s16
	s_cbranch_execz .LBB6_14713
.LBB6_14712:                            ;   in Loop: Header=BB6_12577 Depth=3
	v_and_b32_sdwa v62, v118, v11 dst_sel:DWORD dst_unused:UNUSED_PAD src0_sel:DWORD src1_sel:BYTE_1
	v_and_b32_e32 v63, 3, v62
	v_bfe_u32 v75, v62, 2, 5
	v_ffbh_u32_e32 v72, v63
	v_cmp_eq_u32_e32 vcc_lo, 0, v75
	v_min_u32_e32 v72, 32, v72
	v_subrev_nc_u32_e32 v73, 29, v72
	v_sub_nc_u32_e32 v72, 30, v72
	v_lshlrev_b32_e32 v62, v73, v62
	v_lshlrev_b32_sdwa v73, v119, v11 dst_sel:DWORD dst_unused:UNUSED_PAD src0_sel:DWORD src1_sel:BYTE_1
	v_cndmask_b32_e32 v72, v75, v72, vcc_lo
	v_and_b32_e32 v62, 3, v62
	v_lshl_add_u32 v72, v72, 23, 0x37800000
	v_cndmask_b32_e32 v62, v63, v62, vcc_lo
	v_and_b32_e32 v63, 0x80000000, v73
	v_lshlrev_b32_e32 v62, 21, v62
	v_or3_b32 v62, v63, v72, v62
.LBB6_14713:                            ;   in Loop: Header=BB6_12577 Depth=3
	s_or_b32 exec_lo, exec_lo, s23
	v_add_f32_e32 v62, v30, v62
	v_and_b32_e32 v30, 0x7f800000, v62
	v_cmp_ne_u32_e32 vcc_lo, 0x7f800000, v30
	v_mov_b32_e32 v30, 0x8000
	s_and_saveexec_b32 s23, vcc_lo
	s_cbranch_execz .LBB6_14721
; %bb.14714:                            ;   in Loop: Header=BB6_12577 Depth=3
	v_mov_b32_e32 v30, 0
	s_mov_b32 s72, exec_lo
	v_cmpx_ne_u32_e32 0, v62
	s_cbranch_execz .LBB6_14720
; %bb.14715:                            ;   in Loop: Header=BB6_12577 Depth=3
	v_bfe_u32 v63, v62, 23, 8
	v_and_b32_e32 v30, 0x7fffff, v62
	v_cmp_gt_u32_e64 s16, 0x71, v63
	v_sub_nc_u32_e32 v72, 0x70, v63
	v_cmp_eq_u32_e32 vcc_lo, 0, v63
	v_or_b32_e32 v73, 0x800000, v30
	v_cndmask_b32_e64 v72, 0, v72, s16
	v_cndmask_b32_e32 v30, v73, v30, vcc_lo
	v_cndmask_b32_e64 v72, v72, 0x6f, vcc_lo
	v_lshl_add_u32 v73, 0x200000, v72, -1
	v_lshlrev_b32_e64 v75, v72, 0x100000
	v_and_b32_e32 v73, v73, v30
	v_cmp_eq_u32_e64 s16, v73, v75
	v_lshrrev_b32_e32 v73, v72, v30
	v_add_nc_u32_e32 v30, 0xffffff91, v63
	v_lshrrev_b32_e32 v63, 23, v73
	v_cndmask_b32_e64 v30, v30, 0xffffff92, vcc_lo
	v_xor_b32_e32 v63, 1, v63
	v_add_nc_u32_e32 v30, v72, v30
	v_bfe_u32 v72, v73, 21, 1
	v_add_nc_u32_e32 v72, -1, v72
	v_cndmask_b32_e64 v72, 0, v72, s16
	s_mov_b32 s16, exec_lo
	v_add_nc_u32_e32 v72, v72, v73
	v_and_b32_e32 v72, 0x1fffff, v72
	v_add_nc_u32_e32 v72, v72, v73
                                        ; implicit-def: $vgpr73
	v_cmpx_ne_u32_e64 v30, v63
	s_xor_b32 s16, exec_lo, s16
; %bb.14716:                            ;   in Loop: Header=BB6_12577 Depth=3
	v_cmp_lt_u32_e32 vcc_lo, 0xffffff, v72
	v_sub_nc_u32_e32 v30, v30, v63
	v_cndmask_b32_e64 v63, 0, 1, vcc_lo
	v_add_co_ci_u32_e64 v73, null, 0, v30, vcc_lo
	v_lshrrev_b32_e32 v72, v63, v72
; %bb.14717:                            ;   in Loop: Header=BB6_12577 Depth=3
	s_andn2_saveexec_b32 s16, s16
; %bb.14718:                            ;   in Loop: Header=BB6_12577 Depth=3
	v_bfe_u32 v73, v72, 23, 1
; %bb.14719:                            ;   in Loop: Header=BB6_12577 Depth=3
	s_or_b32 exec_lo, exec_lo, s16
	v_and_b32_sdwa v30, v62, v117 dst_sel:DWORD dst_unused:UNUSED_PAD src0_sel:BYTE_3 src1_sel:DWORD
	v_lshrrev_b32_e32 v62, 21, v72
	v_min_i32_e32 v63, 31, v73
	v_cmp_gt_i32_e32 vcc_lo, 32, v73
	v_lshlrev_b32_e32 v63, 2, v63
	v_cndmask_b32_e32 v62, 3, v62, vcc_lo
	v_and_b32_e32 v63, 0xfc, v63
	v_or_b32_e32 v72, v73, v62
	v_and_b32_e32 v62, 3, v62
	v_cmp_ne_u32_e32 vcc_lo, 0, v72
	v_or3_b32 v30, v30, v63, v62
	v_lshlrev_b32_e32 v30, 8, v30
	v_cndmask_b32_e32 v30, 0, v30, vcc_lo
.LBB6_14720:                            ;   in Loop: Header=BB6_12577 Depth=3
	s_or_b32 exec_lo, exec_lo, s72
.LBB6_14721:                            ;   in Loop: Header=BB6_12577 Depth=3
	s_or_b32 exec_lo, exec_lo, s23
	v_or_b32_e32 v28, v28, v24
	s_mov_b32 s23, 0
	v_cmp_gt_i16_sdwa s16, v28, v116 src0_sel:BYTE_0 src1_sel:DWORD
	s_and_saveexec_b32 s72, s16
	s_xor_b32 s16, exec_lo, s72
	s_cbranch_execz .LBB6_15135
; %bb.14722:                            ;   in Loop: Header=BB6_12577 Depth=3
	v_cmp_eq_u16_sdwa s73, v28, v117 src0_sel:BYTE_0 src1_sel:DWORD
	s_mov_b32 s23, -1
	s_and_saveexec_b32 s72, s73
; %bb.14723:                            ;   in Loop: Header=BB6_12577 Depth=3
	s_xor_b32 s23, exec_lo, -1
; %bb.14724:                            ;   in Loop: Header=BB6_12577 Depth=3
	s_or_b32 exec_lo, exec_lo, s72
	s_and_b32 s23, s23, exec_lo
	s_or_saveexec_b32 s16, s16
	v_mov_b32_e32 v24, 0x7f800001
	s_xor_b32 exec_lo, exec_lo, s16
	s_cbranch_execnz .LBB6_15136
.LBB6_14725:                            ;   in Loop: Header=BB6_12577 Depth=3
	s_or_b32 exec_lo, exec_lo, s16
	v_lshl_or_b32 v28, v28, 16, v98
	s_and_saveexec_b32 s16, s23
	s_cbranch_execz .LBB6_14727
.LBB6_14726:                            ;   in Loop: Header=BB6_12577 Depth=3
	v_bfe_u32 v24, v28, 16, 2
	v_bfe_u32 v98, v28, 18, 5
	v_ffbh_u32_e32 v62, v24
	v_cmp_eq_u32_e32 vcc_lo, 0, v98
	v_min_u32_e32 v62, 32, v62
	v_subrev_nc_u32_e32 v63, 29, v62
	v_sub_nc_u32_e32 v62, 30, v62
	v_lshlrev_b32_sdwa v63, v63, v28 dst_sel:DWORD dst_unused:UNUSED_PAD src0_sel:DWORD src1_sel:WORD_1
	v_cndmask_b32_e32 v98, v98, v62, vcc_lo
	v_lshlrev_b32_e32 v62, 8, v28
	v_and_b32_e32 v63, 3, v63
	v_lshl_add_u32 v98, v98, 23, 0x37800000
	v_and_b32_e32 v62, 0x80000000, v62
	v_cndmask_b32_e32 v24, v24, v63, vcc_lo
	v_lshlrev_b32_e32 v24, 21, v24
	v_or3_b32 v24, v62, v98, v24
.LBB6_14727:                            ;   in Loop: Header=BB6_12577 Depth=3
	s_or_b32 exec_lo, exec_lo, s16
	v_and_b32_sdwa v62, v11, v40 dst_sel:DWORD dst_unused:UNUSED_PAD src0_sel:WORD_1 src1_sel:DWORD
	s_mov_b32 s23, 0
	s_mov_b32 s16, exec_lo
	v_cmpx_lt_i16_e32 0x7f, v62
	s_xor_b32 s16, exec_lo, s16
	s_cbranch_execz .LBB6_15137
; %bb.14728:                            ;   in Loop: Header=BB6_12577 Depth=3
	s_mov_b32 s23, -1
	s_mov_b32 s72, exec_lo
	v_cmpx_eq_u16_e32 0x80, v62
; %bb.14729:                            ;   in Loop: Header=BB6_12577 Depth=3
	s_xor_b32 s23, exec_lo, -1
; %bb.14730:                            ;   in Loop: Header=BB6_12577 Depth=3
	s_or_b32 exec_lo, exec_lo, s72
	s_and_b32 s23, s23, exec_lo
                                        ; implicit-def: $vgpr62
	s_or_saveexec_b32 s16, s16
	v_mov_b32_e32 v98, 0x7f800001
	s_xor_b32 exec_lo, exec_lo, s16
	s_cbranch_execnz .LBB6_15138
.LBB6_14731:                            ;   in Loop: Header=BB6_12577 Depth=3
	s_or_b32 exec_lo, exec_lo, s16
	s_and_saveexec_b32 s16, s23
	s_cbranch_execz .LBB6_14733
.LBB6_14732:                            ;   in Loop: Header=BB6_12577 Depth=3
	v_bfe_u32 v98, v11, 16, 2
	v_bfe_u32 v62, v11, 18, 5
	v_ffbh_u32_e32 v63, v98
	v_cmp_eq_u32_e32 vcc_lo, 0, v62
	v_min_u32_e32 v63, 32, v63
	v_subrev_nc_u32_e32 v72, 29, v63
	v_sub_nc_u32_e32 v63, 30, v63
	v_lshlrev_b32_sdwa v72, v72, v11 dst_sel:DWORD dst_unused:UNUSED_PAD src0_sel:DWORD src1_sel:WORD_1
	v_cndmask_b32_e32 v62, v62, v63, vcc_lo
	v_lshlrev_b32_e32 v63, 8, v11
	v_and_b32_e32 v72, 3, v72
	v_lshl_add_u32 v62, v62, 23, 0x37800000
	v_and_b32_e32 v63, 0x80000000, v63
	v_cndmask_b32_e32 v98, v98, v72, vcc_lo
	v_lshlrev_b32_e32 v98, 21, v98
	v_or3_b32 v98, v63, v62, v98
.LBB6_14733:                            ;   in Loop: Header=BB6_12577 Depth=3
	s_or_b32 exec_lo, exec_lo, s16
	v_add_f32_e32 v98, v24, v98
	v_and_b32_e32 v24, 0x7f800000, v98
	v_cmp_ne_u32_e32 vcc_lo, 0x7f800000, v24
	v_mov_b32_e32 v24, 0x80
	s_and_saveexec_b32 s23, vcc_lo
	s_cbranch_execz .LBB6_14741
; %bb.14734:                            ;   in Loop: Header=BB6_12577 Depth=3
	v_mov_b32_e32 v24, 0
	s_mov_b32 s72, exec_lo
	v_cmpx_ne_u32_e32 0, v98
	s_cbranch_execz .LBB6_14740
; %bb.14735:                            ;   in Loop: Header=BB6_12577 Depth=3
	v_bfe_u32 v62, v98, 23, 8
	v_and_b32_e32 v24, 0x7fffff, v98
	v_cmp_gt_u32_e64 s16, 0x71, v62
	v_sub_nc_u32_e32 v63, 0x70, v62
	v_cmp_eq_u32_e32 vcc_lo, 0, v62
	v_or_b32_e32 v72, 0x800000, v24
	v_cndmask_b32_e64 v63, 0, v63, s16
	v_cndmask_b32_e32 v24, v72, v24, vcc_lo
	v_cndmask_b32_e64 v63, v63, 0x6f, vcc_lo
	v_lshl_add_u32 v72, 0x200000, v63, -1
	v_lshlrev_b32_e64 v73, v63, 0x100000
	v_and_b32_e32 v72, v72, v24
	v_cmp_eq_u32_e64 s16, v72, v73
	v_lshrrev_b32_e32 v72, v63, v24
	v_add_nc_u32_e32 v24, 0xffffff91, v62
	v_lshrrev_b32_e32 v62, 23, v72
	v_cndmask_b32_e64 v24, v24, 0xffffff92, vcc_lo
	v_xor_b32_e32 v62, 1, v62
	v_add_nc_u32_e32 v24, v63, v24
	v_bfe_u32 v63, v72, 21, 1
	v_add_nc_u32_e32 v63, -1, v63
	v_cndmask_b32_e64 v63, 0, v63, s16
	s_mov_b32 s16, exec_lo
	v_add_nc_u32_e32 v63, v63, v72
	v_and_b32_e32 v63, 0x1fffff, v63
	v_add_nc_u32_e32 v63, v63, v72
                                        ; implicit-def: $vgpr72
	v_cmpx_ne_u32_e64 v24, v62
	s_xor_b32 s16, exec_lo, s16
; %bb.14736:                            ;   in Loop: Header=BB6_12577 Depth=3
	v_cmp_lt_u32_e32 vcc_lo, 0xffffff, v63
	v_sub_nc_u32_e32 v24, v24, v62
	v_cndmask_b32_e64 v62, 0, 1, vcc_lo
	v_add_co_ci_u32_e64 v72, null, 0, v24, vcc_lo
	v_lshrrev_b32_e32 v63, v62, v63
; %bb.14737:                            ;   in Loop: Header=BB6_12577 Depth=3
	s_andn2_saveexec_b32 s16, s16
; %bb.14738:                            ;   in Loop: Header=BB6_12577 Depth=3
	v_bfe_u32 v72, v63, 23, 1
; %bb.14739:                            ;   in Loop: Header=BB6_12577 Depth=3
	s_or_b32 exec_lo, exec_lo, s16
	v_and_b32_sdwa v24, v98, v117 dst_sel:DWORD dst_unused:UNUSED_PAD src0_sel:BYTE_3 src1_sel:DWORD
	v_lshrrev_b32_e32 v98, 21, v63
	v_min_i32_e32 v62, 31, v72
	v_cmp_gt_i32_e32 vcc_lo, 32, v72
	v_lshlrev_b32_e32 v62, 2, v62
	v_cndmask_b32_e32 v98, 3, v98, vcc_lo
	v_and_b32_e32 v62, 0xfc, v62
	v_or_b32_e32 v63, v72, v98
	v_and_b32_e32 v98, 3, v98
	v_cmp_ne_u32_e32 vcc_lo, 0, v63
	v_or3_b32 v24, v62, v24, v98
	v_cndmask_b32_e32 v24, 0, v24, vcc_lo
.LBB6_14740:                            ;   in Loop: Header=BB6_12577 Depth=3
	s_or_b32 exec_lo, exec_lo, s72
.LBB6_14741:                            ;   in Loop: Header=BB6_12577 Depth=3
	s_or_b32 exec_lo, exec_lo, s23
	v_cmp_gt_i16_sdwa s23, v28, v116 src0_sel:BYTE_3 src1_sel:DWORD
	s_mov_b32 s16, 0
	s_and_saveexec_b32 s72, s23
	s_xor_b32 s23, exec_lo, s72
	s_cbranch_execz .LBB6_15139
; %bb.14742:                            ;   in Loop: Header=BB6_12577 Depth=3
	v_cmp_eq_u16_sdwa s73, v28, v117 src0_sel:BYTE_3 src1_sel:DWORD
	s_mov_b32 s16, -1
	s_and_saveexec_b32 s72, s73
; %bb.14743:                            ;   in Loop: Header=BB6_12577 Depth=3
	s_xor_b32 s16, exec_lo, -1
; %bb.14744:                            ;   in Loop: Header=BB6_12577 Depth=3
	s_or_b32 exec_lo, exec_lo, s72
	s_and_b32 s16, s16, exec_lo
	s_or_saveexec_b32 s23, s23
	v_mov_b32_e32 v98, 0x7f800001
	s_xor_b32 exec_lo, exec_lo, s23
	s_cbranch_execnz .LBB6_15140
.LBB6_14745:                            ;   in Loop: Header=BB6_12577 Depth=3
	s_or_b32 exec_lo, exec_lo, s23
	s_and_saveexec_b32 s23, s16
	s_cbranch_execz .LBB6_14747
.LBB6_14746:                            ;   in Loop: Header=BB6_12577 Depth=3
	v_bfe_u32 v98, v28, 24, 2
	v_bfe_u32 v72, v28, 26, 5
	v_ffbh_u32_e32 v62, v98
	v_cmp_eq_u32_e32 vcc_lo, 0, v72
	v_min_u32_e32 v62, 32, v62
	v_subrev_nc_u32_e32 v63, 29, v62
	v_sub_nc_u32_e32 v62, 30, v62
	v_lshlrev_b32_sdwa v63, v63, v28 dst_sel:DWORD dst_unused:UNUSED_PAD src0_sel:DWORD src1_sel:BYTE_3
	v_cndmask_b32_e32 v62, v72, v62, vcc_lo
	v_and_b32_e32 v28, 0x80000000, v28
	v_and_b32_e32 v63, 3, v63
	v_lshl_add_u32 v62, v62, 23, 0x37800000
	v_cndmask_b32_e32 v98, v98, v63, vcc_lo
	v_lshlrev_b32_e32 v98, 21, v98
	v_or3_b32 v98, v28, v62, v98
.LBB6_14747:                            ;   in Loop: Header=BB6_12577 Depth=3
	s_or_b32 exec_lo, exec_lo, s23
	v_cmp_gt_i16_sdwa s23, v11, v116 src0_sel:BYTE_3 src1_sel:DWORD
	s_mov_b32 s16, 0
	s_and_saveexec_b32 s72, s23
	s_xor_b32 s23, exec_lo, s72
	s_cbranch_execz .LBB6_15141
; %bb.14748:                            ;   in Loop: Header=BB6_12577 Depth=3
	v_cmp_eq_u16_sdwa s73, v11, v117 src0_sel:BYTE_3 src1_sel:DWORD
	s_mov_b32 s16, -1
	s_and_saveexec_b32 s72, s73
; %bb.14749:                            ;   in Loop: Header=BB6_12577 Depth=3
	s_xor_b32 s16, exec_lo, -1
; %bb.14750:                            ;   in Loop: Header=BB6_12577 Depth=3
	s_or_b32 exec_lo, exec_lo, s72
	s_and_b32 s16, s16, exec_lo
	s_or_saveexec_b32 s23, s23
	v_mov_b32_e32 v28, 0x7f800001
	s_xor_b32 exec_lo, exec_lo, s23
	s_cbranch_execnz .LBB6_15142
.LBB6_14751:                            ;   in Loop: Header=BB6_12577 Depth=3
	s_or_b32 exec_lo, exec_lo, s23
	s_and_saveexec_b32 s23, s16
	s_cbranch_execz .LBB6_14753
.LBB6_14752:                            ;   in Loop: Header=BB6_12577 Depth=3
	v_bfe_u32 v28, v11, 24, 2
	v_bfe_u32 v72, v11, 26, 5
	v_ffbh_u32_e32 v62, v28
	v_cmp_eq_u32_e32 vcc_lo, 0, v72
	v_min_u32_e32 v62, 32, v62
	v_subrev_nc_u32_e32 v63, 29, v62
	v_sub_nc_u32_e32 v62, 30, v62
	v_lshlrev_b32_sdwa v63, v63, v11 dst_sel:DWORD dst_unused:UNUSED_PAD src0_sel:DWORD src1_sel:BYTE_3
	v_cndmask_b32_e32 v62, v72, v62, vcc_lo
	v_and_b32_e32 v11, 0x80000000, v11
	v_and_b32_e32 v63, 3, v63
	v_lshl_add_u32 v62, v62, 23, 0x37800000
	v_cndmask_b32_e32 v28, v28, v63, vcc_lo
	v_lshlrev_b32_e32 v28, 21, v28
	v_or3_b32 v28, v11, v62, v28
.LBB6_14753:                            ;   in Loop: Header=BB6_12577 Depth=3
	s_or_b32 exec_lo, exec_lo, s23
	v_add_f32_e32 v11, v98, v28
	v_and_b32_e32 v28, 0x7f800000, v11
	v_cmp_ne_u32_e32 vcc_lo, 0x7f800000, v28
	v_mov_b32_e32 v28, 0x8000
	s_and_saveexec_b32 s23, vcc_lo
	s_cbranch_execz .LBB6_12576
; %bb.14754:                            ;   in Loop: Header=BB6_12577 Depth=3
	v_mov_b32_e32 v28, 0
	s_mov_b32 s72, exec_lo
	v_cmpx_ne_u32_e32 0, v11
	s_cbranch_execz .LBB6_12575
; %bb.14755:                            ;   in Loop: Header=BB6_12577 Depth=3
	v_bfe_u32 v98, v11, 23, 8
	v_and_b32_e32 v28, 0x7fffff, v11
	v_cmp_gt_u32_e64 s16, 0x71, v98
	v_sub_nc_u32_e32 v62, 0x70, v98
	v_cmp_eq_u32_e32 vcc_lo, 0, v98
	v_or_b32_e32 v63, 0x800000, v28
	v_cndmask_b32_e64 v62, 0, v62, s16
	v_cndmask_b32_e32 v28, v63, v28, vcc_lo
	v_cndmask_b32_e64 v62, v62, 0x6f, vcc_lo
	v_lshl_add_u32 v63, 0x200000, v62, -1
	v_lshlrev_b32_e64 v72, v62, 0x100000
	v_and_b32_e32 v63, v63, v28
	v_cmp_eq_u32_e64 s16, v63, v72
	v_lshrrev_b32_e32 v63, v62, v28
	v_add_nc_u32_e32 v28, 0xffffff91, v98
	v_lshrrev_b32_e32 v98, 23, v63
	v_cndmask_b32_e64 v28, v28, 0xffffff92, vcc_lo
	v_xor_b32_e32 v98, 1, v98
	v_add_nc_u32_e32 v28, v62, v28
	v_bfe_u32 v62, v63, 21, 1
	v_add_nc_u32_e32 v62, -1, v62
	v_cndmask_b32_e64 v62, 0, v62, s16
	s_mov_b32 s16, exec_lo
	v_add_nc_u32_e32 v62, v62, v63
	v_and_b32_e32 v62, 0x1fffff, v62
	v_add_nc_u32_e32 v62, v62, v63
                                        ; implicit-def: $vgpr63
	v_cmpx_ne_u32_e64 v28, v98
	s_xor_b32 s16, exec_lo, s16
; %bb.14756:                            ;   in Loop: Header=BB6_12577 Depth=3
	v_cmp_lt_u32_e32 vcc_lo, 0xffffff, v62
	v_sub_nc_u32_e32 v28, v28, v98
	v_cndmask_b32_e64 v98, 0, 1, vcc_lo
	v_add_co_ci_u32_e64 v63, null, 0, v28, vcc_lo
	v_lshrrev_b32_e32 v62, v98, v62
; %bb.14757:                            ;   in Loop: Header=BB6_12577 Depth=3
	s_andn2_saveexec_b32 s16, s16
	s_cbranch_execz .LBB6_12574
; %bb.14758:                            ;   in Loop: Header=BB6_12577 Depth=3
	v_bfe_u32 v63, v62, 23, 1
	s_branch .LBB6_12574
.LBB6_14759:                            ;   in Loop: Header=BB6_12577 Depth=3
	s_or_saveexec_b32 s72, s72
	v_mov_b32_e32 v0, 0x7f800001
	s_xor_b32 exec_lo, exec_lo, s72
	s_cbranch_execz .LBB6_12589
.LBB6_14760:                            ;   in Loop: Header=BB6_12577 Depth=3
	v_cmp_ne_u16_sdwa s73, v8, v2 src0_sel:BYTE_0 src1_sel:DWORD
	v_mov_b32_e32 v0, 0
	s_andn2_b32 s16, s16, exec_lo
	s_and_b32 s73, s73, exec_lo
	s_or_b32 s16, s16, s73
	s_or_b32 exec_lo, exec_lo, s72
	s_and_saveexec_b32 s72, s16
	s_cbranch_execnz .LBB6_12590
	s_branch .LBB6_12591
.LBB6_14761:                            ;   in Loop: Header=BB6_12577 Depth=3
	s_or_saveexec_b32 s72, s72
	v_mov_b32_e32 v0, 0x7f800001
	s_xor_b32 exec_lo, exec_lo, s72
	s_cbranch_execz .LBB6_12603
.LBB6_14762:                            ;   in Loop: Header=BB6_12577 Depth=3
	v_cmp_ne_u16_sdwa s73, v8, v2 src0_sel:BYTE_1 src1_sel:DWORD
	v_mov_b32_e32 v0, 0
	s_andn2_b32 s16, s16, exec_lo
	s_and_b32 s73, s73, exec_lo
	s_or_b32 s16, s16, s73
	s_or_b32 exec_lo, exec_lo, s72
	s_and_saveexec_b32 s72, s16
	s_cbranch_execnz .LBB6_12604
	s_branch .LBB6_12605
.LBB6_14763:                            ;   in Loop: Header=BB6_12577 Depth=3
	s_or_saveexec_b32 s72, s72
	v_mov_b32_e32 v0, 0x7f800001
	s_xor_b32 exec_lo, exec_lo, s72
	s_cbranch_execz .LBB6_12617
.LBB6_14764:                            ;   in Loop: Header=BB6_12577 Depth=3
	v_cmp_ne_u16_e32 vcc_lo, 0, v1
	v_mov_b32_e32 v0, 0
	s_andn2_b32 s16, s16, exec_lo
	s_and_b32 s73, vcc_lo, exec_lo
	s_or_b32 s16, s16, s73
	s_or_b32 exec_lo, exec_lo, s72
	s_and_saveexec_b32 s72, s16
	s_cbranch_execnz .LBB6_12618
	s_branch .LBB6_12619
.LBB6_14765:                            ;   in Loop: Header=BB6_12577 Depth=3
	s_or_saveexec_b32 s72, s72
	v_mov_b32_e32 v0, 0x7f800001
	s_xor_b32 exec_lo, exec_lo, s72
	s_cbranch_execz .LBB6_12631
.LBB6_14766:                            ;   in Loop: Header=BB6_12577 Depth=3
	v_cmp_ne_u16_sdwa s73, v8, v2 src0_sel:BYTE_3 src1_sel:DWORD
	v_mov_b32_e32 v0, 0
	s_andn2_b32 s16, s16, exec_lo
	s_and_b32 s73, s73, exec_lo
	s_or_b32 s16, s16, s73
	s_or_b32 exec_lo, exec_lo, s72
	s_and_saveexec_b32 s72, s16
	s_cbranch_execnz .LBB6_12632
	s_branch .LBB6_12633
.LBB6_14767:                            ;   in Loop: Header=BB6_12577 Depth=3
	s_or_saveexec_b32 s72, s72
	v_mov_b32_e32 v0, 0x7f800001
	s_xor_b32 exec_lo, exec_lo, s72
	s_cbranch_execz .LBB6_12645
.LBB6_14768:                            ;   in Loop: Header=BB6_12577 Depth=3
	v_cmp_ne_u16_sdwa s73, v9, v2 src0_sel:BYTE_0 src1_sel:DWORD
	v_mov_b32_e32 v0, 0
	s_andn2_b32 s16, s16, exec_lo
	s_and_b32 s73, s73, exec_lo
	s_or_b32 s16, s16, s73
	s_or_b32 exec_lo, exec_lo, s72
	s_and_saveexec_b32 s72, s16
	s_cbranch_execnz .LBB6_12646
	s_branch .LBB6_12647
.LBB6_14769:                            ;   in Loop: Header=BB6_12577 Depth=3
	s_or_saveexec_b32 s72, s72
	v_mov_b32_e32 v0, 0x7f800001
	s_xor_b32 exec_lo, exec_lo, s72
	s_cbranch_execz .LBB6_12659
.LBB6_14770:                            ;   in Loop: Header=BB6_12577 Depth=3
	v_cmp_ne_u16_sdwa s73, v9, v2 src0_sel:BYTE_1 src1_sel:DWORD
	v_mov_b32_e32 v0, 0
	s_andn2_b32 s16, s16, exec_lo
	s_and_b32 s73, s73, exec_lo
	s_or_b32 s16, s16, s73
	s_or_b32 exec_lo, exec_lo, s72
	s_and_saveexec_b32 s72, s16
	s_cbranch_execnz .LBB6_12660
	s_branch .LBB6_12661
.LBB6_14771:                            ;   in Loop: Header=BB6_12577 Depth=3
	s_or_saveexec_b32 s72, s72
	v_mov_b32_e32 v0, 0x7f800001
	s_xor_b32 exec_lo, exec_lo, s72
	s_cbranch_execz .LBB6_12673
.LBB6_14772:                            ;   in Loop: Header=BB6_12577 Depth=3
	v_cmp_ne_u16_e32 vcc_lo, 0, v1
	v_mov_b32_e32 v0, 0
	s_andn2_b32 s16, s16, exec_lo
	s_and_b32 s73, vcc_lo, exec_lo
	s_or_b32 s16, s16, s73
	s_or_b32 exec_lo, exec_lo, s72
	s_and_saveexec_b32 s72, s16
	s_cbranch_execnz .LBB6_12674
	s_branch .LBB6_12675
.LBB6_14773:                            ;   in Loop: Header=BB6_12577 Depth=3
	s_or_saveexec_b32 s72, s72
	v_mov_b32_e32 v0, 0x7f800001
	s_xor_b32 exec_lo, exec_lo, s72
	s_cbranch_execz .LBB6_12687
.LBB6_14774:                            ;   in Loop: Header=BB6_12577 Depth=3
	v_cmp_ne_u16_sdwa s73, v9, v2 src0_sel:BYTE_3 src1_sel:DWORD
	v_mov_b32_e32 v0, 0
	s_andn2_b32 s16, s16, exec_lo
	s_and_b32 s73, s73, exec_lo
	s_or_b32 s16, s16, s73
	s_or_b32 exec_lo, exec_lo, s72
	s_and_saveexec_b32 s72, s16
	s_cbranch_execnz .LBB6_12688
	s_branch .LBB6_12689
.LBB6_14775:                            ;   in Loop: Header=BB6_12577 Depth=3
	s_or_saveexec_b32 s72, s72
	v_mov_b32_e32 v0, 0x7f800001
	s_xor_b32 exec_lo, exec_lo, s72
	s_cbranch_execz .LBB6_12701
.LBB6_14776:                            ;   in Loop: Header=BB6_12577 Depth=3
	v_cmp_ne_u16_sdwa s73, v10, v2 src0_sel:BYTE_0 src1_sel:DWORD
	v_mov_b32_e32 v0, 0
	s_andn2_b32 s16, s16, exec_lo
	s_and_b32 s73, s73, exec_lo
	s_or_b32 s16, s16, s73
	s_or_b32 exec_lo, exec_lo, s72
	s_and_saveexec_b32 s72, s16
	s_cbranch_execnz .LBB6_12702
	s_branch .LBB6_12703
.LBB6_14777:                            ;   in Loop: Header=BB6_12577 Depth=3
	s_or_saveexec_b32 s72, s72
	v_mov_b32_e32 v0, 0x7f800001
	s_xor_b32 exec_lo, exec_lo, s72
	s_cbranch_execz .LBB6_12715
.LBB6_14778:                            ;   in Loop: Header=BB6_12577 Depth=3
	v_cmp_ne_u16_sdwa s73, v10, v2 src0_sel:BYTE_1 src1_sel:DWORD
	v_mov_b32_e32 v0, 0
	s_andn2_b32 s16, s16, exec_lo
	s_and_b32 s73, s73, exec_lo
	s_or_b32 s16, s16, s73
	s_or_b32 exec_lo, exec_lo, s72
	s_and_saveexec_b32 s72, s16
	s_cbranch_execnz .LBB6_12716
	s_branch .LBB6_12717
.LBB6_14779:                            ;   in Loop: Header=BB6_12577 Depth=3
	s_or_saveexec_b32 s72, s72
	v_mov_b32_e32 v0, 0x7f800001
	s_xor_b32 exec_lo, exec_lo, s72
	s_cbranch_execz .LBB6_12729
.LBB6_14780:                            ;   in Loop: Header=BB6_12577 Depth=3
	v_cmp_ne_u16_e32 vcc_lo, 0, v1
	v_mov_b32_e32 v0, 0
	s_andn2_b32 s16, s16, exec_lo
	s_and_b32 s73, vcc_lo, exec_lo
	s_or_b32 s16, s16, s73
	s_or_b32 exec_lo, exec_lo, s72
	s_and_saveexec_b32 s72, s16
	s_cbranch_execnz .LBB6_12730
	s_branch .LBB6_12731
.LBB6_14781:                            ;   in Loop: Header=BB6_12577 Depth=3
	s_or_saveexec_b32 s72, s72
	v_mov_b32_e32 v0, 0x7f800001
	s_xor_b32 exec_lo, exec_lo, s72
	s_cbranch_execz .LBB6_12743
.LBB6_14782:                            ;   in Loop: Header=BB6_12577 Depth=3
	v_cmp_ne_u16_sdwa s73, v10, v2 src0_sel:BYTE_3 src1_sel:DWORD
	v_mov_b32_e32 v0, 0
	s_andn2_b32 s16, s16, exec_lo
	s_and_b32 s73, s73, exec_lo
	s_or_b32 s16, s16, s73
	s_or_b32 exec_lo, exec_lo, s72
	s_and_saveexec_b32 s72, s16
	s_cbranch_execnz .LBB6_12744
	s_branch .LBB6_12745
.LBB6_14783:                            ;   in Loop: Header=BB6_12577 Depth=3
	s_or_saveexec_b32 s72, s72
	v_mov_b32_e32 v0, 0x7f800001
	s_xor_b32 exec_lo, exec_lo, s72
	s_cbranch_execz .LBB6_12757
.LBB6_14784:                            ;   in Loop: Header=BB6_12577 Depth=3
	v_cmp_ne_u16_sdwa s73, v11, v2 src0_sel:BYTE_0 src1_sel:DWORD
	v_mov_b32_e32 v0, 0
	s_andn2_b32 s16, s16, exec_lo
	s_and_b32 s73, s73, exec_lo
	s_or_b32 s16, s16, s73
	s_or_b32 exec_lo, exec_lo, s72
	s_and_saveexec_b32 s72, s16
	s_cbranch_execnz .LBB6_12758
	s_branch .LBB6_12759
.LBB6_14785:                            ;   in Loop: Header=BB6_12577 Depth=3
	s_or_saveexec_b32 s72, s72
	v_mov_b32_e32 v0, 0x7f800001
	s_xor_b32 exec_lo, exec_lo, s72
	s_cbranch_execz .LBB6_12771
.LBB6_14786:                            ;   in Loop: Header=BB6_12577 Depth=3
	v_cmp_ne_u16_sdwa s73, v11, v2 src0_sel:BYTE_1 src1_sel:DWORD
	v_mov_b32_e32 v0, 0
	s_andn2_b32 s16, s16, exec_lo
	s_and_b32 s73, s73, exec_lo
	s_or_b32 s16, s16, s73
	s_or_b32 exec_lo, exec_lo, s72
	s_and_saveexec_b32 s72, s16
	s_cbranch_execnz .LBB6_12772
	s_branch .LBB6_12773
.LBB6_14787:                            ;   in Loop: Header=BB6_12577 Depth=3
	s_or_saveexec_b32 s72, s72
	v_mov_b32_e32 v0, 0x7f800001
	s_xor_b32 exec_lo, exec_lo, s72
	s_cbranch_execz .LBB6_12785
.LBB6_14788:                            ;   in Loop: Header=BB6_12577 Depth=3
	v_cmp_ne_u16_e32 vcc_lo, 0, v1
	v_mov_b32_e32 v0, 0
	s_andn2_b32 s16, s16, exec_lo
	s_and_b32 s73, vcc_lo, exec_lo
	s_or_b32 s16, s16, s73
	s_or_b32 exec_lo, exec_lo, s72
	s_and_saveexec_b32 s72, s16
	s_cbranch_execnz .LBB6_12786
	s_branch .LBB6_12787
.LBB6_14789:                            ;   in Loop: Header=BB6_12577 Depth=3
	s_or_saveexec_b32 s72, s72
	v_mov_b32_e32 v0, 0x7f800001
	s_xor_b32 exec_lo, exec_lo, s72
	s_cbranch_execz .LBB6_12799
.LBB6_14790:                            ;   in Loop: Header=BB6_12577 Depth=3
	v_cmp_ne_u16_sdwa s73, v11, v2 src0_sel:BYTE_3 src1_sel:DWORD
	v_mov_b32_e32 v0, 0
	s_andn2_b32 s16, s16, exec_lo
	s_and_b32 s73, s73, exec_lo
	s_or_b32 s16, s16, s73
	s_or_b32 exec_lo, exec_lo, s72
	s_and_saveexec_b32 s72, s16
	s_cbranch_execnz .LBB6_12800
	s_branch .LBB6_12801
.LBB6_14791:                            ;   in Loop: Header=BB6_12577 Depth=3
	s_or_saveexec_b32 s72, s72
	v_mov_b32_e32 v0, 0x7f800001
	s_xor_b32 exec_lo, exec_lo, s72
	s_cbranch_execz .LBB6_12813
.LBB6_14792:                            ;   in Loop: Header=BB6_12577 Depth=3
	v_cmp_ne_u16_sdwa s73, v8, v2 src0_sel:BYTE_0 src1_sel:DWORD
	v_mov_b32_e32 v0, 0
	s_andn2_b32 s16, s16, exec_lo
	s_and_b32 s73, s73, exec_lo
	s_or_b32 s16, s16, s73
	s_or_b32 exec_lo, exec_lo, s72
	s_and_saveexec_b32 s72, s16
	s_cbranch_execnz .LBB6_12814
	s_branch .LBB6_12815
.LBB6_14793:                            ;   in Loop: Header=BB6_12577 Depth=3
	s_or_saveexec_b32 s72, s72
	v_mov_b32_e32 v0, 0x7f800001
	s_xor_b32 exec_lo, exec_lo, s72
	s_cbranch_execz .LBB6_12827
.LBB6_14794:                            ;   in Loop: Header=BB6_12577 Depth=3
	v_cmp_ne_u16_sdwa s73, v8, v2 src0_sel:BYTE_1 src1_sel:DWORD
	v_mov_b32_e32 v0, 0
	s_andn2_b32 s16, s16, exec_lo
	s_and_b32 s73, s73, exec_lo
	s_or_b32 s16, s16, s73
	s_or_b32 exec_lo, exec_lo, s72
	s_and_saveexec_b32 s72, s16
	s_cbranch_execnz .LBB6_12828
	s_branch .LBB6_12829
.LBB6_14795:                            ;   in Loop: Header=BB6_12577 Depth=3
	s_or_saveexec_b32 s72, s72
	v_mov_b32_e32 v1, 0x7f800001
	s_xor_b32 exec_lo, exec_lo, s72
	s_cbranch_execz .LBB6_12841
.LBB6_14796:                            ;   in Loop: Header=BB6_12577 Depth=3
	v_cmp_ne_u16_e32 vcc_lo, 0, v4
	v_mov_b32_e32 v1, 0
	s_andn2_b32 s16, s16, exec_lo
	s_and_b32 s73, vcc_lo, exec_lo
	s_or_b32 s16, s16, s73
	s_or_b32 exec_lo, exec_lo, s72
	s_and_saveexec_b32 s72, s16
	s_cbranch_execnz .LBB6_12842
	s_branch .LBB6_12843
.LBB6_14797:                            ;   in Loop: Header=BB6_12577 Depth=3
	s_or_saveexec_b32 s72, s72
	v_mov_b32_e32 v1, 0x7f800001
	s_xor_b32 exec_lo, exec_lo, s72
	s_cbranch_execz .LBB6_12855
.LBB6_14798:                            ;   in Loop: Header=BB6_12577 Depth=3
	v_cmp_ne_u16_sdwa s73, v8, v2 src0_sel:BYTE_3 src1_sel:DWORD
	v_mov_b32_e32 v1, 0
	s_andn2_b32 s16, s16, exec_lo
	s_and_b32 s73, s73, exec_lo
	s_or_b32 s16, s16, s73
	s_or_b32 exec_lo, exec_lo, s72
	s_and_saveexec_b32 s72, s16
	s_cbranch_execnz .LBB6_12856
	s_branch .LBB6_12857
.LBB6_14799:                            ;   in Loop: Header=BB6_12577 Depth=3
	s_or_saveexec_b32 s72, s72
	v_mov_b32_e32 v1, 0x7f800001
	s_xor_b32 exec_lo, exec_lo, s72
	s_cbranch_execz .LBB6_12869
.LBB6_14800:                            ;   in Loop: Header=BB6_12577 Depth=3
	v_cmp_ne_u16_sdwa s73, v9, v2 src0_sel:BYTE_0 src1_sel:DWORD
	v_mov_b32_e32 v1, 0
	s_andn2_b32 s16, s16, exec_lo
	s_and_b32 s73, s73, exec_lo
	s_or_b32 s16, s16, s73
	s_or_b32 exec_lo, exec_lo, s72
	s_and_saveexec_b32 s72, s16
	s_cbranch_execnz .LBB6_12870
	s_branch .LBB6_12871
.LBB6_14801:                            ;   in Loop: Header=BB6_12577 Depth=3
	s_or_saveexec_b32 s72, s72
	v_mov_b32_e32 v1, 0x7f800001
	s_xor_b32 exec_lo, exec_lo, s72
	s_cbranch_execz .LBB6_12883
.LBB6_14802:                            ;   in Loop: Header=BB6_12577 Depth=3
	v_cmp_ne_u16_sdwa s73, v9, v2 src0_sel:BYTE_1 src1_sel:DWORD
	v_mov_b32_e32 v1, 0
	s_andn2_b32 s16, s16, exec_lo
	s_and_b32 s73, s73, exec_lo
	s_or_b32 s16, s16, s73
	s_or_b32 exec_lo, exec_lo, s72
	s_and_saveexec_b32 s72, s16
	s_cbranch_execnz .LBB6_12884
	s_branch .LBB6_12885
.LBB6_14803:                            ;   in Loop: Header=BB6_12577 Depth=3
	s_or_saveexec_b32 s72, s72
	v_mov_b32_e32 v1, 0x7f800001
	s_xor_b32 exec_lo, exec_lo, s72
	s_cbranch_execz .LBB6_12897
.LBB6_14804:                            ;   in Loop: Header=BB6_12577 Depth=3
	v_cmp_ne_u16_e32 vcc_lo, 0, v4
	v_mov_b32_e32 v1, 0
	s_andn2_b32 s16, s16, exec_lo
	s_and_b32 s73, vcc_lo, exec_lo
	s_or_b32 s16, s16, s73
	s_or_b32 exec_lo, exec_lo, s72
	s_and_saveexec_b32 s72, s16
	s_cbranch_execnz .LBB6_12898
	s_branch .LBB6_12899
.LBB6_14805:                            ;   in Loop: Header=BB6_12577 Depth=3
	s_or_saveexec_b32 s72, s72
	v_mov_b32_e32 v1, 0x7f800001
	s_xor_b32 exec_lo, exec_lo, s72
	s_cbranch_execz .LBB6_12911
.LBB6_14806:                            ;   in Loop: Header=BB6_12577 Depth=3
	v_cmp_ne_u16_sdwa s73, v9, v2 src0_sel:BYTE_3 src1_sel:DWORD
	v_mov_b32_e32 v1, 0
	s_andn2_b32 s16, s16, exec_lo
	s_and_b32 s73, s73, exec_lo
	s_or_b32 s16, s16, s73
	s_or_b32 exec_lo, exec_lo, s72
	s_and_saveexec_b32 s72, s16
	s_cbranch_execnz .LBB6_12912
	s_branch .LBB6_12913
.LBB6_14807:                            ;   in Loop: Header=BB6_12577 Depth=3
	s_or_saveexec_b32 s72, s72
	v_mov_b32_e32 v1, 0x7f800001
	s_xor_b32 exec_lo, exec_lo, s72
	s_cbranch_execz .LBB6_12925
.LBB6_14808:                            ;   in Loop: Header=BB6_12577 Depth=3
	v_cmp_ne_u16_sdwa s73, v10, v2 src0_sel:BYTE_0 src1_sel:DWORD
	v_mov_b32_e32 v1, 0
	s_andn2_b32 s16, s16, exec_lo
	s_and_b32 s73, s73, exec_lo
	s_or_b32 s16, s16, s73
	s_or_b32 exec_lo, exec_lo, s72
	s_and_saveexec_b32 s72, s16
	s_cbranch_execnz .LBB6_12926
	s_branch .LBB6_12927
.LBB6_14809:                            ;   in Loop: Header=BB6_12577 Depth=3
	s_or_saveexec_b32 s72, s72
	v_mov_b32_e32 v1, 0x7f800001
	s_xor_b32 exec_lo, exec_lo, s72
	s_cbranch_execz .LBB6_12939
.LBB6_14810:                            ;   in Loop: Header=BB6_12577 Depth=3
	v_cmp_ne_u16_sdwa s73, v10, v2 src0_sel:BYTE_1 src1_sel:DWORD
	v_mov_b32_e32 v1, 0
	s_andn2_b32 s16, s16, exec_lo
	s_and_b32 s73, s73, exec_lo
	s_or_b32 s16, s16, s73
	s_or_b32 exec_lo, exec_lo, s72
	s_and_saveexec_b32 s72, s16
	s_cbranch_execnz .LBB6_12940
	s_branch .LBB6_12941
.LBB6_14811:                            ;   in Loop: Header=BB6_12577 Depth=3
	s_or_saveexec_b32 s72, s72
	v_mov_b32_e32 v1, 0x7f800001
	s_xor_b32 exec_lo, exec_lo, s72
	s_cbranch_execz .LBB6_12953
.LBB6_14812:                            ;   in Loop: Header=BB6_12577 Depth=3
	v_cmp_ne_u16_e32 vcc_lo, 0, v4
	v_mov_b32_e32 v1, 0
	s_andn2_b32 s16, s16, exec_lo
	s_and_b32 s73, vcc_lo, exec_lo
	s_or_b32 s16, s16, s73
	s_or_b32 exec_lo, exec_lo, s72
	s_and_saveexec_b32 s72, s16
	s_cbranch_execnz .LBB6_12954
	s_branch .LBB6_12955
.LBB6_14813:                            ;   in Loop: Header=BB6_12577 Depth=3
	s_or_saveexec_b32 s72, s72
	v_mov_b32_e32 v1, 0x7f800001
	s_xor_b32 exec_lo, exec_lo, s72
	s_cbranch_execz .LBB6_12967
.LBB6_14814:                            ;   in Loop: Header=BB6_12577 Depth=3
	v_cmp_ne_u16_sdwa s73, v10, v2 src0_sel:BYTE_3 src1_sel:DWORD
	v_mov_b32_e32 v1, 0
	s_andn2_b32 s16, s16, exec_lo
	s_and_b32 s73, s73, exec_lo
	s_or_b32 s16, s16, s73
	s_or_b32 exec_lo, exec_lo, s72
	s_and_saveexec_b32 s72, s16
	s_cbranch_execnz .LBB6_12968
	s_branch .LBB6_12969
.LBB6_14815:                            ;   in Loop: Header=BB6_12577 Depth=3
	s_or_saveexec_b32 s72, s72
	v_mov_b32_e32 v1, 0x7f800001
	s_xor_b32 exec_lo, exec_lo, s72
	s_cbranch_execz .LBB6_12981
.LBB6_14816:                            ;   in Loop: Header=BB6_12577 Depth=3
	v_cmp_ne_u16_sdwa s73, v11, v2 src0_sel:BYTE_0 src1_sel:DWORD
	v_mov_b32_e32 v1, 0
	s_andn2_b32 s16, s16, exec_lo
	s_and_b32 s73, s73, exec_lo
	s_or_b32 s16, s16, s73
	s_or_b32 exec_lo, exec_lo, s72
	s_and_saveexec_b32 s72, s16
	s_cbranch_execnz .LBB6_12982
	s_branch .LBB6_12983
.LBB6_14817:                            ;   in Loop: Header=BB6_12577 Depth=3
	s_or_saveexec_b32 s72, s72
	v_mov_b32_e32 v1, 0x7f800001
	s_xor_b32 exec_lo, exec_lo, s72
	s_cbranch_execz .LBB6_12995
.LBB6_14818:                            ;   in Loop: Header=BB6_12577 Depth=3
	v_cmp_ne_u16_sdwa s73, v11, v2 src0_sel:BYTE_1 src1_sel:DWORD
	v_mov_b32_e32 v1, 0
	s_andn2_b32 s16, s16, exec_lo
	s_and_b32 s73, s73, exec_lo
	s_or_b32 s16, s16, s73
	s_or_b32 exec_lo, exec_lo, s72
	s_and_saveexec_b32 s72, s16
	s_cbranch_execnz .LBB6_12996
	s_branch .LBB6_12997
.LBB6_14819:                            ;   in Loop: Header=BB6_12577 Depth=3
	s_or_saveexec_b32 s72, s72
	v_mov_b32_e32 v1, 0x7f800001
	s_xor_b32 exec_lo, exec_lo, s72
	s_cbranch_execz .LBB6_13009
.LBB6_14820:                            ;   in Loop: Header=BB6_12577 Depth=3
	v_cmp_ne_u16_e32 vcc_lo, 0, v4
	v_mov_b32_e32 v1, 0
	s_andn2_b32 s16, s16, exec_lo
	s_and_b32 s73, vcc_lo, exec_lo
	s_or_b32 s16, s16, s73
	s_or_b32 exec_lo, exec_lo, s72
	s_and_saveexec_b32 s72, s16
	s_cbranch_execnz .LBB6_13010
	s_branch .LBB6_13011
.LBB6_14821:                            ;   in Loop: Header=BB6_12577 Depth=3
	s_or_saveexec_b32 s72, s72
	v_mov_b32_e32 v1, 0x7f800001
	s_xor_b32 exec_lo, exec_lo, s72
	s_cbranch_execz .LBB6_13023
.LBB6_14822:                            ;   in Loop: Header=BB6_12577 Depth=3
	v_cmp_ne_u16_sdwa s73, v11, v2 src0_sel:BYTE_3 src1_sel:DWORD
	v_mov_b32_e32 v1, 0
	s_andn2_b32 s16, s16, exec_lo
	s_and_b32 s73, s73, exec_lo
	s_or_b32 s16, s16, s73
	s_or_b32 exec_lo, exec_lo, s72
	s_and_saveexec_b32 s72, s16
	s_cbranch_execnz .LBB6_13024
	s_branch .LBB6_13025
.LBB6_14823:                            ;   in Loop: Header=BB6_12577 Depth=3
	s_or_saveexec_b32 s72, s72
	v_mov_b32_e32 v1, 0x7f800001
	s_xor_b32 exec_lo, exec_lo, s72
	s_cbranch_execz .LBB6_13037
.LBB6_14824:                            ;   in Loop: Header=BB6_12577 Depth=3
	v_cmp_ne_u16_sdwa s73, v8, v2 src0_sel:BYTE_0 src1_sel:DWORD
	v_mov_b32_e32 v1, 0
	s_andn2_b32 s16, s16, exec_lo
	s_and_b32 s73, s73, exec_lo
	s_or_b32 s16, s16, s73
	s_or_b32 exec_lo, exec_lo, s72
	s_and_saveexec_b32 s72, s16
	s_cbranch_execnz .LBB6_13038
	s_branch .LBB6_13039
.LBB6_14825:                            ;   in Loop: Header=BB6_12577 Depth=3
	s_or_saveexec_b32 s72, s72
	v_mov_b32_e32 v1, 0x7f800001
	s_xor_b32 exec_lo, exec_lo, s72
	s_cbranch_execz .LBB6_13051
.LBB6_14826:                            ;   in Loop: Header=BB6_12577 Depth=3
	v_cmp_ne_u16_sdwa s73, v8, v2 src0_sel:BYTE_1 src1_sel:DWORD
	v_mov_b32_e32 v1, 0
	s_andn2_b32 s16, s16, exec_lo
	s_and_b32 s73, s73, exec_lo
	s_or_b32 s16, s16, s73
	s_or_b32 exec_lo, exec_lo, s72
	s_and_saveexec_b32 s72, s16
	s_cbranch_execnz .LBB6_13052
	s_branch .LBB6_13053
.LBB6_14827:                            ;   in Loop: Header=BB6_12577 Depth=3
	s_or_saveexec_b32 s16, s16
	v_mov_b32_e32 v1, 0x7f800001
	s_xor_b32 exec_lo, exec_lo, s16
	s_cbranch_execz .LBB6_13065
.LBB6_14828:                            ;   in Loop: Header=BB6_12577 Depth=3
	v_cmp_ne_u16_e32 vcc_lo, 0, v4
	v_mov_b32_e32 v1, 0
	s_andn2_b32 s72, s72, exec_lo
	s_and_b32 s73, vcc_lo, exec_lo
	s_or_b32 s72, s72, s73
	s_or_b32 exec_lo, exec_lo, s16
	s_and_saveexec_b32 s16, s72
	s_cbranch_execnz .LBB6_13066
	s_branch .LBB6_13067
.LBB6_14829:                            ;   in Loop: Header=BB6_12577 Depth=3
	s_or_saveexec_b32 s72, s72
	v_mov_b32_e32 v1, 0x7f800001
	s_xor_b32 exec_lo, exec_lo, s72
	s_cbranch_execz .LBB6_13079
.LBB6_14830:                            ;   in Loop: Header=BB6_12577 Depth=3
	v_cmp_ne_u16_sdwa s73, v8, v2 src0_sel:BYTE_3 src1_sel:DWORD
	v_mov_b32_e32 v1, 0
	s_andn2_b32 s16, s16, exec_lo
	s_and_b32 s73, s73, exec_lo
	s_or_b32 s16, s16, s73
	s_or_b32 exec_lo, exec_lo, s72
	s_and_saveexec_b32 s72, s16
	s_cbranch_execnz .LBB6_13080
	s_branch .LBB6_13081
.LBB6_14831:                            ;   in Loop: Header=BB6_12577 Depth=3
	s_or_saveexec_b32 s16, s16
	v_mov_b32_e32 v1, 0x7f800001
	s_xor_b32 exec_lo, exec_lo, s16
	s_cbranch_execz .LBB6_13093
.LBB6_14832:                            ;   in Loop: Header=BB6_12577 Depth=3
	v_cmp_ne_u16_sdwa s73, v9, v2 src0_sel:BYTE_0 src1_sel:DWORD
	v_mov_b32_e32 v1, 0
	s_andn2_b32 s72, s72, exec_lo
	s_and_b32 s73, s73, exec_lo
	s_or_b32 s72, s72, s73
	s_or_b32 exec_lo, exec_lo, s16
	s_and_saveexec_b32 s16, s72
	s_cbranch_execnz .LBB6_13094
	s_branch .LBB6_13095
.LBB6_14833:                            ;   in Loop: Header=BB6_12577 Depth=3
	s_or_saveexec_b32 s72, s72
	v_mov_b32_e32 v1, 0x7f800001
	s_xor_b32 exec_lo, exec_lo, s72
	s_cbranch_execz .LBB6_13107
.LBB6_14834:                            ;   in Loop: Header=BB6_12577 Depth=3
	v_cmp_ne_u16_sdwa s73, v9, v2 src0_sel:BYTE_1 src1_sel:DWORD
	v_mov_b32_e32 v1, 0
	s_andn2_b32 s16, s16, exec_lo
	s_and_b32 s73, s73, exec_lo
	s_or_b32 s16, s16, s73
	s_or_b32 exec_lo, exec_lo, s72
	s_and_saveexec_b32 s72, s16
	s_cbranch_execnz .LBB6_13108
	s_branch .LBB6_13109
.LBB6_14835:                            ;   in Loop: Header=BB6_12577 Depth=3
	s_or_saveexec_b32 s16, s16
	v_mov_b32_e32 v4, 0x7f800001
	s_xor_b32 exec_lo, exec_lo, s16
	s_cbranch_execz .LBB6_13121
.LBB6_14836:                            ;   in Loop: Header=BB6_12577 Depth=3
	v_cmp_ne_u16_e32 vcc_lo, 0, v5
	v_mov_b32_e32 v4, 0
	s_andn2_b32 s72, s72, exec_lo
	s_and_b32 s73, vcc_lo, exec_lo
	s_or_b32 s72, s72, s73
	s_or_b32 exec_lo, exec_lo, s16
	s_and_saveexec_b32 s16, s72
	s_cbranch_execnz .LBB6_13122
	s_branch .LBB6_13123
.LBB6_14837:                            ;   in Loop: Header=BB6_12577 Depth=3
	s_or_saveexec_b32 s72, s72
	v_mov_b32_e32 v4, 0x7f800001
	s_xor_b32 exec_lo, exec_lo, s72
	s_cbranch_execz .LBB6_13135
.LBB6_14838:                            ;   in Loop: Header=BB6_12577 Depth=3
	v_cmp_ne_u16_sdwa s73, v9, v2 src0_sel:BYTE_3 src1_sel:DWORD
	v_mov_b32_e32 v4, 0
	s_andn2_b32 s16, s16, exec_lo
	s_and_b32 s73, s73, exec_lo
	s_or_b32 s16, s16, s73
	s_or_b32 exec_lo, exec_lo, s72
	s_and_saveexec_b32 s72, s16
	s_cbranch_execnz .LBB6_13136
	s_branch .LBB6_13137
.LBB6_14839:                            ;   in Loop: Header=BB6_12577 Depth=3
	s_or_saveexec_b32 s16, s16
	v_mov_b32_e32 v4, 0x7f800001
	s_xor_b32 exec_lo, exec_lo, s16
	s_cbranch_execz .LBB6_13149
.LBB6_14840:                            ;   in Loop: Header=BB6_12577 Depth=3
	v_cmp_ne_u16_sdwa s73, v10, v2 src0_sel:BYTE_0 src1_sel:DWORD
	v_mov_b32_e32 v4, 0
	s_andn2_b32 s72, s72, exec_lo
	s_and_b32 s73, s73, exec_lo
	s_or_b32 s72, s72, s73
	s_or_b32 exec_lo, exec_lo, s16
	s_and_saveexec_b32 s16, s72
	s_cbranch_execnz .LBB6_13150
	s_branch .LBB6_13151
.LBB6_14841:                            ;   in Loop: Header=BB6_12577 Depth=3
	s_or_saveexec_b32 s72, s72
	v_mov_b32_e32 v4, 0x7f800001
	s_xor_b32 exec_lo, exec_lo, s72
	s_cbranch_execz .LBB6_13163
.LBB6_14842:                            ;   in Loop: Header=BB6_12577 Depth=3
	v_cmp_ne_u16_sdwa s73, v10, v2 src0_sel:BYTE_1 src1_sel:DWORD
	v_mov_b32_e32 v4, 0
	s_andn2_b32 s16, s16, exec_lo
	s_and_b32 s73, s73, exec_lo
	s_or_b32 s16, s16, s73
	s_or_b32 exec_lo, exec_lo, s72
	s_and_saveexec_b32 s72, s16
	s_cbranch_execnz .LBB6_13164
	s_branch .LBB6_13165
.LBB6_14843:                            ;   in Loop: Header=BB6_12577 Depth=3
	s_or_saveexec_b32 s16, s16
	v_mov_b32_e32 v4, 0x7f800001
	s_xor_b32 exec_lo, exec_lo, s16
	s_cbranch_execz .LBB6_13177
.LBB6_14844:                            ;   in Loop: Header=BB6_12577 Depth=3
	v_cmp_ne_u16_e32 vcc_lo, 0, v5
	v_mov_b32_e32 v4, 0
	s_andn2_b32 s72, s72, exec_lo
	s_and_b32 s73, vcc_lo, exec_lo
	s_or_b32 s72, s72, s73
	s_or_b32 exec_lo, exec_lo, s16
	s_and_saveexec_b32 s16, s72
	s_cbranch_execnz .LBB6_13178
	s_branch .LBB6_13179
.LBB6_14845:                            ;   in Loop: Header=BB6_12577 Depth=3
	s_or_saveexec_b32 s72, s72
	v_mov_b32_e32 v4, 0x7f800001
	s_xor_b32 exec_lo, exec_lo, s72
	s_cbranch_execz .LBB6_13191
.LBB6_14846:                            ;   in Loop: Header=BB6_12577 Depth=3
	v_cmp_ne_u16_sdwa s73, v10, v2 src0_sel:BYTE_3 src1_sel:DWORD
	v_mov_b32_e32 v4, 0
	s_andn2_b32 s16, s16, exec_lo
	s_and_b32 s73, s73, exec_lo
	s_or_b32 s16, s16, s73
	s_or_b32 exec_lo, exec_lo, s72
	s_and_saveexec_b32 s72, s16
	s_cbranch_execnz .LBB6_13192
	s_branch .LBB6_13193
.LBB6_14847:                            ;   in Loop: Header=BB6_12577 Depth=3
	s_or_saveexec_b32 s16, s16
	v_mov_b32_e32 v4, 0x7f800001
	s_xor_b32 exec_lo, exec_lo, s16
	s_cbranch_execz .LBB6_13205
.LBB6_14848:                            ;   in Loop: Header=BB6_12577 Depth=3
	v_cmp_ne_u16_sdwa s73, v11, v2 src0_sel:BYTE_0 src1_sel:DWORD
	v_mov_b32_e32 v4, 0
	s_andn2_b32 s72, s72, exec_lo
	s_and_b32 s73, s73, exec_lo
	s_or_b32 s72, s72, s73
	s_or_b32 exec_lo, exec_lo, s16
	s_and_saveexec_b32 s16, s72
	s_cbranch_execnz .LBB6_13206
	s_branch .LBB6_13207
.LBB6_14849:                            ;   in Loop: Header=BB6_12577 Depth=3
	s_or_saveexec_b32 s72, s72
	v_mov_b32_e32 v4, 0x7f800001
	s_xor_b32 exec_lo, exec_lo, s72
	s_cbranch_execz .LBB6_13219
.LBB6_14850:                            ;   in Loop: Header=BB6_12577 Depth=3
	v_cmp_ne_u16_sdwa s73, v11, v2 src0_sel:BYTE_1 src1_sel:DWORD
	v_mov_b32_e32 v4, 0
	s_andn2_b32 s16, s16, exec_lo
	s_and_b32 s73, s73, exec_lo
	s_or_b32 s16, s16, s73
	s_or_b32 exec_lo, exec_lo, s72
	s_and_saveexec_b32 s72, s16
	s_cbranch_execnz .LBB6_13220
	s_branch .LBB6_13221
.LBB6_14851:                            ;   in Loop: Header=BB6_12577 Depth=3
	s_or_saveexec_b32 s16, s16
	v_mov_b32_e32 v4, 0x7f800001
	s_xor_b32 exec_lo, exec_lo, s16
	s_cbranch_execz .LBB6_13233
.LBB6_14852:                            ;   in Loop: Header=BB6_12577 Depth=3
	v_cmp_ne_u16_e32 vcc_lo, 0, v5
	v_mov_b32_e32 v4, 0
	s_andn2_b32 s72, s72, exec_lo
	s_and_b32 s73, vcc_lo, exec_lo
	s_or_b32 s72, s72, s73
	s_or_b32 exec_lo, exec_lo, s16
	s_and_saveexec_b32 s16, s72
	s_cbranch_execnz .LBB6_13234
	s_branch .LBB6_13235
.LBB6_14853:                            ;   in Loop: Header=BB6_12577 Depth=3
	s_or_saveexec_b32 s72, s72
	v_mov_b32_e32 v4, 0x7f800001
	s_xor_b32 exec_lo, exec_lo, s72
	s_cbranch_execz .LBB6_13247
.LBB6_14854:                            ;   in Loop: Header=BB6_12577 Depth=3
	v_cmp_ne_u16_sdwa s73, v11, v2 src0_sel:BYTE_3 src1_sel:DWORD
	v_mov_b32_e32 v4, 0
	s_andn2_b32 s16, s16, exec_lo
	s_and_b32 s73, s73, exec_lo
	s_or_b32 s16, s16, s73
	s_or_b32 exec_lo, exec_lo, s72
	s_and_saveexec_b32 s72, s16
	s_cbranch_execnz .LBB6_13248
	s_branch .LBB6_13249
.LBB6_14855:                            ;   in Loop: Header=BB6_12577 Depth=3
	s_or_saveexec_b32 s16, s16
	v_mov_b32_e32 v4, 0x7f800001
	s_xor_b32 exec_lo, exec_lo, s16
	s_cbranch_execz .LBB6_13261
.LBB6_14856:                            ;   in Loop: Header=BB6_12577 Depth=3
	v_cmp_ne_u16_sdwa s73, v8, v2 src0_sel:BYTE_0 src1_sel:DWORD
	v_mov_b32_e32 v4, 0
	s_andn2_b32 s72, s72, exec_lo
	s_and_b32 s73, s73, exec_lo
	s_or_b32 s72, s72, s73
	s_or_b32 exec_lo, exec_lo, s16
	s_and_saveexec_b32 s16, s72
	s_cbranch_execnz .LBB6_13262
	s_branch .LBB6_13263
.LBB6_14857:                            ;   in Loop: Header=BB6_12577 Depth=3
	s_or_saveexec_b32 s72, s72
	v_mov_b32_e32 v4, 0x7f800001
	s_xor_b32 exec_lo, exec_lo, s72
	s_cbranch_execz .LBB6_13275
.LBB6_14858:                            ;   in Loop: Header=BB6_12577 Depth=3
	v_cmp_ne_u16_sdwa s73, v8, v2 src0_sel:BYTE_1 src1_sel:DWORD
	v_mov_b32_e32 v4, 0
	s_andn2_b32 s16, s16, exec_lo
	s_and_b32 s73, s73, exec_lo
	s_or_b32 s16, s16, s73
	s_or_b32 exec_lo, exec_lo, s72
	s_and_saveexec_b32 s72, s16
	s_cbranch_execnz .LBB6_13276
	s_branch .LBB6_13277
.LBB6_14859:                            ;   in Loop: Header=BB6_12577 Depth=3
	s_or_saveexec_b32 s16, s16
	v_mov_b32_e32 v4, 0x7f800001
	s_xor_b32 exec_lo, exec_lo, s16
	s_cbranch_execz .LBB6_13289
.LBB6_14860:                            ;   in Loop: Header=BB6_12577 Depth=3
	v_cmp_ne_u16_e32 vcc_lo, 0, v5
	v_mov_b32_e32 v4, 0
	s_andn2_b32 s72, s72, exec_lo
	s_and_b32 s73, vcc_lo, exec_lo
	s_or_b32 s72, s72, s73
	s_or_b32 exec_lo, exec_lo, s16
	s_and_saveexec_b32 s16, s72
	s_cbranch_execnz .LBB6_13290
	s_branch .LBB6_13291
.LBB6_14861:                            ;   in Loop: Header=BB6_12577 Depth=3
	s_or_saveexec_b32 s72, s72
	v_mov_b32_e32 v4, 0x7f800001
	s_xor_b32 exec_lo, exec_lo, s72
	s_cbranch_execz .LBB6_13303
.LBB6_14862:                            ;   in Loop: Header=BB6_12577 Depth=3
	v_cmp_ne_u16_sdwa s73, v8, v2 src0_sel:BYTE_3 src1_sel:DWORD
	v_mov_b32_e32 v4, 0
	s_andn2_b32 s16, s16, exec_lo
	s_and_b32 s73, s73, exec_lo
	s_or_b32 s16, s16, s73
	s_or_b32 exec_lo, exec_lo, s72
	s_and_saveexec_b32 s72, s16
	s_cbranch_execnz .LBB6_13304
	s_branch .LBB6_13305
.LBB6_14863:                            ;   in Loop: Header=BB6_12577 Depth=3
	s_or_saveexec_b32 s16, s16
	v_mov_b32_e32 v4, 0x7f800001
	s_xor_b32 exec_lo, exec_lo, s16
	s_cbranch_execz .LBB6_13317
.LBB6_14864:                            ;   in Loop: Header=BB6_12577 Depth=3
	v_cmp_ne_u16_sdwa s73, v9, v2 src0_sel:BYTE_0 src1_sel:DWORD
	v_mov_b32_e32 v4, 0
	s_andn2_b32 s72, s72, exec_lo
	s_and_b32 s73, s73, exec_lo
	s_or_b32 s72, s72, s73
	s_or_b32 exec_lo, exec_lo, s16
	s_and_saveexec_b32 s16, s72
	s_cbranch_execnz .LBB6_13318
	s_branch .LBB6_13319
.LBB6_14865:                            ;   in Loop: Header=BB6_12577 Depth=3
	s_or_saveexec_b32 s72, s72
	v_mov_b32_e32 v4, 0x7f800001
	s_xor_b32 exec_lo, exec_lo, s72
	s_cbranch_execz .LBB6_13331
.LBB6_14866:                            ;   in Loop: Header=BB6_12577 Depth=3
	v_cmp_ne_u16_sdwa s73, v9, v2 src0_sel:BYTE_1 src1_sel:DWORD
	v_mov_b32_e32 v4, 0
	s_andn2_b32 s16, s16, exec_lo
	s_and_b32 s73, s73, exec_lo
	s_or_b32 s16, s16, s73
	s_or_b32 exec_lo, exec_lo, s72
	s_and_saveexec_b32 s72, s16
	s_cbranch_execnz .LBB6_13332
	s_branch .LBB6_13333
.LBB6_14867:                            ;   in Loop: Header=BB6_12577 Depth=3
	s_or_saveexec_b32 s16, s16
	v_mov_b32_e32 v4, 0x7f800001
	s_xor_b32 exec_lo, exec_lo, s16
	s_cbranch_execz .LBB6_13345
.LBB6_14868:                            ;   in Loop: Header=BB6_12577 Depth=3
	v_cmp_ne_u16_e32 vcc_lo, 0, v6
	v_mov_b32_e32 v4, 0
	s_andn2_b32 s72, s72, exec_lo
	s_and_b32 s73, vcc_lo, exec_lo
	s_or_b32 s72, s72, s73
	s_or_b32 exec_lo, exec_lo, s16
	s_and_saveexec_b32 s16, s72
	s_cbranch_execnz .LBB6_13346
	s_branch .LBB6_13347
.LBB6_14869:                            ;   in Loop: Header=BB6_12577 Depth=3
	s_or_saveexec_b32 s72, s72
	v_mov_b32_e32 v4, 0x7f800001
	s_xor_b32 exec_lo, exec_lo, s72
	s_cbranch_execz .LBB6_13359
.LBB6_14870:                            ;   in Loop: Header=BB6_12577 Depth=3
	v_cmp_ne_u16_sdwa s73, v9, v2 src0_sel:BYTE_3 src1_sel:DWORD
	v_mov_b32_e32 v4, 0
	s_andn2_b32 s16, s16, exec_lo
	s_and_b32 s73, s73, exec_lo
	s_or_b32 s16, s16, s73
	s_or_b32 exec_lo, exec_lo, s72
	s_and_saveexec_b32 s72, s16
	s_cbranch_execnz .LBB6_13360
	s_branch .LBB6_13361
.LBB6_14871:                            ;   in Loop: Header=BB6_12577 Depth=3
	s_or_saveexec_b32 s16, s16
	v_mov_b32_e32 v6, 0x7f800001
	s_xor_b32 exec_lo, exec_lo, s16
	s_cbranch_execz .LBB6_13373
.LBB6_14872:                            ;   in Loop: Header=BB6_12577 Depth=3
	v_cmp_ne_u16_sdwa s73, v10, v2 src0_sel:BYTE_0 src1_sel:DWORD
	v_mov_b32_e32 v6, 0
	s_andn2_b32 s72, s72, exec_lo
	s_and_b32 s73, s73, exec_lo
	s_or_b32 s72, s72, s73
	s_or_b32 exec_lo, exec_lo, s16
	s_and_saveexec_b32 s16, s72
	s_cbranch_execnz .LBB6_13374
	s_branch .LBB6_13375
.LBB6_14873:                            ;   in Loop: Header=BB6_12577 Depth=3
	s_or_saveexec_b32 s72, s72
	v_mov_b32_e32 v6, 0x7f800001
	s_xor_b32 exec_lo, exec_lo, s72
	s_cbranch_execz .LBB6_13387
.LBB6_14874:                            ;   in Loop: Header=BB6_12577 Depth=3
	v_cmp_ne_u16_sdwa s73, v10, v2 src0_sel:BYTE_1 src1_sel:DWORD
	v_mov_b32_e32 v6, 0
	s_andn2_b32 s16, s16, exec_lo
	s_and_b32 s73, s73, exec_lo
	s_or_b32 s16, s16, s73
	s_or_b32 exec_lo, exec_lo, s72
	s_and_saveexec_b32 s72, s16
	s_cbranch_execnz .LBB6_13388
	s_branch .LBB6_13389
.LBB6_14875:                            ;   in Loop: Header=BB6_12577 Depth=3
	s_or_saveexec_b32 s16, s16
	v_mov_b32_e32 v6, 0x7f800001
	s_xor_b32 exec_lo, exec_lo, s16
	s_cbranch_execz .LBB6_13401
.LBB6_14876:                            ;   in Loop: Header=BB6_12577 Depth=3
	v_cmp_ne_u16_e32 vcc_lo, 0, v7
	v_mov_b32_e32 v6, 0
	s_andn2_b32 s72, s72, exec_lo
	s_and_b32 s73, vcc_lo, exec_lo
	s_or_b32 s72, s72, s73
	s_or_b32 exec_lo, exec_lo, s16
	s_and_saveexec_b32 s16, s72
	s_cbranch_execnz .LBB6_13402
	s_branch .LBB6_13403
.LBB6_14877:                            ;   in Loop: Header=BB6_12577 Depth=3
	s_or_saveexec_b32 s72, s72
	v_mov_b32_e32 v6, 0x7f800001
	s_xor_b32 exec_lo, exec_lo, s72
	s_cbranch_execz .LBB6_13415
.LBB6_14878:                            ;   in Loop: Header=BB6_12577 Depth=3
	v_cmp_ne_u16_sdwa s73, v10, v2 src0_sel:BYTE_3 src1_sel:DWORD
	v_mov_b32_e32 v6, 0
	s_andn2_b32 s16, s16, exec_lo
	s_and_b32 s73, s73, exec_lo
	s_or_b32 s16, s16, s73
	s_or_b32 exec_lo, exec_lo, s72
	s_and_saveexec_b32 s72, s16
	s_cbranch_execnz .LBB6_13416
	s_branch .LBB6_13417
.LBB6_14879:                            ;   in Loop: Header=BB6_12577 Depth=3
	s_or_saveexec_b32 s16, s16
	v_mov_b32_e32 v6, 0x7f800001
	s_xor_b32 exec_lo, exec_lo, s16
	s_cbranch_execz .LBB6_13429
.LBB6_14880:                            ;   in Loop: Header=BB6_12577 Depth=3
	v_cmp_ne_u16_sdwa s73, v11, v2 src0_sel:BYTE_0 src1_sel:DWORD
	v_mov_b32_e32 v6, 0
	s_andn2_b32 s72, s72, exec_lo
	s_and_b32 s73, s73, exec_lo
	s_or_b32 s72, s72, s73
	s_or_b32 exec_lo, exec_lo, s16
	s_and_saveexec_b32 s16, s72
	s_cbranch_execnz .LBB6_13430
	s_branch .LBB6_13431
.LBB6_14881:                            ;   in Loop: Header=BB6_12577 Depth=3
	s_or_saveexec_b32 s72, s72
	v_mov_b32_e32 v6, 0x7f800001
	s_xor_b32 exec_lo, exec_lo, s72
	s_cbranch_execz .LBB6_13443
.LBB6_14882:                            ;   in Loop: Header=BB6_12577 Depth=3
	v_cmp_ne_u16_sdwa s73, v11, v2 src0_sel:BYTE_1 src1_sel:DWORD
	v_mov_b32_e32 v6, 0
	s_andn2_b32 s16, s16, exec_lo
	s_and_b32 s73, s73, exec_lo
	s_or_b32 s16, s16, s73
	s_or_b32 exec_lo, exec_lo, s72
	s_and_saveexec_b32 s72, s16
	s_cbranch_execnz .LBB6_13444
	s_branch .LBB6_13445
.LBB6_14883:                            ;   in Loop: Header=BB6_12577 Depth=3
	s_or_saveexec_b32 s16, s16
	v_mov_b32_e32 v6, 0x7f800001
	s_xor_b32 exec_lo, exec_lo, s16
	s_cbranch_execz .LBB6_13457
.LBB6_14884:                            ;   in Loop: Header=BB6_12577 Depth=3
	v_cmp_ne_u16_e32 vcc_lo, 0, v7
	v_mov_b32_e32 v6, 0
	s_andn2_b32 s72, s72, exec_lo
	s_and_b32 s73, vcc_lo, exec_lo
	s_or_b32 s72, s72, s73
	s_or_b32 exec_lo, exec_lo, s16
	s_and_saveexec_b32 s16, s72
	s_cbranch_execnz .LBB6_13458
	s_branch .LBB6_13459
.LBB6_14885:                            ;   in Loop: Header=BB6_12577 Depth=3
	s_or_saveexec_b32 s72, s72
	v_mov_b32_e32 v6, 0x7f800001
	s_xor_b32 exec_lo, exec_lo, s72
	s_cbranch_execz .LBB6_13471
.LBB6_14886:                            ;   in Loop: Header=BB6_12577 Depth=3
	v_cmp_ne_u16_sdwa s73, v11, v2 src0_sel:BYTE_3 src1_sel:DWORD
	v_mov_b32_e32 v6, 0
	s_andn2_b32 s16, s16, exec_lo
	s_and_b32 s73, s73, exec_lo
	s_or_b32 s16, s16, s73
	s_or_b32 exec_lo, exec_lo, s72
	s_and_saveexec_b32 s72, s16
	s_cbranch_execnz .LBB6_13472
	s_branch .LBB6_13473
.LBB6_14887:                            ;   in Loop: Header=BB6_12577 Depth=3
	s_or_saveexec_b32 s16, s16
	v_mov_b32_e32 v7, 0x7f800001
	s_xor_b32 exec_lo, exec_lo, s16
	s_cbranch_execz .LBB6_13485
.LBB6_14888:                            ;   in Loop: Header=BB6_12577 Depth=3
	v_cmp_ne_u16_sdwa s72, v6, v2 src0_sel:BYTE_0 src1_sel:DWORD
	v_mov_b32_e32 v7, 0
	s_andn2_b32 s23, s23, exec_lo
	s_and_b32 s72, s72, exec_lo
	s_or_b32 s23, s23, s72
	s_or_b32 exec_lo, exec_lo, s16
	s_and_saveexec_b32 s16, s23
	s_cbranch_execnz .LBB6_13486
	s_branch .LBB6_13487
.LBB6_14889:                            ;   in Loop: Header=BB6_12577 Depth=3
	s_or_saveexec_b32 s16, s16
	v_mov_b32_e32 v26, 0x7f800001
	s_xor_b32 exec_lo, exec_lo, s16
	s_cbranch_execz .LBB6_13491
.LBB6_14890:                            ;   in Loop: Header=BB6_12577 Depth=3
	v_cmp_ne_u16_sdwa s72, v20, v2 src0_sel:BYTE_0 src1_sel:DWORD
	v_mov_b32_e32 v26, 0
	s_andn2_b32 s23, s23, exec_lo
	s_and_b32 s72, s72, exec_lo
	s_or_b32 s23, s23, s72
	s_or_b32 exec_lo, exec_lo, s16
	s_and_saveexec_b32 s16, s23
	s_cbranch_execnz .LBB6_13492
	s_branch .LBB6_13493
.LBB6_14891:                            ;   in Loop: Header=BB6_12577 Depth=3
	s_or_saveexec_b32 s16, s16
	v_mov_b32_e32 v7, 0x7f800001
	s_xor_b32 exec_lo, exec_lo, s16
	s_cbranch_execz .LBB6_13505
.LBB6_14892:                            ;   in Loop: Header=BB6_12577 Depth=3
	v_cmp_ne_u16_sdwa s72, v6, v2 src0_sel:BYTE_1 src1_sel:DWORD
	v_mov_b32_e32 v7, 0
	s_andn2_b32 s23, s23, exec_lo
	s_and_b32 s72, s72, exec_lo
	s_or_b32 s23, s23, s72
	s_or_b32 exec_lo, exec_lo, s16
	s_and_saveexec_b32 s16, s23
	s_cbranch_execnz .LBB6_13506
	s_branch .LBB6_13507
.LBB6_14893:                            ;   in Loop: Header=BB6_12577 Depth=3
	s_or_saveexec_b32 s16, s16
	v_mov_b32_e32 v27, 0x7f800001
	s_xor_b32 exec_lo, exec_lo, s16
	s_cbranch_execz .LBB6_13511
.LBB6_14894:                            ;   in Loop: Header=BB6_12577 Depth=3
	v_cmp_ne_u16_sdwa s72, v20, v2 src0_sel:BYTE_1 src1_sel:DWORD
	v_mov_b32_e32 v27, 0
	s_andn2_b32 s23, s23, exec_lo
	s_and_b32 s72, s72, exec_lo
	s_or_b32 s23, s23, s72
	s_or_b32 exec_lo, exec_lo, s16
	s_and_saveexec_b32 s16, s23
	s_cbranch_execnz .LBB6_13512
	s_branch .LBB6_13513
.LBB6_14895:                            ;   in Loop: Header=BB6_12577 Depth=3
	s_or_saveexec_b32 s16, s16
	v_mov_b32_e32 v7, 0x7f800001
	s_xor_b32 exec_lo, exec_lo, s16
	s_cbranch_execz .LBB6_13525
.LBB6_14896:                            ;   in Loop: Header=BB6_12577 Depth=3
	v_cmp_ne_u16_sdwa s72, v36, v2 src0_sel:BYTE_0 src1_sel:DWORD
	v_mov_b32_e32 v7, 0
	s_andn2_b32 s23, s23, exec_lo
	s_and_b32 s72, s72, exec_lo
	s_or_b32 s23, s23, s72
	s_or_b32 exec_lo, exec_lo, s16
	v_lshl_or_b32 v6, v36, 16, v6
	s_and_saveexec_b32 s16, s23
	s_cbranch_execnz .LBB6_13526
	s_branch .LBB6_13527
.LBB6_14897:                            ;   in Loop: Header=BB6_12577 Depth=3
	s_or_saveexec_b32 s16, s16
	v_mov_b32_e32 v36, 0x7f800001
	s_xor_b32 exec_lo, exec_lo, s16
	s_cbranch_execz .LBB6_13531
.LBB6_14898:                            ;   in Loop: Header=BB6_12577 Depth=3
	v_cmp_ne_u16_e32 vcc_lo, 0, v37
	v_mov_b32_e32 v36, 0
	s_andn2_b32 s23, s23, exec_lo
	s_and_b32 s72, vcc_lo, exec_lo
	s_or_b32 s23, s23, s72
	s_or_b32 exec_lo, exec_lo, s16
	s_and_saveexec_b32 s16, s23
	s_cbranch_execnz .LBB6_13532
	s_branch .LBB6_13533
.LBB6_14899:                            ;   in Loop: Header=BB6_12577 Depth=3
	s_or_saveexec_b32 s16, s16
	v_mov_b32_e32 v7, 0x7f800001
	s_xor_b32 exec_lo, exec_lo, s16
	s_cbranch_execz .LBB6_13545
.LBB6_14900:                            ;   in Loop: Header=BB6_12577 Depth=3
	v_cmp_ne_u16_sdwa s72, v6, v2 src0_sel:BYTE_3 src1_sel:DWORD
	v_mov_b32_e32 v7, 0
	s_andn2_b32 s23, s23, exec_lo
	s_and_b32 s72, s72, exec_lo
	s_or_b32 s23, s23, s72
	s_or_b32 exec_lo, exec_lo, s16
	s_and_saveexec_b32 s16, s23
	s_cbranch_execnz .LBB6_13546
	s_branch .LBB6_13547
.LBB6_14901:                            ;   in Loop: Header=BB6_12577 Depth=3
	s_or_saveexec_b32 s16, s16
	v_mov_b32_e32 v6, 0x7f800001
	s_xor_b32 exec_lo, exec_lo, s16
	s_cbranch_execz .LBB6_13551
.LBB6_14902:                            ;   in Loop: Header=BB6_12577 Depth=3
	v_cmp_ne_u16_sdwa s72, v20, v2 src0_sel:BYTE_3 src1_sel:DWORD
	v_mov_b32_e32 v6, 0
	s_andn2_b32 s23, s23, exec_lo
	s_and_b32 s72, s72, exec_lo
	s_or_b32 s23, s23, s72
	s_or_b32 exec_lo, exec_lo, s16
	s_and_saveexec_b32 s16, s23
	s_cbranch_execnz .LBB6_13552
	s_branch .LBB6_13553
.LBB6_14903:                            ;   in Loop: Header=BB6_12577 Depth=3
	s_or_saveexec_b32 s16, s16
	v_mov_b32_e32 v7, 0x7f800001
	s_xor_b32 exec_lo, exec_lo, s16
	s_cbranch_execz .LBB6_13565
.LBB6_14904:                            ;   in Loop: Header=BB6_12577 Depth=3
	v_cmp_ne_u16_sdwa s72, v6, v2 src0_sel:BYTE_0 src1_sel:DWORD
	v_mov_b32_e32 v7, 0
	s_andn2_b32 s23, s23, exec_lo
	s_and_b32 s72, s72, exec_lo
	s_or_b32 s23, s23, s72
	s_or_b32 exec_lo, exec_lo, s16
	s_and_saveexec_b32 s16, s23
	s_cbranch_execnz .LBB6_13566
	s_branch .LBB6_13567
.LBB6_14905:                            ;   in Loop: Header=BB6_12577 Depth=3
	s_or_saveexec_b32 s16, s16
	v_mov_b32_e32 v36, 0x7f800001
	s_xor_b32 exec_lo, exec_lo, s16
	s_cbranch_execz .LBB6_13571
.LBB6_14906:                            ;   in Loop: Header=BB6_12577 Depth=3
	v_cmp_ne_u16_sdwa s72, v21, v2 src0_sel:BYTE_0 src1_sel:DWORD
	v_mov_b32_e32 v36, 0
	s_andn2_b32 s23, s23, exec_lo
	s_and_b32 s72, s72, exec_lo
	s_or_b32 s23, s23, s72
	s_or_b32 exec_lo, exec_lo, s16
	s_and_saveexec_b32 s16, s23
	s_cbranch_execnz .LBB6_13572
	s_branch .LBB6_13573
.LBB6_14907:                            ;   in Loop: Header=BB6_12577 Depth=3
	s_or_saveexec_b32 s16, s16
	v_mov_b32_e32 v7, 0x7f800001
	s_xor_b32 exec_lo, exec_lo, s16
	s_cbranch_execz .LBB6_13585
.LBB6_14908:                            ;   in Loop: Header=BB6_12577 Depth=3
	v_cmp_ne_u16_sdwa s72, v6, v2 src0_sel:BYTE_1 src1_sel:DWORD
	v_mov_b32_e32 v7, 0
	s_andn2_b32 s23, s23, exec_lo
	s_and_b32 s72, s72, exec_lo
	s_or_b32 s23, s23, s72
	s_or_b32 exec_lo, exec_lo, s16
	s_and_saveexec_b32 s16, s23
	s_cbranch_execnz .LBB6_13586
	s_branch .LBB6_13587
.LBB6_14909:                            ;   in Loop: Header=BB6_12577 Depth=3
	s_or_saveexec_b32 s16, s16
	v_mov_b32_e32 v36, 0x7f800001
	s_xor_b32 exec_lo, exec_lo, s16
	s_cbranch_execz .LBB6_13591
.LBB6_14910:                            ;   in Loop: Header=BB6_12577 Depth=3
	v_cmp_ne_u16_sdwa s72, v21, v2 src0_sel:BYTE_1 src1_sel:DWORD
	v_mov_b32_e32 v36, 0
	s_andn2_b32 s23, s23, exec_lo
	s_and_b32 s72, s72, exec_lo
	s_or_b32 s23, s23, s72
	s_or_b32 exec_lo, exec_lo, s16
	s_and_saveexec_b32 s16, s23
	s_cbranch_execnz .LBB6_13592
	s_branch .LBB6_13593
.LBB6_14911:                            ;   in Loop: Header=BB6_12577 Depth=3
	s_or_saveexec_b32 s16, s16
	v_mov_b32_e32 v7, 0x7f800001
	s_xor_b32 exec_lo, exec_lo, s16
	s_cbranch_execz .LBB6_13605
.LBB6_14912:                            ;   in Loop: Header=BB6_12577 Depth=3
	v_cmp_ne_u16_sdwa s72, v36, v2 src0_sel:BYTE_0 src1_sel:DWORD
	v_mov_b32_e32 v7, 0
	s_andn2_b32 s23, s23, exec_lo
	s_and_b32 s72, s72, exec_lo
	s_or_b32 s23, s23, s72
	s_or_b32 exec_lo, exec_lo, s16
	v_lshl_or_b32 v6, v36, 16, v6
	s_and_saveexec_b32 s16, s23
	s_cbranch_execnz .LBB6_13606
	s_branch .LBB6_13607
.LBB6_14913:                            ;   in Loop: Header=BB6_12577 Depth=3
	s_or_saveexec_b32 s16, s16
	v_mov_b32_e32 v36, 0x7f800001
	s_xor_b32 exec_lo, exec_lo, s16
	s_cbranch_execz .LBB6_13611
.LBB6_14914:                            ;   in Loop: Header=BB6_12577 Depth=3
	v_cmp_ne_u16_e32 vcc_lo, 0, v37
	v_mov_b32_e32 v36, 0
	s_andn2_b32 s23, s23, exec_lo
	s_and_b32 s72, vcc_lo, exec_lo
	s_or_b32 s23, s23, s72
	s_or_b32 exec_lo, exec_lo, s16
	s_and_saveexec_b32 s16, s23
	s_cbranch_execnz .LBB6_13612
	s_branch .LBB6_13613
.LBB6_14915:                            ;   in Loop: Header=BB6_12577 Depth=3
	s_or_saveexec_b32 s16, s16
	v_mov_b32_e32 v7, 0x7f800001
	s_xor_b32 exec_lo, exec_lo, s16
	s_cbranch_execz .LBB6_13625
.LBB6_14916:                            ;   in Loop: Header=BB6_12577 Depth=3
	v_cmp_ne_u16_sdwa s72, v6, v2 src0_sel:BYTE_3 src1_sel:DWORD
	v_mov_b32_e32 v7, 0
	s_andn2_b32 s23, s23, exec_lo
	s_and_b32 s72, s72, exec_lo
	s_or_b32 s23, s23, s72
	s_or_b32 exec_lo, exec_lo, s16
	s_and_saveexec_b32 s16, s23
	s_cbranch_execnz .LBB6_13626
	s_branch .LBB6_13627
.LBB6_14917:                            ;   in Loop: Header=BB6_12577 Depth=3
	s_or_saveexec_b32 s16, s16
	v_mov_b32_e32 v6, 0x7f800001
	s_xor_b32 exec_lo, exec_lo, s16
	s_cbranch_execz .LBB6_13631
.LBB6_14918:                            ;   in Loop: Header=BB6_12577 Depth=3
	v_cmp_ne_u16_sdwa s72, v21, v2 src0_sel:BYTE_3 src1_sel:DWORD
	v_mov_b32_e32 v6, 0
	s_andn2_b32 s23, s23, exec_lo
	s_and_b32 s72, s72, exec_lo
	s_or_b32 s23, s23, s72
	s_or_b32 exec_lo, exec_lo, s16
	s_and_saveexec_b32 s16, s23
	s_cbranch_execnz .LBB6_13632
	s_branch .LBB6_13633
.LBB6_14919:                            ;   in Loop: Header=BB6_12577 Depth=3
	s_or_saveexec_b32 s16, s16
	v_mov_b32_e32 v7, 0x7f800001
	s_xor_b32 exec_lo, exec_lo, s16
	s_cbranch_execz .LBB6_13645
.LBB6_14920:                            ;   in Loop: Header=BB6_12577 Depth=3
	v_cmp_ne_u16_sdwa s72, v6, v2 src0_sel:BYTE_0 src1_sel:DWORD
	v_mov_b32_e32 v7, 0
	s_andn2_b32 s23, s23, exec_lo
	s_and_b32 s72, s72, exec_lo
	s_or_b32 s23, s23, s72
	s_or_b32 exec_lo, exec_lo, s16
	s_and_saveexec_b32 s16, s23
	s_cbranch_execnz .LBB6_13646
	s_branch .LBB6_13647
.LBB6_14921:                            ;   in Loop: Header=BB6_12577 Depth=3
	s_or_saveexec_b32 s16, s16
	v_mov_b32_e32 v36, 0x7f800001
	s_xor_b32 exec_lo, exec_lo, s16
	s_cbranch_execz .LBB6_13651
.LBB6_14922:                            ;   in Loop: Header=BB6_12577 Depth=3
	v_cmp_ne_u16_sdwa s72, v22, v2 src0_sel:BYTE_0 src1_sel:DWORD
	v_mov_b32_e32 v36, 0
	s_andn2_b32 s23, s23, exec_lo
	s_and_b32 s72, s72, exec_lo
	s_or_b32 s23, s23, s72
	s_or_b32 exec_lo, exec_lo, s16
	s_and_saveexec_b32 s16, s23
	s_cbranch_execnz .LBB6_13652
	s_branch .LBB6_13653
.LBB6_14923:                            ;   in Loop: Header=BB6_12577 Depth=3
	s_or_saveexec_b32 s16, s16
	v_mov_b32_e32 v7, 0x7f800001
	s_xor_b32 exec_lo, exec_lo, s16
	s_cbranch_execz .LBB6_13665
.LBB6_14924:                            ;   in Loop: Header=BB6_12577 Depth=3
	v_cmp_ne_u16_sdwa s72, v6, v2 src0_sel:BYTE_1 src1_sel:DWORD
	v_mov_b32_e32 v7, 0
	s_andn2_b32 s23, s23, exec_lo
	s_and_b32 s72, s72, exec_lo
	s_or_b32 s23, s23, s72
	s_or_b32 exec_lo, exec_lo, s16
	s_and_saveexec_b32 s16, s23
	s_cbranch_execnz .LBB6_13666
	s_branch .LBB6_13667
.LBB6_14925:                            ;   in Loop: Header=BB6_12577 Depth=3
	s_or_saveexec_b32 s16, s16
	v_mov_b32_e32 v36, 0x7f800001
	s_xor_b32 exec_lo, exec_lo, s16
	s_cbranch_execz .LBB6_13671
.LBB6_14926:                            ;   in Loop: Header=BB6_12577 Depth=3
	v_cmp_ne_u16_sdwa s72, v22, v2 src0_sel:BYTE_1 src1_sel:DWORD
	v_mov_b32_e32 v36, 0
	s_andn2_b32 s23, s23, exec_lo
	s_and_b32 s72, s72, exec_lo
	s_or_b32 s23, s23, s72
	s_or_b32 exec_lo, exec_lo, s16
	s_and_saveexec_b32 s16, s23
	s_cbranch_execnz .LBB6_13672
	s_branch .LBB6_13673
.LBB6_14927:                            ;   in Loop: Header=BB6_12577 Depth=3
	s_or_saveexec_b32 s16, s16
	v_mov_b32_e32 v7, 0x7f800001
	s_xor_b32 exec_lo, exec_lo, s16
	s_cbranch_execz .LBB6_13685
.LBB6_14928:                            ;   in Loop: Header=BB6_12577 Depth=3
	v_cmp_ne_u16_sdwa s72, v36, v2 src0_sel:BYTE_0 src1_sel:DWORD
	v_mov_b32_e32 v7, 0
	s_andn2_b32 s23, s23, exec_lo
	s_and_b32 s72, s72, exec_lo
	s_or_b32 s23, s23, s72
	s_or_b32 exec_lo, exec_lo, s16
	v_lshl_or_b32 v6, v36, 16, v6
	s_and_saveexec_b32 s16, s23
	s_cbranch_execnz .LBB6_13686
	s_branch .LBB6_13687
.LBB6_14929:                            ;   in Loop: Header=BB6_12577 Depth=3
	s_or_saveexec_b32 s16, s16
	v_mov_b32_e32 v36, 0x7f800001
	s_xor_b32 exec_lo, exec_lo, s16
	s_cbranch_execz .LBB6_13691
.LBB6_14930:                            ;   in Loop: Header=BB6_12577 Depth=3
	v_cmp_ne_u16_e32 vcc_lo, 0, v37
	v_mov_b32_e32 v36, 0
	s_andn2_b32 s23, s23, exec_lo
	s_and_b32 s72, vcc_lo, exec_lo
	s_or_b32 s23, s23, s72
	s_or_b32 exec_lo, exec_lo, s16
	s_and_saveexec_b32 s16, s23
	s_cbranch_execnz .LBB6_13692
	s_branch .LBB6_13693
.LBB6_14931:                            ;   in Loop: Header=BB6_12577 Depth=3
	s_or_saveexec_b32 s16, s16
	v_mov_b32_e32 v7, 0x7f800001
	s_xor_b32 exec_lo, exec_lo, s16
	s_cbranch_execz .LBB6_13705
.LBB6_14932:                            ;   in Loop: Header=BB6_12577 Depth=3
	v_cmp_ne_u16_sdwa s72, v6, v2 src0_sel:BYTE_3 src1_sel:DWORD
	v_mov_b32_e32 v7, 0
	s_andn2_b32 s23, s23, exec_lo
	s_and_b32 s72, s72, exec_lo
	s_or_b32 s23, s23, s72
	s_or_b32 exec_lo, exec_lo, s16
	s_and_saveexec_b32 s16, s23
	s_cbranch_execnz .LBB6_13706
	s_branch .LBB6_13707
.LBB6_14933:                            ;   in Loop: Header=BB6_12577 Depth=3
	s_or_saveexec_b32 s16, s16
	v_mov_b32_e32 v6, 0x7f800001
	s_xor_b32 exec_lo, exec_lo, s16
	s_cbranch_execz .LBB6_13711
.LBB6_14934:                            ;   in Loop: Header=BB6_12577 Depth=3
	v_cmp_ne_u16_sdwa s72, v22, v2 src0_sel:BYTE_3 src1_sel:DWORD
	v_mov_b32_e32 v6, 0
	s_andn2_b32 s23, s23, exec_lo
	s_and_b32 s72, s72, exec_lo
	s_or_b32 s23, s23, s72
	s_or_b32 exec_lo, exec_lo, s16
	s_and_saveexec_b32 s16, s23
	s_cbranch_execnz .LBB6_13712
	s_branch .LBB6_13713
.LBB6_14935:                            ;   in Loop: Header=BB6_12577 Depth=3
	s_or_saveexec_b32 s16, s16
	v_mov_b32_e32 v7, 0x7f800001
	s_xor_b32 exec_lo, exec_lo, s16
	s_cbranch_execz .LBB6_13725
.LBB6_14936:                            ;   in Loop: Header=BB6_12577 Depth=3
	v_cmp_ne_u16_sdwa s72, v6, v2 src0_sel:BYTE_0 src1_sel:DWORD
	v_mov_b32_e32 v7, 0
	s_andn2_b32 s23, s23, exec_lo
	s_and_b32 s72, s72, exec_lo
	s_or_b32 s23, s23, s72
	s_or_b32 exec_lo, exec_lo, s16
	s_and_saveexec_b32 s16, s23
	s_cbranch_execnz .LBB6_13726
	s_branch .LBB6_13727
.LBB6_14937:                            ;   in Loop: Header=BB6_12577 Depth=3
	s_or_saveexec_b32 s16, s16
	v_mov_b32_e32 v36, 0x7f800001
	s_xor_b32 exec_lo, exec_lo, s16
	s_cbranch_execz .LBB6_13731
.LBB6_14938:                            ;   in Loop: Header=BB6_12577 Depth=3
	v_cmp_ne_u16_sdwa s72, v23, v2 src0_sel:BYTE_0 src1_sel:DWORD
	v_mov_b32_e32 v36, 0
	s_andn2_b32 s23, s23, exec_lo
	s_and_b32 s72, s72, exec_lo
	s_or_b32 s23, s23, s72
	s_or_b32 exec_lo, exec_lo, s16
	s_and_saveexec_b32 s16, s23
	s_cbranch_execnz .LBB6_13732
	s_branch .LBB6_13733
.LBB6_14939:                            ;   in Loop: Header=BB6_12577 Depth=3
	s_or_saveexec_b32 s16, s16
	v_mov_b32_e32 v7, 0x7f800001
	s_xor_b32 exec_lo, exec_lo, s16
	s_cbranch_execz .LBB6_13745
.LBB6_14940:                            ;   in Loop: Header=BB6_12577 Depth=3
	v_cmp_ne_u16_sdwa s72, v6, v2 src0_sel:BYTE_1 src1_sel:DWORD
	v_mov_b32_e32 v7, 0
	s_andn2_b32 s23, s23, exec_lo
	s_and_b32 s72, s72, exec_lo
	s_or_b32 s23, s23, s72
	s_or_b32 exec_lo, exec_lo, s16
	s_and_saveexec_b32 s16, s23
	s_cbranch_execnz .LBB6_13746
	s_branch .LBB6_13747
.LBB6_14941:                            ;   in Loop: Header=BB6_12577 Depth=3
	s_or_saveexec_b32 s16, s16
	v_mov_b32_e32 v36, 0x7f800001
	s_xor_b32 exec_lo, exec_lo, s16
	s_cbranch_execz .LBB6_13751
.LBB6_14942:                            ;   in Loop: Header=BB6_12577 Depth=3
	v_cmp_ne_u16_sdwa s72, v23, v2 src0_sel:BYTE_1 src1_sel:DWORD
	v_mov_b32_e32 v36, 0
	s_andn2_b32 s23, s23, exec_lo
	s_and_b32 s72, s72, exec_lo
	s_or_b32 s23, s23, s72
	s_or_b32 exec_lo, exec_lo, s16
	s_and_saveexec_b32 s16, s23
	s_cbranch_execnz .LBB6_13752
	s_branch .LBB6_13753
.LBB6_14943:                            ;   in Loop: Header=BB6_12577 Depth=3
	s_or_saveexec_b32 s16, s16
	v_mov_b32_e32 v7, 0x7f800001
	s_xor_b32 exec_lo, exec_lo, s16
	s_cbranch_execz .LBB6_13765
.LBB6_14944:                            ;   in Loop: Header=BB6_12577 Depth=3
	v_cmp_ne_u16_sdwa s72, v36, v2 src0_sel:BYTE_0 src1_sel:DWORD
	v_mov_b32_e32 v7, 0
	s_andn2_b32 s23, s23, exec_lo
	s_and_b32 s72, s72, exec_lo
	s_or_b32 s23, s23, s72
	s_or_b32 exec_lo, exec_lo, s16
	v_lshl_or_b32 v6, v36, 16, v6
	s_and_saveexec_b32 s16, s23
	s_cbranch_execnz .LBB6_13766
	s_branch .LBB6_13767
.LBB6_14945:                            ;   in Loop: Header=BB6_12577 Depth=3
	s_or_saveexec_b32 s16, s16
	v_mov_b32_e32 v36, 0x7f800001
	s_xor_b32 exec_lo, exec_lo, s16
	s_cbranch_execz .LBB6_13771
.LBB6_14946:                            ;   in Loop: Header=BB6_12577 Depth=3
	v_cmp_ne_u16_e32 vcc_lo, 0, v37
	v_mov_b32_e32 v36, 0
	s_andn2_b32 s23, s23, exec_lo
	s_and_b32 s72, vcc_lo, exec_lo
	s_or_b32 s23, s23, s72
	s_or_b32 exec_lo, exec_lo, s16
	s_and_saveexec_b32 s16, s23
	s_cbranch_execnz .LBB6_13772
	s_branch .LBB6_13773
.LBB6_14947:                            ;   in Loop: Header=BB6_12577 Depth=3
	s_or_saveexec_b32 s16, s16
	v_mov_b32_e32 v7, 0x7f800001
	s_xor_b32 exec_lo, exec_lo, s16
	s_cbranch_execz .LBB6_13785
.LBB6_14948:                            ;   in Loop: Header=BB6_12577 Depth=3
	v_cmp_ne_u16_sdwa s72, v6, v2 src0_sel:BYTE_3 src1_sel:DWORD
	v_mov_b32_e32 v7, 0
	s_andn2_b32 s23, s23, exec_lo
	s_and_b32 s72, s72, exec_lo
	s_or_b32 s23, s23, s72
	s_or_b32 exec_lo, exec_lo, s16
	s_and_saveexec_b32 s16, s23
	s_cbranch_execnz .LBB6_13786
	s_branch .LBB6_13787
.LBB6_14949:                            ;   in Loop: Header=BB6_12577 Depth=3
	s_or_saveexec_b32 s16, s16
	v_mov_b32_e32 v6, 0x7f800001
	s_xor_b32 exec_lo, exec_lo, s16
	s_cbranch_execz .LBB6_13791
.LBB6_14950:                            ;   in Loop: Header=BB6_12577 Depth=3
	v_cmp_ne_u16_sdwa s72, v23, v2 src0_sel:BYTE_3 src1_sel:DWORD
	v_mov_b32_e32 v6, 0
	s_andn2_b32 s23, s23, exec_lo
	s_and_b32 s72, s72, exec_lo
	s_or_b32 s23, s23, s72
	s_or_b32 exec_lo, exec_lo, s16
	s_and_saveexec_b32 s16, s23
	s_cbranch_execnz .LBB6_13792
	s_branch .LBB6_13793
.LBB6_14951:                            ;   in Loop: Header=BB6_12577 Depth=3
	s_or_saveexec_b32 s16, s16
	v_mov_b32_e32 v0, 0x7f800001
	s_xor_b32 exec_lo, exec_lo, s16
	s_cbranch_execz .LBB6_13805
.LBB6_14952:                            ;   in Loop: Header=BB6_12577 Depth=3
	v_cmp_ne_u16_sdwa s72, v6, v2 src0_sel:BYTE_0 src1_sel:DWORD
	v_mov_b32_e32 v0, 0
	s_andn2_b32 s23, s23, exec_lo
	s_and_b32 s72, s72, exec_lo
	s_or_b32 s23, s23, s72
	s_or_b32 exec_lo, exec_lo, s16
	s_and_saveexec_b32 s16, s23
	s_cbranch_execnz .LBB6_13806
	s_branch .LBB6_13807
.LBB6_14953:                            ;   in Loop: Header=BB6_12577 Depth=3
	s_or_saveexec_b32 s16, s16
	v_mov_b32_e32 v7, 0x7f800001
	s_xor_b32 exec_lo, exec_lo, s16
	s_cbranch_execz .LBB6_13811
.LBB6_14954:                            ;   in Loop: Header=BB6_12577 Depth=3
	v_cmp_ne_u16_sdwa s72, v16, v2 src0_sel:BYTE_0 src1_sel:DWORD
	v_mov_b32_e32 v7, 0
	s_andn2_b32 s23, s23, exec_lo
	s_and_b32 s72, s72, exec_lo
	s_or_b32 s23, s23, s72
	s_or_b32 exec_lo, exec_lo, s16
	s_and_saveexec_b32 s16, s23
	s_cbranch_execnz .LBB6_13812
	s_branch .LBB6_13813
.LBB6_14955:                            ;   in Loop: Header=BB6_12577 Depth=3
	s_or_saveexec_b32 s23, s23
	v_mov_b32_e32 v7, 0x7f800001
	s_xor_b32 exec_lo, exec_lo, s23
	s_cbranch_execz .LBB6_13825
.LBB6_14956:                            ;   in Loop: Header=BB6_12577 Depth=3
	v_cmp_ne_u16_sdwa s72, v6, v2 src0_sel:BYTE_1 src1_sel:DWORD
	v_mov_b32_e32 v7, 0
	s_andn2_b32 s16, s16, exec_lo
	s_and_b32 s72, s72, exec_lo
	s_or_b32 s16, s16, s72
	s_or_b32 exec_lo, exec_lo, s23
	s_and_saveexec_b32 s23, s16
	s_cbranch_execnz .LBB6_13826
	s_branch .LBB6_13827
.LBB6_14957:                            ;   in Loop: Header=BB6_12577 Depth=3
	s_or_saveexec_b32 s23, s23
	v_mov_b32_e32 v36, 0x7f800001
	s_xor_b32 exec_lo, exec_lo, s23
	s_cbranch_execz .LBB6_13831
.LBB6_14958:                            ;   in Loop: Header=BB6_12577 Depth=3
	v_cmp_ne_u16_sdwa s72, v16, v2 src0_sel:BYTE_1 src1_sel:DWORD
	v_mov_b32_e32 v36, 0
	s_andn2_b32 s16, s16, exec_lo
	s_and_b32 s72, s72, exec_lo
	s_or_b32 s16, s16, s72
	s_or_b32 exec_lo, exec_lo, s23
	s_and_saveexec_b32 s23, s16
	s_cbranch_execnz .LBB6_13832
	s_branch .LBB6_13833
.LBB6_14959:                            ;   in Loop: Header=BB6_12577 Depth=3
	s_or_saveexec_b32 s16, s16
	v_mov_b32_e32 v7, 0x7f800001
	s_xor_b32 exec_lo, exec_lo, s16
	s_cbranch_execz .LBB6_13845
.LBB6_14960:                            ;   in Loop: Header=BB6_12577 Depth=3
	v_cmp_ne_u16_sdwa s72, v36, v2 src0_sel:BYTE_0 src1_sel:DWORD
	v_mov_b32_e32 v7, 0
	s_andn2_b32 s23, s23, exec_lo
	s_and_b32 s72, s72, exec_lo
	s_or_b32 s23, s23, s72
	s_or_b32 exec_lo, exec_lo, s16
	v_lshl_or_b32 v6, v36, 16, v6
	s_and_saveexec_b32 s16, s23
	s_cbranch_execnz .LBB6_13846
	s_branch .LBB6_13847
.LBB6_14961:                            ;   in Loop: Header=BB6_12577 Depth=3
	s_or_saveexec_b32 s16, s16
	v_mov_b32_e32 v36, 0x7f800001
	s_xor_b32 exec_lo, exec_lo, s16
	s_cbranch_execz .LBB6_13851
.LBB6_14962:                            ;   in Loop: Header=BB6_12577 Depth=3
	v_cmp_ne_u16_e32 vcc_lo, 0, v37
	v_mov_b32_e32 v36, 0
	s_andn2_b32 s23, s23, exec_lo
	s_and_b32 s72, vcc_lo, exec_lo
	s_or_b32 s23, s23, s72
	s_or_b32 exec_lo, exec_lo, s16
	s_and_saveexec_b32 s16, s23
	s_cbranch_execnz .LBB6_13852
	s_branch .LBB6_13853
.LBB6_14963:                            ;   in Loop: Header=BB6_12577 Depth=3
	s_or_saveexec_b32 s23, s23
	v_mov_b32_e32 v7, 0x7f800001
	s_xor_b32 exec_lo, exec_lo, s23
	s_cbranch_execz .LBB6_13865
.LBB6_14964:                            ;   in Loop: Header=BB6_12577 Depth=3
	v_cmp_ne_u16_sdwa s72, v6, v2 src0_sel:BYTE_3 src1_sel:DWORD
	v_mov_b32_e32 v7, 0
	s_andn2_b32 s16, s16, exec_lo
	s_and_b32 s72, s72, exec_lo
	s_or_b32 s16, s16, s72
	s_or_b32 exec_lo, exec_lo, s23
	s_and_saveexec_b32 s23, s16
	s_cbranch_execnz .LBB6_13866
	s_branch .LBB6_13867
.LBB6_14965:                            ;   in Loop: Header=BB6_12577 Depth=3
	s_or_saveexec_b32 s23, s23
	v_mov_b32_e32 v6, 0x7f800001
	s_xor_b32 exec_lo, exec_lo, s23
	s_cbranch_execz .LBB6_13871
.LBB6_14966:                            ;   in Loop: Header=BB6_12577 Depth=3
	v_cmp_ne_u16_sdwa s72, v16, v2 src0_sel:BYTE_3 src1_sel:DWORD
	v_mov_b32_e32 v6, 0
	s_andn2_b32 s16, s16, exec_lo
	s_and_b32 s72, s72, exec_lo
	s_or_b32 s16, s16, s72
	s_or_b32 exec_lo, exec_lo, s23
	s_and_saveexec_b32 s23, s16
	s_cbranch_execnz .LBB6_13872
	s_branch .LBB6_13873
.LBB6_14967:                            ;   in Loop: Header=BB6_12577 Depth=3
	s_or_saveexec_b32 s16, s16
	v_mov_b32_e32 v7, 0x7f800001
	s_xor_b32 exec_lo, exec_lo, s16
	s_cbranch_execz .LBB6_13885
.LBB6_14968:                            ;   in Loop: Header=BB6_12577 Depth=3
	v_cmp_ne_u16_sdwa s72, v6, v2 src0_sel:BYTE_0 src1_sel:DWORD
	v_mov_b32_e32 v7, 0
	s_andn2_b32 s23, s23, exec_lo
	s_and_b32 s72, s72, exec_lo
	s_or_b32 s23, s23, s72
	s_or_b32 exec_lo, exec_lo, s16
	s_and_saveexec_b32 s16, s23
	s_cbranch_execnz .LBB6_13886
	s_branch .LBB6_13887
.LBB6_14969:                            ;   in Loop: Header=BB6_12577 Depth=3
	s_or_saveexec_b32 s16, s16
	v_mov_b32_e32 v36, 0x7f800001
	s_xor_b32 exec_lo, exec_lo, s16
	s_cbranch_execz .LBB6_13891
.LBB6_14970:                            ;   in Loop: Header=BB6_12577 Depth=3
	v_cmp_ne_u16_sdwa s72, v17, v2 src0_sel:BYTE_0 src1_sel:DWORD
	v_mov_b32_e32 v36, 0
	s_andn2_b32 s23, s23, exec_lo
	s_and_b32 s72, s72, exec_lo
	s_or_b32 s23, s23, s72
	s_or_b32 exec_lo, exec_lo, s16
	s_and_saveexec_b32 s16, s23
	s_cbranch_execnz .LBB6_13892
	s_branch .LBB6_13893
.LBB6_14971:                            ;   in Loop: Header=BB6_12577 Depth=3
	s_or_saveexec_b32 s23, s23
	v_mov_b32_e32 v7, 0x7f800001
	s_xor_b32 exec_lo, exec_lo, s23
	s_cbranch_execz .LBB6_13905
.LBB6_14972:                            ;   in Loop: Header=BB6_12577 Depth=3
	v_cmp_ne_u16_sdwa s72, v6, v2 src0_sel:BYTE_1 src1_sel:DWORD
	v_mov_b32_e32 v7, 0
	s_andn2_b32 s16, s16, exec_lo
	s_and_b32 s72, s72, exec_lo
	s_or_b32 s16, s16, s72
	s_or_b32 exec_lo, exec_lo, s23
	s_and_saveexec_b32 s23, s16
	s_cbranch_execnz .LBB6_13906
	s_branch .LBB6_13907
.LBB6_14973:                            ;   in Loop: Header=BB6_12577 Depth=3
	s_or_saveexec_b32 s23, s23
	v_mov_b32_e32 v36, 0x7f800001
	s_xor_b32 exec_lo, exec_lo, s23
	s_cbranch_execz .LBB6_13911
.LBB6_14974:                            ;   in Loop: Header=BB6_12577 Depth=3
	v_cmp_ne_u16_sdwa s72, v17, v2 src0_sel:BYTE_1 src1_sel:DWORD
	v_mov_b32_e32 v36, 0
	s_andn2_b32 s16, s16, exec_lo
	s_and_b32 s72, s72, exec_lo
	s_or_b32 s16, s16, s72
	s_or_b32 exec_lo, exec_lo, s23
	s_and_saveexec_b32 s23, s16
	s_cbranch_execnz .LBB6_13912
	s_branch .LBB6_13913
.LBB6_14975:                            ;   in Loop: Header=BB6_12577 Depth=3
	s_or_saveexec_b32 s16, s16
	v_mov_b32_e32 v7, 0x7f800001
	s_xor_b32 exec_lo, exec_lo, s16
	s_cbranch_execz .LBB6_13925
.LBB6_14976:                            ;   in Loop: Header=BB6_12577 Depth=3
	v_cmp_ne_u16_sdwa s72, v36, v2 src0_sel:BYTE_0 src1_sel:DWORD
	v_mov_b32_e32 v7, 0
	s_andn2_b32 s23, s23, exec_lo
	s_and_b32 s72, s72, exec_lo
	s_or_b32 s23, s23, s72
	s_or_b32 exec_lo, exec_lo, s16
	v_lshl_or_b32 v6, v36, 16, v6
	s_and_saveexec_b32 s16, s23
	s_cbranch_execnz .LBB6_13926
	s_branch .LBB6_13927
.LBB6_14977:                            ;   in Loop: Header=BB6_12577 Depth=3
	s_or_saveexec_b32 s16, s16
	v_mov_b32_e32 v36, 0x7f800001
	s_xor_b32 exec_lo, exec_lo, s16
	s_cbranch_execz .LBB6_13931
.LBB6_14978:                            ;   in Loop: Header=BB6_12577 Depth=3
	v_cmp_ne_u16_e32 vcc_lo, 0, v37
	v_mov_b32_e32 v36, 0
	s_andn2_b32 s23, s23, exec_lo
	s_and_b32 s72, vcc_lo, exec_lo
	s_or_b32 s23, s23, s72
	s_or_b32 exec_lo, exec_lo, s16
	s_and_saveexec_b32 s16, s23
	s_cbranch_execnz .LBB6_13932
	s_branch .LBB6_13933
.LBB6_14979:                            ;   in Loop: Header=BB6_12577 Depth=3
	s_or_saveexec_b32 s23, s23
	v_mov_b32_e32 v7, 0x7f800001
	s_xor_b32 exec_lo, exec_lo, s23
	s_cbranch_execz .LBB6_13945
.LBB6_14980:                            ;   in Loop: Header=BB6_12577 Depth=3
	v_cmp_ne_u16_sdwa s72, v6, v2 src0_sel:BYTE_3 src1_sel:DWORD
	v_mov_b32_e32 v7, 0
	s_andn2_b32 s16, s16, exec_lo
	s_and_b32 s72, s72, exec_lo
	s_or_b32 s16, s16, s72
	s_or_b32 exec_lo, exec_lo, s23
	s_and_saveexec_b32 s23, s16
	s_cbranch_execnz .LBB6_13946
	s_branch .LBB6_13947
.LBB6_14981:                            ;   in Loop: Header=BB6_12577 Depth=3
	s_or_saveexec_b32 s23, s23
	v_mov_b32_e32 v6, 0x7f800001
	s_xor_b32 exec_lo, exec_lo, s23
	s_cbranch_execz .LBB6_13951
.LBB6_14982:                            ;   in Loop: Header=BB6_12577 Depth=3
	v_cmp_ne_u16_sdwa s72, v17, v2 src0_sel:BYTE_3 src1_sel:DWORD
	v_mov_b32_e32 v6, 0
	s_andn2_b32 s16, s16, exec_lo
	s_and_b32 s72, s72, exec_lo
	s_or_b32 s16, s16, s72
	s_or_b32 exec_lo, exec_lo, s23
	s_and_saveexec_b32 s23, s16
	s_cbranch_execnz .LBB6_13952
	s_branch .LBB6_13953
.LBB6_14983:                            ;   in Loop: Header=BB6_12577 Depth=3
	s_or_saveexec_b32 s16, s16
	v_mov_b32_e32 v7, 0x7f800001
	s_xor_b32 exec_lo, exec_lo, s16
	s_cbranch_execz .LBB6_13965
.LBB6_14984:                            ;   in Loop: Header=BB6_12577 Depth=3
	v_cmp_ne_u16_sdwa s72, v6, v2 src0_sel:BYTE_0 src1_sel:DWORD
	v_mov_b32_e32 v7, 0
	s_andn2_b32 s23, s23, exec_lo
	s_and_b32 s72, s72, exec_lo
	s_or_b32 s23, s23, s72
	s_or_b32 exec_lo, exec_lo, s16
	s_and_saveexec_b32 s16, s23
	s_cbranch_execnz .LBB6_13966
	s_branch .LBB6_13967
.LBB6_14985:                            ;   in Loop: Header=BB6_12577 Depth=3
	s_or_saveexec_b32 s16, s16
	v_mov_b32_e32 v36, 0x7f800001
	s_xor_b32 exec_lo, exec_lo, s16
	s_cbranch_execz .LBB6_13971
.LBB6_14986:                            ;   in Loop: Header=BB6_12577 Depth=3
	v_cmp_ne_u16_sdwa s72, v18, v2 src0_sel:BYTE_0 src1_sel:DWORD
	v_mov_b32_e32 v36, 0
	s_andn2_b32 s23, s23, exec_lo
	s_and_b32 s72, s72, exec_lo
	s_or_b32 s23, s23, s72
	s_or_b32 exec_lo, exec_lo, s16
	s_and_saveexec_b32 s16, s23
	s_cbranch_execnz .LBB6_13972
	s_branch .LBB6_13973
.LBB6_14987:                            ;   in Loop: Header=BB6_12577 Depth=3
	s_or_saveexec_b32 s23, s23
	v_mov_b32_e32 v7, 0x7f800001
	s_xor_b32 exec_lo, exec_lo, s23
	s_cbranch_execz .LBB6_13985
.LBB6_14988:                            ;   in Loop: Header=BB6_12577 Depth=3
	v_cmp_ne_u16_sdwa s72, v6, v2 src0_sel:BYTE_1 src1_sel:DWORD
	v_mov_b32_e32 v7, 0
	s_andn2_b32 s16, s16, exec_lo
	s_and_b32 s72, s72, exec_lo
	s_or_b32 s16, s16, s72
	s_or_b32 exec_lo, exec_lo, s23
	s_and_saveexec_b32 s23, s16
	s_cbranch_execnz .LBB6_13986
	s_branch .LBB6_13987
.LBB6_14989:                            ;   in Loop: Header=BB6_12577 Depth=3
	s_or_saveexec_b32 s23, s23
	v_mov_b32_e32 v36, 0x7f800001
	s_xor_b32 exec_lo, exec_lo, s23
	s_cbranch_execz .LBB6_13991
.LBB6_14990:                            ;   in Loop: Header=BB6_12577 Depth=3
	v_cmp_ne_u16_sdwa s72, v18, v2 src0_sel:BYTE_1 src1_sel:DWORD
	v_mov_b32_e32 v36, 0
	s_andn2_b32 s16, s16, exec_lo
	s_and_b32 s72, s72, exec_lo
	s_or_b32 s16, s16, s72
	s_or_b32 exec_lo, exec_lo, s23
	s_and_saveexec_b32 s23, s16
	s_cbranch_execnz .LBB6_13992
	s_branch .LBB6_13993
.LBB6_14991:                            ;   in Loop: Header=BB6_12577 Depth=3
	s_or_saveexec_b32 s16, s16
	v_mov_b32_e32 v7, 0x7f800001
	s_xor_b32 exec_lo, exec_lo, s16
	s_cbranch_execz .LBB6_14005
.LBB6_14992:                            ;   in Loop: Header=BB6_12577 Depth=3
	v_cmp_ne_u16_sdwa s72, v36, v2 src0_sel:BYTE_0 src1_sel:DWORD
	v_mov_b32_e32 v7, 0
	s_andn2_b32 s23, s23, exec_lo
	s_and_b32 s72, s72, exec_lo
	s_or_b32 s23, s23, s72
	s_or_b32 exec_lo, exec_lo, s16
	v_lshl_or_b32 v6, v36, 16, v6
	s_and_saveexec_b32 s16, s23
	s_cbranch_execnz .LBB6_14006
	s_branch .LBB6_14007
.LBB6_14993:                            ;   in Loop: Header=BB6_12577 Depth=3
	s_or_saveexec_b32 s16, s16
	v_mov_b32_e32 v36, 0x7f800001
	s_xor_b32 exec_lo, exec_lo, s16
	s_cbranch_execz .LBB6_14011
.LBB6_14994:                            ;   in Loop: Header=BB6_12577 Depth=3
	v_cmp_ne_u16_e32 vcc_lo, 0, v37
	v_mov_b32_e32 v36, 0
	s_andn2_b32 s23, s23, exec_lo
	s_and_b32 s72, vcc_lo, exec_lo
	s_or_b32 s23, s23, s72
	s_or_b32 exec_lo, exec_lo, s16
	s_and_saveexec_b32 s16, s23
	s_cbranch_execnz .LBB6_14012
	s_branch .LBB6_14013
.LBB6_14995:                            ;   in Loop: Header=BB6_12577 Depth=3
	s_or_saveexec_b32 s23, s23
	v_mov_b32_e32 v7, 0x7f800001
	s_xor_b32 exec_lo, exec_lo, s23
	s_cbranch_execz .LBB6_14025
.LBB6_14996:                            ;   in Loop: Header=BB6_12577 Depth=3
	v_cmp_ne_u16_sdwa s72, v6, v2 src0_sel:BYTE_3 src1_sel:DWORD
	v_mov_b32_e32 v7, 0
	s_andn2_b32 s16, s16, exec_lo
	s_and_b32 s72, s72, exec_lo
	s_or_b32 s16, s16, s72
	s_or_b32 exec_lo, exec_lo, s23
	s_and_saveexec_b32 s23, s16
	s_cbranch_execnz .LBB6_14026
	s_branch .LBB6_14027
.LBB6_14997:                            ;   in Loop: Header=BB6_12577 Depth=3
	s_or_saveexec_b32 s23, s23
	v_mov_b32_e32 v6, 0x7f800001
	s_xor_b32 exec_lo, exec_lo, s23
	s_cbranch_execz .LBB6_14031
.LBB6_14998:                            ;   in Loop: Header=BB6_12577 Depth=3
	v_cmp_ne_u16_sdwa s72, v18, v2 src0_sel:BYTE_3 src1_sel:DWORD
	v_mov_b32_e32 v6, 0
	s_andn2_b32 s16, s16, exec_lo
	s_and_b32 s72, s72, exec_lo
	s_or_b32 s16, s16, s72
	s_or_b32 exec_lo, exec_lo, s23
	s_and_saveexec_b32 s23, s16
	s_cbranch_execnz .LBB6_14032
	s_branch .LBB6_14033
.LBB6_14999:                            ;   in Loop: Header=BB6_12577 Depth=3
	s_or_saveexec_b32 s16, s16
	v_mov_b32_e32 v7, 0x7f800001
	s_xor_b32 exec_lo, exec_lo, s16
	s_cbranch_execz .LBB6_14045
.LBB6_15000:                            ;   in Loop: Header=BB6_12577 Depth=3
	v_cmp_ne_u16_sdwa s72, v6, v2 src0_sel:BYTE_0 src1_sel:DWORD
	v_mov_b32_e32 v7, 0
	s_andn2_b32 s23, s23, exec_lo
	s_and_b32 s72, s72, exec_lo
	s_or_b32 s23, s23, s72
	s_or_b32 exec_lo, exec_lo, s16
	s_and_saveexec_b32 s16, s23
	s_cbranch_execnz .LBB6_14046
	s_branch .LBB6_14047
.LBB6_15001:                            ;   in Loop: Header=BB6_12577 Depth=3
	s_or_saveexec_b32 s16, s16
	v_mov_b32_e32 v36, 0x7f800001
	s_xor_b32 exec_lo, exec_lo, s16
	s_cbranch_execz .LBB6_14051
.LBB6_15002:                            ;   in Loop: Header=BB6_12577 Depth=3
	v_cmp_ne_u16_sdwa s72, v19, v2 src0_sel:BYTE_0 src1_sel:DWORD
	v_mov_b32_e32 v36, 0
	s_andn2_b32 s23, s23, exec_lo
	s_and_b32 s72, s72, exec_lo
	s_or_b32 s23, s23, s72
	s_or_b32 exec_lo, exec_lo, s16
	s_and_saveexec_b32 s16, s23
	s_cbranch_execnz .LBB6_14052
	s_branch .LBB6_14053
.LBB6_15003:                            ;   in Loop: Header=BB6_12577 Depth=3
	s_or_saveexec_b32 s23, s23
	v_mov_b32_e32 v7, 0x7f800001
	s_xor_b32 exec_lo, exec_lo, s23
	s_cbranch_execz .LBB6_14065
.LBB6_15004:                            ;   in Loop: Header=BB6_12577 Depth=3
	v_cmp_ne_u16_sdwa s72, v6, v2 src0_sel:BYTE_1 src1_sel:DWORD
	v_mov_b32_e32 v7, 0
	s_andn2_b32 s16, s16, exec_lo
	s_and_b32 s72, s72, exec_lo
	s_or_b32 s16, s16, s72
	s_or_b32 exec_lo, exec_lo, s23
	s_and_saveexec_b32 s23, s16
	s_cbranch_execnz .LBB6_14066
	s_branch .LBB6_14067
.LBB6_15005:                            ;   in Loop: Header=BB6_12577 Depth=3
	s_or_saveexec_b32 s23, s23
	v_mov_b32_e32 v36, 0x7f800001
	s_xor_b32 exec_lo, exec_lo, s23
	s_cbranch_execz .LBB6_14071
.LBB6_15006:                            ;   in Loop: Header=BB6_12577 Depth=3
	v_cmp_ne_u16_sdwa s72, v19, v2 src0_sel:BYTE_1 src1_sel:DWORD
	v_mov_b32_e32 v36, 0
	s_andn2_b32 s16, s16, exec_lo
	s_and_b32 s72, s72, exec_lo
	s_or_b32 s16, s16, s72
	s_or_b32 exec_lo, exec_lo, s23
	s_and_saveexec_b32 s23, s16
	s_cbranch_execnz .LBB6_14072
	s_branch .LBB6_14073
.LBB6_15007:                            ;   in Loop: Header=BB6_12577 Depth=3
	s_or_saveexec_b32 s16, s16
	v_mov_b32_e32 v7, 0x7f800001
	s_xor_b32 exec_lo, exec_lo, s16
	s_cbranch_execz .LBB6_14085
.LBB6_15008:                            ;   in Loop: Header=BB6_12577 Depth=3
	v_cmp_ne_u16_sdwa s72, v37, v2 src0_sel:BYTE_0 src1_sel:DWORD
	v_mov_b32_e32 v7, 0
	s_andn2_b32 s23, s23, exec_lo
	s_and_b32 s72, s72, exec_lo
	s_or_b32 s23, s23, s72
	s_or_b32 exec_lo, exec_lo, s16
	v_lshl_or_b32 v6, v37, 16, v6
	s_and_saveexec_b32 s16, s23
	s_cbranch_execnz .LBB6_14086
	s_branch .LBB6_14087
.LBB6_15009:                            ;   in Loop: Header=BB6_12577 Depth=3
	s_or_saveexec_b32 s16, s16
	v_mov_b32_e32 v37, 0x7f800001
	s_xor_b32 exec_lo, exec_lo, s16
	s_cbranch_execz .LBB6_14091
.LBB6_15010:                            ;   in Loop: Header=BB6_12577 Depth=3
	v_cmp_ne_u16_e32 vcc_lo, 0, v81
	v_mov_b32_e32 v37, 0
	s_andn2_b32 s23, s23, exec_lo
	s_and_b32 s72, vcc_lo, exec_lo
	s_or_b32 s23, s23, s72
	s_or_b32 exec_lo, exec_lo, s16
	s_and_saveexec_b32 s16, s23
	s_cbranch_execnz .LBB6_14092
	s_branch .LBB6_14093
.LBB6_15011:                            ;   in Loop: Header=BB6_12577 Depth=3
	s_or_saveexec_b32 s23, s23
	v_mov_b32_e32 v7, 0x7f800001
	s_xor_b32 exec_lo, exec_lo, s23
	s_cbranch_execz .LBB6_14105
.LBB6_15012:                            ;   in Loop: Header=BB6_12577 Depth=3
	v_cmp_ne_u16_sdwa s72, v6, v2 src0_sel:BYTE_3 src1_sel:DWORD
	v_mov_b32_e32 v7, 0
	s_andn2_b32 s16, s16, exec_lo
	s_and_b32 s72, s72, exec_lo
	s_or_b32 s16, s16, s72
	s_or_b32 exec_lo, exec_lo, s23
	s_and_saveexec_b32 s23, s16
	s_cbranch_execnz .LBB6_14106
	s_branch .LBB6_14107
.LBB6_15013:                            ;   in Loop: Header=BB6_12577 Depth=3
	s_or_saveexec_b32 s23, s23
	v_mov_b32_e32 v6, 0x7f800001
	s_xor_b32 exec_lo, exec_lo, s23
	s_cbranch_execz .LBB6_14111
.LBB6_15014:                            ;   in Loop: Header=BB6_12577 Depth=3
	v_cmp_ne_u16_sdwa s72, v19, v2 src0_sel:BYTE_3 src1_sel:DWORD
	v_mov_b32_e32 v6, 0
	s_andn2_b32 s16, s16, exec_lo
	s_and_b32 s72, s72, exec_lo
	s_or_b32 s16, s16, s72
	s_or_b32 exec_lo, exec_lo, s23
	s_and_saveexec_b32 s23, s16
	s_cbranch_execnz .LBB6_14112
	s_branch .LBB6_14113
.LBB6_15015:                            ;   in Loop: Header=BB6_12577 Depth=3
	s_or_saveexec_b32 s16, s16
	v_mov_b32_e32 v7, 0x7f800001
	s_xor_b32 exec_lo, exec_lo, s16
	s_cbranch_execz .LBB6_14125
.LBB6_15016:                            ;   in Loop: Header=BB6_12577 Depth=3
	v_cmp_ne_u16_sdwa s72, v81, v2 src0_sel:BYTE_0 src1_sel:DWORD
	v_mov_b32_e32 v7, 0
	s_andn2_b32 s23, s23, exec_lo
	s_and_b32 s72, s72, exec_lo
	s_or_b32 s23, s23, s72
	s_or_b32 exec_lo, exec_lo, s16
	s_and_saveexec_b32 s16, s23
	s_cbranch_execnz .LBB6_14126
	s_branch .LBB6_14127
.LBB6_15017:                            ;   in Loop: Header=BB6_12577 Depth=3
	s_or_saveexec_b32 s16, s16
	v_mov_b32_e32 v19, 0x7f800001
	s_xor_b32 exec_lo, exec_lo, s16
	s_cbranch_execz .LBB6_14131
.LBB6_15018:                            ;   in Loop: Header=BB6_12577 Depth=3
	v_cmp_ne_u16_sdwa s72, v12, v2 src0_sel:BYTE_0 src1_sel:DWORD
	v_mov_b32_e32 v19, 0
	s_andn2_b32 s23, s23, exec_lo
	s_and_b32 s72, s72, exec_lo
	s_or_b32 s23, s23, s72
	s_or_b32 exec_lo, exec_lo, s16
	s_and_saveexec_b32 s16, s23
	s_cbranch_execnz .LBB6_14132
	s_branch .LBB6_14133
.LBB6_15019:                            ;   in Loop: Header=BB6_12577 Depth=3
	s_or_saveexec_b32 s23, s23
	v_mov_b32_e32 v19, 0x7f800001
	s_xor_b32 exec_lo, exec_lo, s23
	s_cbranch_execz .LBB6_14145
.LBB6_15020:                            ;   in Loop: Header=BB6_12577 Depth=3
	v_cmp_ne_u16_sdwa s72, v81, v2 src0_sel:BYTE_1 src1_sel:DWORD
	v_mov_b32_e32 v19, 0
	s_andn2_b32 s16, s16, exec_lo
	s_and_b32 s72, s72, exec_lo
	s_or_b32 s16, s16, s72
	s_or_b32 exec_lo, exec_lo, s23
	s_and_saveexec_b32 s23, s16
	s_cbranch_execnz .LBB6_14146
	s_branch .LBB6_14147
.LBB6_15021:                            ;   in Loop: Header=BB6_12577 Depth=3
	s_or_saveexec_b32 s23, s23
	v_mov_b32_e32 v101, 0x7f800001
	s_xor_b32 exec_lo, exec_lo, s23
	s_cbranch_execz .LBB6_14151
.LBB6_15022:                            ;   in Loop: Header=BB6_12577 Depth=3
	v_cmp_ne_u16_sdwa s72, v12, v2 src0_sel:BYTE_1 src1_sel:DWORD
	v_mov_b32_e32 v101, 0
	s_andn2_b32 s16, s16, exec_lo
	s_and_b32 s72, s72, exec_lo
	s_or_b32 s16, s16, s72
	s_or_b32 exec_lo, exec_lo, s23
	s_and_saveexec_b32 s23, s16
	s_cbranch_execnz .LBB6_14152
	s_branch .LBB6_14153
.LBB6_15023:                            ;   in Loop: Header=BB6_12577 Depth=3
	s_or_saveexec_b32 s16, s16
	v_mov_b32_e32 v113, 0x7f800001
	s_xor_b32 exec_lo, exec_lo, s16
	s_cbranch_execz .LBB6_14165
.LBB6_15024:                            ;   in Loop: Header=BB6_12577 Depth=3
	v_cmp_ne_u16_sdwa s72, v101, v2 src0_sel:BYTE_0 src1_sel:DWORD
	v_mov_b32_e32 v113, 0
	s_andn2_b32 s23, s23, exec_lo
	s_and_b32 s72, s72, exec_lo
	s_or_b32 s23, s23, s72
	s_or_b32 exec_lo, exec_lo, s16
	v_lshl_or_b32 v101, v101, 16, v81
	s_and_saveexec_b32 s16, s23
	s_cbranch_execnz .LBB6_14166
	s_branch .LBB6_14167
.LBB6_15025:                            ;   in Loop: Header=BB6_12577 Depth=3
	s_or_saveexec_b32 s16, s16
	v_mov_b32_e32 v81, 0x7f800001
	s_xor_b32 exec_lo, exec_lo, s16
	s_cbranch_execz .LBB6_14171
.LBB6_15026:                            ;   in Loop: Header=BB6_12577 Depth=3
	v_cmp_ne_u16_e32 vcc_lo, 0, v42
	v_mov_b32_e32 v81, 0
	s_andn2_b32 s23, s23, exec_lo
	s_and_b32 s72, vcc_lo, exec_lo
	s_or_b32 s23, s23, s72
	s_or_b32 exec_lo, exec_lo, s16
	s_and_saveexec_b32 s16, s23
	s_cbranch_execnz .LBB6_14172
	s_branch .LBB6_14173
.LBB6_15027:                            ;   in Loop: Header=BB6_12577 Depth=3
	s_or_saveexec_b32 s23, s23
	v_mov_b32_e32 v113, 0x7f800001
	s_xor_b32 exec_lo, exec_lo, s23
	s_cbranch_execz .LBB6_14185
.LBB6_15028:                            ;   in Loop: Header=BB6_12577 Depth=3
	v_cmp_ne_u16_sdwa s72, v101, v2 src0_sel:BYTE_3 src1_sel:DWORD
	v_mov_b32_e32 v113, 0
	s_andn2_b32 s16, s16, exec_lo
	s_and_b32 s72, s72, exec_lo
	s_or_b32 s16, s16, s72
	s_or_b32 exec_lo, exec_lo, s23
	s_and_saveexec_b32 s23, s16
	s_cbranch_execnz .LBB6_14186
	s_branch .LBB6_14187
.LBB6_15029:                            ;   in Loop: Header=BB6_12577 Depth=3
	s_or_saveexec_b32 s23, s23
	v_mov_b32_e32 v101, 0x7f800001
	s_xor_b32 exec_lo, exec_lo, s23
	s_cbranch_execz .LBB6_14191
.LBB6_15030:                            ;   in Loop: Header=BB6_12577 Depth=3
	v_cmp_ne_u16_sdwa s72, v12, v2 src0_sel:BYTE_3 src1_sel:DWORD
	v_mov_b32_e32 v101, 0
	s_andn2_b32 s16, s16, exec_lo
	s_and_b32 s72, s72, exec_lo
	s_or_b32 s16, s16, s72
	s_or_b32 exec_lo, exec_lo, s23
	s_and_saveexec_b32 s23, s16
	s_cbranch_execnz .LBB6_14192
	s_branch .LBB6_14193
.LBB6_15031:                            ;   in Loop: Header=BB6_12577 Depth=3
	s_or_saveexec_b32 s16, s16
	v_mov_b32_e32 v1, 0x7f800001
	s_xor_b32 exec_lo, exec_lo, s16
	s_cbranch_execz .LBB6_14205
.LBB6_15032:                            ;   in Loop: Header=BB6_12577 Depth=3
	v_cmp_ne_u16_sdwa s72, v101, v2 src0_sel:BYTE_0 src1_sel:DWORD
	v_mov_b32_e32 v1, 0
	s_andn2_b32 s23, s23, exec_lo
	s_and_b32 s72, s72, exec_lo
	s_or_b32 s23, s23, s72
	s_or_b32 exec_lo, exec_lo, s16
	s_and_saveexec_b32 s16, s23
	s_cbranch_execnz .LBB6_14206
	s_branch .LBB6_14207
.LBB6_15033:                            ;   in Loop: Header=BB6_12577 Depth=3
	s_or_saveexec_b32 s16, s16
	v_mov_b32_e32 v31, 0x7f800001
	s_xor_b32 exec_lo, exec_lo, s16
	s_cbranch_execz .LBB6_14211
.LBB6_15034:                            ;   in Loop: Header=BB6_12577 Depth=3
	v_cmp_ne_u16_sdwa s72, v13, v2 src0_sel:BYTE_0 src1_sel:DWORD
	v_mov_b32_e32 v31, 0
	s_andn2_b32 s23, s23, exec_lo
	s_and_b32 s72, s72, exec_lo
	s_or_b32 s23, s23, s72
	s_or_b32 exec_lo, exec_lo, s16
	s_and_saveexec_b32 s16, s23
	s_cbranch_execnz .LBB6_14212
	s_branch .LBB6_14213
.LBB6_15035:                            ;   in Loop: Header=BB6_12577 Depth=3
	s_or_saveexec_b32 s23, s23
	v_mov_b32_e32 v31, 0x7f800001
	s_xor_b32 exec_lo, exec_lo, s23
	s_cbranch_execz .LBB6_14225
.LBB6_15036:                            ;   in Loop: Header=BB6_12577 Depth=3
	v_cmp_ne_u16_sdwa s72, v101, v2 src0_sel:BYTE_1 src1_sel:DWORD
	v_mov_b32_e32 v31, 0
	s_andn2_b32 s16, s16, exec_lo
	s_and_b32 s72, s72, exec_lo
	s_or_b32 s16, s16, s72
	s_or_b32 exec_lo, exec_lo, s23
	s_and_saveexec_b32 s23, s16
	s_cbranch_execnz .LBB6_14226
	s_branch .LBB6_14227
.LBB6_15037:                            ;   in Loop: Header=BB6_12577 Depth=3
	s_or_saveexec_b32 s23, s23
	v_mov_b32_e32 v113, 0x7f800001
	s_xor_b32 exec_lo, exec_lo, s23
	s_cbranch_execz .LBB6_14231
.LBB6_15038:                            ;   in Loop: Header=BB6_12577 Depth=3
	v_cmp_ne_u16_sdwa s72, v13, v2 src0_sel:BYTE_1 src1_sel:DWORD
	v_mov_b32_e32 v113, 0
	s_andn2_b32 s16, s16, exec_lo
	s_and_b32 s72, s72, exec_lo
	s_or_b32 s16, s16, s72
	s_or_b32 exec_lo, exec_lo, s23
	s_and_saveexec_b32 s23, s16
	s_cbranch_execnz .LBB6_14232
	s_branch .LBB6_14233
.LBB6_15039:                            ;   in Loop: Header=BB6_12577 Depth=3
	s_or_saveexec_b32 s16, s16
	v_mov_b32_e32 v42, 0x7f800001
	s_xor_b32 exec_lo, exec_lo, s16
	s_cbranch_execz .LBB6_14245
.LBB6_15040:                            ;   in Loop: Header=BB6_12577 Depth=3
	v_cmp_ne_u16_sdwa s72, v113, v2 src0_sel:BYTE_0 src1_sel:DWORD
	v_mov_b32_e32 v42, 0
	s_andn2_b32 s23, s23, exec_lo
	s_and_b32 s72, s72, exec_lo
	s_or_b32 s23, s23, s72
	s_or_b32 exec_lo, exec_lo, s16
	v_lshl_or_b32 v113, v113, 16, v101
	s_and_saveexec_b32 s16, s23
	s_cbranch_execnz .LBB6_14246
	s_branch .LBB6_14247
.LBB6_15041:                            ;   in Loop: Header=BB6_12577 Depth=3
	s_or_saveexec_b32 s16, s16
	v_mov_b32_e32 v101, 0x7f800001
	s_xor_b32 exec_lo, exec_lo, s16
	s_cbranch_execz .LBB6_14251
.LBB6_15042:                            ;   in Loop: Header=BB6_12577 Depth=3
	v_cmp_ne_u16_e32 vcc_lo, 0, v44
	v_mov_b32_e32 v101, 0
	s_andn2_b32 s23, s23, exec_lo
	s_and_b32 s72, vcc_lo, exec_lo
	s_or_b32 s23, s23, s72
	s_or_b32 exec_lo, exec_lo, s16
	s_and_saveexec_b32 s16, s23
	s_cbranch_execnz .LBB6_14252
	s_branch .LBB6_14253
.LBB6_15043:                            ;   in Loop: Header=BB6_12577 Depth=3
	s_or_saveexec_b32 s23, s23
	v_mov_b32_e32 v42, 0x7f800001
	s_xor_b32 exec_lo, exec_lo, s23
	s_cbranch_execz .LBB6_14265
.LBB6_15044:                            ;   in Loop: Header=BB6_12577 Depth=3
	v_cmp_ne_u16_sdwa s72, v113, v2 src0_sel:BYTE_3 src1_sel:DWORD
	v_mov_b32_e32 v42, 0
	s_andn2_b32 s16, s16, exec_lo
	s_and_b32 s72, s72, exec_lo
	s_or_b32 s16, s16, s72
	s_or_b32 exec_lo, exec_lo, s23
	s_and_saveexec_b32 s23, s16
	s_cbranch_execnz .LBB6_14266
	s_branch .LBB6_14267
.LBB6_15045:                            ;   in Loop: Header=BB6_12577 Depth=3
	s_or_saveexec_b32 s23, s23
	v_mov_b32_e32 v113, 0x7f800001
	s_xor_b32 exec_lo, exec_lo, s23
	s_cbranch_execz .LBB6_14271
.LBB6_15046:                            ;   in Loop: Header=BB6_12577 Depth=3
	v_cmp_ne_u16_sdwa s72, v13, v2 src0_sel:BYTE_3 src1_sel:DWORD
	v_mov_b32_e32 v113, 0
	s_andn2_b32 s16, s16, exec_lo
	s_and_b32 s72, s72, exec_lo
	s_or_b32 s16, s16, s72
	s_or_b32 exec_lo, exec_lo, s23
	s_and_saveexec_b32 s23, s16
	s_cbranch_execnz .LBB6_14272
	s_branch .LBB6_14273
.LBB6_15047:                            ;   in Loop: Header=BB6_12577 Depth=3
	s_or_saveexec_b32 s16, s16
	v_mov_b32_e32 v113, 0x7f800001
	s_xor_b32 exec_lo, exec_lo, s16
	s_cbranch_execz .LBB6_14285
.LBB6_15048:                            ;   in Loop: Header=BB6_12577 Depth=3
	v_cmp_ne_u16_sdwa s72, v44, v2 src0_sel:BYTE_0 src1_sel:DWORD
	v_mov_b32_e32 v113, 0
	s_andn2_b32 s23, s23, exec_lo
	s_and_b32 s72, s72, exec_lo
	s_or_b32 s23, s23, s72
	s_or_b32 exec_lo, exec_lo, s16
	s_and_saveexec_b32 s16, s23
	s_cbranch_execnz .LBB6_14286
	s_branch .LBB6_14287
.LBB6_15049:                            ;   in Loop: Header=BB6_12577 Depth=3
	s_or_saveexec_b32 s16, s16
	v_mov_b32_e32 v42, 0x7f800001
	s_xor_b32 exec_lo, exec_lo, s16
	s_cbranch_execz .LBB6_14291
.LBB6_15050:                            ;   in Loop: Header=BB6_12577 Depth=3
	v_cmp_ne_u16_sdwa s72, v14, v2 src0_sel:BYTE_0 src1_sel:DWORD
	v_mov_b32_e32 v42, 0
	s_andn2_b32 s23, s23, exec_lo
	s_and_b32 s72, s72, exec_lo
	s_or_b32 s23, s23, s72
	s_or_b32 exec_lo, exec_lo, s16
	s_and_saveexec_b32 s16, s23
	s_cbranch_execnz .LBB6_14292
	s_branch .LBB6_14293
.LBB6_15051:                            ;   in Loop: Header=BB6_12577 Depth=3
	s_or_saveexec_b32 s23, s23
	v_mov_b32_e32 v42, 0x7f800001
	s_xor_b32 exec_lo, exec_lo, s23
	s_cbranch_execz .LBB6_14305
.LBB6_15052:                            ;   in Loop: Header=BB6_12577 Depth=3
	v_cmp_ne_u16_sdwa s72, v44, v2 src0_sel:BYTE_1 src1_sel:DWORD
	v_mov_b32_e32 v42, 0
	s_andn2_b32 s16, s16, exec_lo
	s_and_b32 s72, s72, exec_lo
	s_or_b32 s16, s16, s72
	s_or_b32 exec_lo, exec_lo, s23
	s_and_saveexec_b32 s23, s16
	s_cbranch_execnz .LBB6_14306
	s_branch .LBB6_14307
.LBB6_15053:                            ;   in Loop: Header=BB6_12577 Depth=3
	s_or_saveexec_b32 s23, s23
	v_mov_b32_e32 v45, 0x7f800001
	s_xor_b32 exec_lo, exec_lo, s23
	s_cbranch_execz .LBB6_14311
.LBB6_15054:                            ;   in Loop: Header=BB6_12577 Depth=3
	v_cmp_ne_u16_sdwa s72, v14, v2 src0_sel:BYTE_1 src1_sel:DWORD
	v_mov_b32_e32 v45, 0
	s_andn2_b32 s16, s16, exec_lo
	s_and_b32 s72, s72, exec_lo
	s_or_b32 s16, s16, s72
	s_or_b32 exec_lo, exec_lo, s23
	s_and_saveexec_b32 s23, s16
	s_cbranch_execnz .LBB6_14312
	s_branch .LBB6_14313
.LBB6_15055:                            ;   in Loop: Header=BB6_12577 Depth=3
	s_or_saveexec_b32 s16, s16
	v_mov_b32_e32 v112, 0x7f800001
	s_xor_b32 exec_lo, exec_lo, s16
	s_cbranch_execz .LBB6_14325
.LBB6_15056:                            ;   in Loop: Header=BB6_12577 Depth=3
	v_cmp_ne_u16_sdwa s72, v45, v2 src0_sel:BYTE_0 src1_sel:DWORD
	v_mov_b32_e32 v112, 0
	s_andn2_b32 s23, s23, exec_lo
	s_and_b32 s72, s72, exec_lo
	s_or_b32 s23, s23, s72
	s_or_b32 exec_lo, exec_lo, s16
	v_lshl_or_b32 v44, v45, 16, v44
	s_and_saveexec_b32 s16, s23
	s_cbranch_execnz .LBB6_14326
	s_branch .LBB6_14327
.LBB6_15057:                            ;   in Loop: Header=BB6_12577 Depth=3
	s_or_saveexec_b32 s16, s16
	v_mov_b32_e32 v45, 0x7f800001
	s_xor_b32 exec_lo, exec_lo, s16
	s_cbranch_execz .LBB6_14331
.LBB6_15058:                            ;   in Loop: Header=BB6_12577 Depth=3
	v_cmp_ne_u16_e32 vcc_lo, 0, v57
	v_mov_b32_e32 v45, 0
	s_andn2_b32 s23, s23, exec_lo
	s_and_b32 s72, vcc_lo, exec_lo
	s_or_b32 s23, s23, s72
	s_or_b32 exec_lo, exec_lo, s16
	s_and_saveexec_b32 s16, s23
	s_cbranch_execnz .LBB6_14332
	s_branch .LBB6_14333
.LBB6_15059:                            ;   in Loop: Header=BB6_12577 Depth=3
	s_or_saveexec_b32 s23, s23
	v_mov_b32_e32 v45, 0x7f800001
	s_xor_b32 exec_lo, exec_lo, s23
	s_cbranch_execz .LBB6_14345
.LBB6_15060:                            ;   in Loop: Header=BB6_12577 Depth=3
	v_cmp_ne_u16_sdwa s72, v44, v2 src0_sel:BYTE_3 src1_sel:DWORD
	v_mov_b32_e32 v45, 0
	s_andn2_b32 s16, s16, exec_lo
	s_and_b32 s72, s72, exec_lo
	s_or_b32 s16, s16, s72
	s_or_b32 exec_lo, exec_lo, s23
	s_and_saveexec_b32 s23, s16
	s_cbranch_execnz .LBB6_14346
	s_branch .LBB6_14347
.LBB6_15061:                            ;   in Loop: Header=BB6_12577 Depth=3
	s_or_saveexec_b32 s23, s23
	v_mov_b32_e32 v44, 0x7f800001
	s_xor_b32 exec_lo, exec_lo, s23
	s_cbranch_execz .LBB6_14351
.LBB6_15062:                            ;   in Loop: Header=BB6_12577 Depth=3
	v_cmp_ne_u16_sdwa s72, v14, v2 src0_sel:BYTE_3 src1_sel:DWORD
	v_mov_b32_e32 v44, 0
	s_andn2_b32 s16, s16, exec_lo
	s_and_b32 s72, s72, exec_lo
	s_or_b32 s16, s16, s72
	s_or_b32 exec_lo, exec_lo, s23
	s_and_saveexec_b32 s23, s16
	s_cbranch_execnz .LBB6_14352
	s_branch .LBB6_14353
.LBB6_15063:                            ;   in Loop: Header=BB6_12577 Depth=3
	s_or_saveexec_b32 s16, s16
	v_mov_b32_e32 v51, 0x7f800001
	s_xor_b32 exec_lo, exec_lo, s16
	s_cbranch_execz .LBB6_14365
.LBB6_15064:                            ;   in Loop: Header=BB6_12577 Depth=3
	v_cmp_ne_u16_sdwa s72, v45, v2 src0_sel:BYTE_0 src1_sel:DWORD
	v_mov_b32_e32 v51, 0
	s_andn2_b32 s23, s23, exec_lo
	s_and_b32 s72, s72, exec_lo
	s_or_b32 s23, s23, s72
	s_or_b32 exec_lo, exec_lo, s16
	s_and_saveexec_b32 s16, s23
	s_cbranch_execnz .LBB6_14366
	s_branch .LBB6_14367
.LBB6_15065:                            ;   in Loop: Header=BB6_12577 Depth=3
	s_or_saveexec_b32 s16, s16
	v_mov_b32_e32 v44, 0x7f800001
	s_xor_b32 exec_lo, exec_lo, s16
	s_cbranch_execz .LBB6_14371
.LBB6_15066:                            ;   in Loop: Header=BB6_12577 Depth=3
	v_cmp_ne_u16_sdwa s72, v15, v2 src0_sel:BYTE_0 src1_sel:DWORD
	v_mov_b32_e32 v44, 0
	s_andn2_b32 s23, s23, exec_lo
	s_and_b32 s72, s72, exec_lo
	s_or_b32 s23, s23, s72
	s_or_b32 exec_lo, exec_lo, s16
	s_and_saveexec_b32 s16, s23
	s_cbranch_execnz .LBB6_14372
	s_branch .LBB6_14373
.LBB6_15067:                            ;   in Loop: Header=BB6_12577 Depth=3
	s_or_saveexec_b32 s23, s23
	v_mov_b32_e32 v44, 0x7f800001
	s_xor_b32 exec_lo, exec_lo, s23
	s_cbranch_execz .LBB6_14385
.LBB6_15068:                            ;   in Loop: Header=BB6_12577 Depth=3
	v_cmp_ne_u16_sdwa s72, v45, v2 src0_sel:BYTE_1 src1_sel:DWORD
	v_mov_b32_e32 v44, 0
	s_andn2_b32 s16, s16, exec_lo
	s_and_b32 s72, s72, exec_lo
	s_or_b32 s16, s16, s72
	s_or_b32 exec_lo, exec_lo, s23
	s_and_saveexec_b32 s23, s16
	s_cbranch_execnz .LBB6_14386
	s_branch .LBB6_14387
.LBB6_15069:                            ;   in Loop: Header=BB6_12577 Depth=3
	s_or_saveexec_b32 s23, s23
	v_mov_b32_e32 v57, 0x7f800001
	s_xor_b32 exec_lo, exec_lo, s23
	s_cbranch_execz .LBB6_14391
.LBB6_15070:                            ;   in Loop: Header=BB6_12577 Depth=3
	v_cmp_ne_u16_sdwa s72, v15, v2 src0_sel:BYTE_1 src1_sel:DWORD
	v_mov_b32_e32 v57, 0
	s_andn2_b32 s16, s16, exec_lo
	s_and_b32 s72, s72, exec_lo
	s_or_b32 s16, s16, s72
	s_or_b32 exec_lo, exec_lo, s23
	s_and_saveexec_b32 s23, s16
	s_cbranch_execnz .LBB6_14392
	s_branch .LBB6_14393
.LBB6_15071:                            ;   in Loop: Header=BB6_12577 Depth=3
	s_or_saveexec_b32 s16, s16
	v_mov_b32_e32 v57, 0x7f800001
	s_xor_b32 exec_lo, exec_lo, s16
	s_cbranch_execz .LBB6_14405
.LBB6_15072:                            ;   in Loop: Header=BB6_12577 Depth=3
	v_cmp_ne_u16_sdwa s72, v58, v2 src0_sel:BYTE_0 src1_sel:DWORD
	v_mov_b32_e32 v57, 0
	s_andn2_b32 s23, s23, exec_lo
	s_and_b32 s72, s72, exec_lo
	s_or_b32 s23, s23, s72
	s_or_b32 exec_lo, exec_lo, s16
	v_lshl_or_b32 v45, v58, 16, v45
	s_and_saveexec_b32 s16, s23
	s_cbranch_execnz .LBB6_14406
	s_branch .LBB6_14407
.LBB6_15073:                            ;   in Loop: Header=BB6_12577 Depth=3
	s_or_saveexec_b32 s16, s16
	v_mov_b32_e32 v58, 0x7f800001
	s_xor_b32 exec_lo, exec_lo, s16
	s_cbranch_execz .LBB6_14411
.LBB6_15074:                            ;   in Loop: Header=BB6_12577 Depth=3
	v_cmp_ne_u16_e32 vcc_lo, 0, v60
	v_mov_b32_e32 v58, 0
	s_andn2_b32 s23, s23, exec_lo
	s_and_b32 s72, vcc_lo, exec_lo
	s_or_b32 s23, s23, s72
	s_or_b32 exec_lo, exec_lo, s16
	s_and_saveexec_b32 s16, s23
	s_cbranch_execnz .LBB6_14412
	s_branch .LBB6_14413
.LBB6_15075:                            ;   in Loop: Header=BB6_12577 Depth=3
	s_or_saveexec_b32 s23, s23
	v_mov_b32_e32 v58, 0x7f800001
	s_xor_b32 exec_lo, exec_lo, s23
	s_cbranch_execz .LBB6_14425
.LBB6_15076:                            ;   in Loop: Header=BB6_12577 Depth=3
	v_cmp_ne_u16_sdwa s72, v45, v2 src0_sel:BYTE_3 src1_sel:DWORD
	v_mov_b32_e32 v58, 0
	s_andn2_b32 s16, s16, exec_lo
	s_and_b32 s72, s72, exec_lo
	s_or_b32 s16, s16, s72
	s_or_b32 exec_lo, exec_lo, s23
	s_and_saveexec_b32 s23, s16
	s_cbranch_execnz .LBB6_14426
	s_branch .LBB6_14427
.LBB6_15077:                            ;   in Loop: Header=BB6_12577 Depth=3
	s_or_saveexec_b32 s23, s23
	v_mov_b32_e32 v45, 0x7f800001
	s_xor_b32 exec_lo, exec_lo, s23
	s_cbranch_execz .LBB6_14431
.LBB6_15078:                            ;   in Loop: Header=BB6_12577 Depth=3
	v_cmp_ne_u16_sdwa s72, v15, v2 src0_sel:BYTE_3 src1_sel:DWORD
	v_mov_b32_e32 v45, 0
	s_andn2_b32 s16, s16, exec_lo
	s_and_b32 s72, s72, exec_lo
	s_or_b32 s16, s16, s72
	s_or_b32 exec_lo, exec_lo, s23
	s_and_saveexec_b32 s23, s16
	s_cbranch_execnz .LBB6_14432
	s_branch .LBB6_14433
.LBB6_15079:                            ;   in Loop: Header=BB6_12577 Depth=3
	s_or_saveexec_b32 s16, s16
	v_mov_b32_e32 v50, 0x7f800001
	s_xor_b32 exec_lo, exec_lo, s16
	s_cbranch_execz .LBB6_14445
.LBB6_15080:                            ;   in Loop: Header=BB6_12577 Depth=3
	v_cmp_ne_u16_sdwa s72, v45, v2 src0_sel:BYTE_0 src1_sel:DWORD
	v_mov_b32_e32 v50, 0
	s_andn2_b32 s23, s23, exec_lo
	s_and_b32 s72, s72, exec_lo
	s_or_b32 s23, s23, s72
	s_or_b32 exec_lo, exec_lo, s16
	s_and_saveexec_b32 s16, s23
	s_cbranch_execnz .LBB6_14446
	s_branch .LBB6_14447
.LBB6_15081:                            ;   in Loop: Header=BB6_12577 Depth=3
	s_or_saveexec_b32 s16, s16
	v_mov_b32_e32 v58, 0x7f800001
	s_xor_b32 exec_lo, exec_lo, s16
	s_cbranch_execz .LBB6_14451
.LBB6_15082:                            ;   in Loop: Header=BB6_12577 Depth=3
	v_cmp_ne_u16_sdwa s72, v8, v2 src0_sel:BYTE_0 src1_sel:DWORD
	v_mov_b32_e32 v58, 0
	s_andn2_b32 s23, s23, exec_lo
	s_and_b32 s72, s72, exec_lo
	s_or_b32 s23, s23, s72
	s_or_b32 exec_lo, exec_lo, s16
	s_and_saveexec_b32 s16, s23
	s_cbranch_execnz .LBB6_14452
	s_branch .LBB6_14453
.LBB6_15083:                            ;   in Loop: Header=BB6_12577 Depth=3
	s_or_saveexec_b32 s23, s23
	v_mov_b32_e32 v58, 0x7f800001
	s_xor_b32 exec_lo, exec_lo, s23
	s_cbranch_execz .LBB6_14465
.LBB6_15084:                            ;   in Loop: Header=BB6_12577 Depth=3
	v_cmp_ne_u16_sdwa s72, v45, v2 src0_sel:BYTE_1 src1_sel:DWORD
	v_mov_b32_e32 v58, 0
	s_andn2_b32 s16, s16, exec_lo
	s_and_b32 s72, s72, exec_lo
	s_or_b32 s16, s16, s72
	s_or_b32 exec_lo, exec_lo, s23
	s_and_saveexec_b32 s23, s16
	s_cbranch_execnz .LBB6_14466
	s_branch .LBB6_14467
.LBB6_15085:                            ;   in Loop: Header=BB6_12577 Depth=3
	s_or_saveexec_b32 s23, s23
	v_mov_b32_e32 v60, 0x7f800001
	s_xor_b32 exec_lo, exec_lo, s23
	s_cbranch_execz .LBB6_14471
.LBB6_15086:                            ;   in Loop: Header=BB6_12577 Depth=3
	v_cmp_ne_u16_sdwa s72, v8, v2 src0_sel:BYTE_1 src1_sel:DWORD
	v_mov_b32_e32 v60, 0
	s_andn2_b32 s16, s16, exec_lo
	s_and_b32 s72, s72, exec_lo
	s_or_b32 s16, s16, s72
	s_or_b32 exec_lo, exec_lo, s23
	s_and_saveexec_b32 s23, s16
	s_cbranch_execnz .LBB6_14472
	s_branch .LBB6_14473
.LBB6_15087:                            ;   in Loop: Header=BB6_12577 Depth=3
	s_or_saveexec_b32 s16, s16
	v_mov_b32_e32 v5, 0x7f800001
	s_xor_b32 exec_lo, exec_lo, s16
	s_cbranch_execz .LBB6_14485
.LBB6_15088:                            ;   in Loop: Header=BB6_12577 Depth=3
	v_cmp_ne_u16_sdwa s72, v60, v2 src0_sel:BYTE_0 src1_sel:DWORD
	v_mov_b32_e32 v5, 0
	s_andn2_b32 s23, s23, exec_lo
	s_and_b32 s72, s72, exec_lo
	s_or_b32 s23, s23, s72
	s_or_b32 exec_lo, exec_lo, s16
	v_lshl_or_b32 v45, v60, 16, v45
	s_and_saveexec_b32 s16, s23
	s_cbranch_execnz .LBB6_14486
	s_branch .LBB6_14487
.LBB6_15089:                            ;   in Loop: Header=BB6_12577 Depth=3
	s_or_saveexec_b32 s16, s16
	v_mov_b32_e32 v60, 0x7f800001
	s_xor_b32 exec_lo, exec_lo, s16
	s_cbranch_execz .LBB6_14491
.LBB6_15090:                            ;   in Loop: Header=BB6_12577 Depth=3
	v_cmp_ne_u16_e32 vcc_lo, 0, v62
	v_mov_b32_e32 v60, 0
	s_andn2_b32 s23, s23, exec_lo
	s_and_b32 s72, vcc_lo, exec_lo
	s_or_b32 s23, s23, s72
	s_or_b32 exec_lo, exec_lo, s16
	s_and_saveexec_b32 s16, s23
	s_cbranch_execnz .LBB6_14492
	s_branch .LBB6_14493
.LBB6_15091:                            ;   in Loop: Header=BB6_12577 Depth=3
	s_or_saveexec_b32 s23, s23
	v_mov_b32_e32 v60, 0x7f800001
	s_xor_b32 exec_lo, exec_lo, s23
	s_cbranch_execz .LBB6_14505
.LBB6_15092:                            ;   in Loop: Header=BB6_12577 Depth=3
	v_cmp_ne_u16_sdwa s72, v45, v2 src0_sel:BYTE_3 src1_sel:DWORD
	v_mov_b32_e32 v60, 0
	s_andn2_b32 s16, s16, exec_lo
	s_and_b32 s72, s72, exec_lo
	s_or_b32 s16, s16, s72
	s_or_b32 exec_lo, exec_lo, s23
	s_and_saveexec_b32 s23, s16
	s_cbranch_execnz .LBB6_14506
	s_branch .LBB6_14507
.LBB6_15093:                            ;   in Loop: Header=BB6_12577 Depth=3
	s_or_saveexec_b32 s23, s23
	v_mov_b32_e32 v45, 0x7f800001
	s_xor_b32 exec_lo, exec_lo, s23
	s_cbranch_execz .LBB6_14511
.LBB6_15094:                            ;   in Loop: Header=BB6_12577 Depth=3
	v_cmp_ne_u16_sdwa s72, v8, v2 src0_sel:BYTE_3 src1_sel:DWORD
	v_mov_b32_e32 v45, 0
	s_andn2_b32 s16, s16, exec_lo
	s_and_b32 s72, s72, exec_lo
	s_or_b32 s16, s16, s72
	s_or_b32 exec_lo, exec_lo, s23
	s_and_saveexec_b32 s23, s16
	s_cbranch_execnz .LBB6_14512
	s_branch .LBB6_14513
.LBB6_15095:                            ;   in Loop: Header=BB6_12577 Depth=3
	s_or_saveexec_b32 s16, s16
	v_mov_b32_e32 v45, 0x7f800001
	s_xor_b32 exec_lo, exec_lo, s16
	s_cbranch_execz .LBB6_14525
.LBB6_15096:                            ;   in Loop: Header=BB6_12577 Depth=3
	v_cmp_ne_u16_sdwa s72, v62, v2 src0_sel:BYTE_0 src1_sel:DWORD
	v_mov_b32_e32 v45, 0
	s_andn2_b32 s23, s23, exec_lo
	s_and_b32 s72, s72, exec_lo
	s_or_b32 s23, s23, s72
	s_or_b32 exec_lo, exec_lo, s16
	s_and_saveexec_b32 s16, s23
	s_cbranch_execnz .LBB6_14526
	s_branch .LBB6_14527
.LBB6_15097:                            ;   in Loop: Header=BB6_12577 Depth=3
	s_or_saveexec_b32 s16, s16
	v_mov_b32_e32 v60, 0x7f800001
	s_xor_b32 exec_lo, exec_lo, s16
	s_cbranch_execz .LBB6_14531
.LBB6_15098:                            ;   in Loop: Header=BB6_12577 Depth=3
	v_cmp_ne_u16_sdwa s72, v9, v2 src0_sel:BYTE_0 src1_sel:DWORD
	v_mov_b32_e32 v60, 0
	s_andn2_b32 s23, s23, exec_lo
	s_and_b32 s72, s72, exec_lo
	s_or_b32 s23, s23, s72
	s_or_b32 exec_lo, exec_lo, s16
	s_and_saveexec_b32 s16, s23
	s_cbranch_execnz .LBB6_14532
	s_branch .LBB6_14533
.LBB6_15099:                            ;   in Loop: Header=BB6_12577 Depth=3
	s_or_saveexec_b32 s23, s23
	v_mov_b32_e32 v60, 0x7f800001
	s_xor_b32 exec_lo, exec_lo, s23
	s_cbranch_execz .LBB6_14545
.LBB6_15100:                            ;   in Loop: Header=BB6_12577 Depth=3
	v_cmp_ne_u16_sdwa s72, v62, v2 src0_sel:BYTE_1 src1_sel:DWORD
	v_mov_b32_e32 v60, 0
	s_andn2_b32 s16, s16, exec_lo
	s_and_b32 s72, s72, exec_lo
	s_or_b32 s16, s16, s72
	s_or_b32 exec_lo, exec_lo, s23
	s_and_saveexec_b32 s23, s16
	s_cbranch_execnz .LBB6_14546
	s_branch .LBB6_14547
.LBB6_15101:                            ;   in Loop: Header=BB6_12577 Depth=3
	s_or_saveexec_b32 s23, s23
	v_mov_b32_e32 v63, 0x7f800001
	s_xor_b32 exec_lo, exec_lo, s23
	s_cbranch_execz .LBB6_14551
.LBB6_15102:                            ;   in Loop: Header=BB6_12577 Depth=3
	v_cmp_ne_u16_sdwa s72, v9, v2 src0_sel:BYTE_1 src1_sel:DWORD
	v_mov_b32_e32 v63, 0
	s_andn2_b32 s16, s16, exec_lo
	s_and_b32 s72, s72, exec_lo
	s_or_b32 s16, s16, s72
	s_or_b32 exec_lo, exec_lo, s23
	s_and_saveexec_b32 s23, s16
	s_cbranch_execnz .LBB6_14552
	s_branch .LBB6_14553
.LBB6_15103:                            ;   in Loop: Header=BB6_12577 Depth=3
	s_or_saveexec_b32 s16, s16
	v_mov_b32_e32 v4, 0x7f800001
	s_xor_b32 exec_lo, exec_lo, s16
	s_cbranch_execz .LBB6_14565
.LBB6_15104:                            ;   in Loop: Header=BB6_12577 Depth=3
	v_cmp_ne_u16_sdwa s72, v99, v2 src0_sel:BYTE_0 src1_sel:DWORD
	v_mov_b32_e32 v4, 0
	s_andn2_b32 s23, s23, exec_lo
	s_and_b32 s72, s72, exec_lo
	s_or_b32 s23, s23, s72
	s_or_b32 exec_lo, exec_lo, s16
	v_lshl_or_b32 v99, v99, 16, v62
	s_and_saveexec_b32 s16, s23
	s_cbranch_execnz .LBB6_14566
	s_branch .LBB6_14567
.LBB6_15105:                            ;   in Loop: Header=BB6_12577 Depth=3
	s_or_saveexec_b32 s16, s16
	v_mov_b32_e32 v62, 0x7f800001
	s_xor_b32 exec_lo, exec_lo, s16
	s_cbranch_execz .LBB6_14571
.LBB6_15106:                            ;   in Loop: Header=BB6_12577 Depth=3
	v_cmp_ne_u16_e32 vcc_lo, 0, v63
	v_mov_b32_e32 v62, 0
	s_andn2_b32 s23, s23, exec_lo
	s_and_b32 s72, vcc_lo, exec_lo
	s_or_b32 s23, s23, s72
	s_or_b32 exec_lo, exec_lo, s16
	s_and_saveexec_b32 s16, s23
	s_cbranch_execnz .LBB6_14572
	s_branch .LBB6_14573
.LBB6_15107:                            ;   in Loop: Header=BB6_12577 Depth=3
	s_or_saveexec_b32 s23, s23
	v_mov_b32_e32 v62, 0x7f800001
	s_xor_b32 exec_lo, exec_lo, s23
	s_cbranch_execz .LBB6_14585
.LBB6_15108:                            ;   in Loop: Header=BB6_12577 Depth=3
	v_cmp_ne_u16_sdwa s72, v99, v2 src0_sel:BYTE_3 src1_sel:DWORD
	v_mov_b32_e32 v62, 0
	s_andn2_b32 s16, s16, exec_lo
	s_and_b32 s72, s72, exec_lo
	s_or_b32 s16, s16, s72
	s_or_b32 exec_lo, exec_lo, s23
	s_and_saveexec_b32 s23, s16
	s_cbranch_execnz .LBB6_14586
	s_branch .LBB6_14587
.LBB6_15109:                            ;   in Loop: Header=BB6_12577 Depth=3
	s_or_saveexec_b32 s23, s23
	v_mov_b32_e32 v99, 0x7f800001
	s_xor_b32 exec_lo, exec_lo, s23
	s_cbranch_execz .LBB6_14591
.LBB6_15110:                            ;   in Loop: Header=BB6_12577 Depth=3
	v_cmp_ne_u16_sdwa s72, v9, v2 src0_sel:BYTE_3 src1_sel:DWORD
	v_mov_b32_e32 v99, 0
	s_andn2_b32 s16, s16, exec_lo
	s_and_b32 s72, s72, exec_lo
	s_or_b32 s16, s16, s72
	s_or_b32 exec_lo, exec_lo, s23
	s_and_saveexec_b32 s23, s16
	s_cbranch_execnz .LBB6_14592
	s_branch .LBB6_14593
.LBB6_15111:                            ;   in Loop: Header=BB6_12577 Depth=3
	s_or_saveexec_b32 s16, s16
	v_mov_b32_e32 v52, 0x7f800001
	s_xor_b32 exec_lo, exec_lo, s16
	s_cbranch_execz .LBB6_14605
.LBB6_15112:                            ;   in Loop: Header=BB6_12577 Depth=3
	v_cmp_ne_u16_sdwa s72, v62, v2 src0_sel:BYTE_0 src1_sel:DWORD
	v_mov_b32_e32 v52, 0
	s_andn2_b32 s23, s23, exec_lo
	s_and_b32 s72, s72, exec_lo
	s_or_b32 s23, s23, s72
	s_or_b32 exec_lo, exec_lo, s16
	s_and_saveexec_b32 s16, s23
	s_cbranch_execnz .LBB6_14606
	s_branch .LBB6_14607
.LBB6_15113:                            ;   in Loop: Header=BB6_12577 Depth=3
	s_or_saveexec_b32 s16, s16
	v_mov_b32_e32 v99, 0x7f800001
	s_xor_b32 exec_lo, exec_lo, s16
	s_cbranch_execz .LBB6_14611
.LBB6_15114:                            ;   in Loop: Header=BB6_12577 Depth=3
	v_cmp_ne_u16_sdwa s72, v10, v2 src0_sel:BYTE_0 src1_sel:DWORD
	v_mov_b32_e32 v99, 0
	s_andn2_b32 s23, s23, exec_lo
	s_and_b32 s72, s72, exec_lo
	s_or_b32 s23, s23, s72
	s_or_b32 exec_lo, exec_lo, s16
	s_and_saveexec_b32 s16, s23
	s_cbranch_execnz .LBB6_14612
	s_branch .LBB6_14613
.LBB6_15115:                            ;   in Loop: Header=BB6_12577 Depth=3
	s_or_saveexec_b32 s23, s23
	v_mov_b32_e32 v99, 0x7f800001
	s_xor_b32 exec_lo, exec_lo, s23
	s_cbranch_execz .LBB6_14625
.LBB6_15116:                            ;   in Loop: Header=BB6_12577 Depth=3
	v_cmp_ne_u16_sdwa s72, v62, v2 src0_sel:BYTE_1 src1_sel:DWORD
	v_mov_b32_e32 v99, 0
	s_andn2_b32 s16, s16, exec_lo
	s_and_b32 s72, s72, exec_lo
	s_or_b32 s16, s16, s72
	s_or_b32 exec_lo, exec_lo, s23
	s_and_saveexec_b32 s23, s16
	s_cbranch_execnz .LBB6_14626
	s_branch .LBB6_14627
.LBB6_15117:                            ;   in Loop: Header=BB6_12577 Depth=3
	s_or_saveexec_b32 s23, s23
	v_mov_b32_e32 v63, 0x7f800001
	s_xor_b32 exec_lo, exec_lo, s23
	s_cbranch_execz .LBB6_14631
.LBB6_15118:                            ;   in Loop: Header=BB6_12577 Depth=3
	v_cmp_ne_u16_sdwa s72, v10, v2 src0_sel:BYTE_1 src1_sel:DWORD
	v_mov_b32_e32 v63, 0
	s_andn2_b32 s16, s16, exec_lo
	s_and_b32 s72, s72, exec_lo
	s_or_b32 s16, s16, s72
	s_or_b32 exec_lo, exec_lo, s23
	s_and_saveexec_b32 s23, s16
	s_cbranch_execnz .LBB6_14632
	s_branch .LBB6_14633
.LBB6_15119:                            ;   in Loop: Header=BB6_12577 Depth=3
	s_or_saveexec_b32 s16, s16
	v_mov_b32_e32 v29, 0x7f800001
	s_xor_b32 exec_lo, exec_lo, s16
	s_cbranch_execz .LBB6_14645
.LBB6_15120:                            ;   in Loop: Header=BB6_12577 Depth=3
	v_cmp_ne_u16_sdwa s72, v98, v2 src0_sel:BYTE_0 src1_sel:DWORD
	v_mov_b32_e32 v29, 0
	s_andn2_b32 s23, s23, exec_lo
	s_and_b32 s72, s72, exec_lo
	s_or_b32 s23, s23, s72
	s_or_b32 exec_lo, exec_lo, s16
	v_lshl_or_b32 v98, v98, 16, v62
	s_and_saveexec_b32 s16, s23
	s_cbranch_execnz .LBB6_14646
	s_branch .LBB6_14647
.LBB6_15121:                            ;   in Loop: Header=BB6_12577 Depth=3
	s_or_saveexec_b32 s16, s16
	v_mov_b32_e32 v62, 0x7f800001
	s_xor_b32 exec_lo, exec_lo, s16
	s_cbranch_execz .LBB6_14651
.LBB6_15122:                            ;   in Loop: Header=BB6_12577 Depth=3
	v_cmp_ne_u16_e32 vcc_lo, 0, v63
	v_mov_b32_e32 v62, 0
	s_andn2_b32 s23, s23, exec_lo
	s_and_b32 s72, vcc_lo, exec_lo
	s_or_b32 s23, s23, s72
	s_or_b32 exec_lo, exec_lo, s16
	s_and_saveexec_b32 s16, s23
	s_cbranch_execnz .LBB6_14652
	s_branch .LBB6_14653
.LBB6_15123:                            ;   in Loop: Header=BB6_12577 Depth=3
	s_or_saveexec_b32 s23, s23
	v_mov_b32_e32 v62, 0x7f800001
	s_xor_b32 exec_lo, exec_lo, s23
	s_cbranch_execz .LBB6_14665
.LBB6_15124:                            ;   in Loop: Header=BB6_12577 Depth=3
	v_cmp_ne_u16_sdwa s72, v98, v2 src0_sel:BYTE_3 src1_sel:DWORD
	v_mov_b32_e32 v62, 0
	s_andn2_b32 s16, s16, exec_lo
	s_and_b32 s72, s72, exec_lo
	s_or_b32 s16, s16, s72
	s_or_b32 exec_lo, exec_lo, s23
	s_and_saveexec_b32 s23, s16
	s_cbranch_execnz .LBB6_14666
	s_branch .LBB6_14667
.LBB6_15125:                            ;   in Loop: Header=BB6_12577 Depth=3
	s_or_saveexec_b32 s23, s23
	v_mov_b32_e32 v98, 0x7f800001
	s_xor_b32 exec_lo, exec_lo, s23
	s_cbranch_execz .LBB6_14671
.LBB6_15126:                            ;   in Loop: Header=BB6_12577 Depth=3
	v_cmp_ne_u16_sdwa s72, v10, v2 src0_sel:BYTE_3 src1_sel:DWORD
	v_mov_b32_e32 v98, 0
	s_andn2_b32 s16, s16, exec_lo
	s_and_b32 s72, s72, exec_lo
	s_or_b32 s16, s16, s72
	s_or_b32 exec_lo, exec_lo, s23
	s_and_saveexec_b32 s23, s16
	s_cbranch_execnz .LBB6_14672
	s_branch .LBB6_14673
.LBB6_15127:                            ;   in Loop: Header=BB6_12577 Depth=3
	s_or_saveexec_b32 s16, s16
	v_mov_b32_e32 v25, 0x7f800001
	s_xor_b32 exec_lo, exec_lo, s16
	s_cbranch_execz .LBB6_14685
.LBB6_15128:                            ;   in Loop: Header=BB6_12577 Depth=3
	v_cmp_ne_u16_sdwa s72, v98, v2 src0_sel:BYTE_0 src1_sel:DWORD
	v_mov_b32_e32 v25, 0
	s_andn2_b32 s23, s23, exec_lo
	s_and_b32 s72, s72, exec_lo
	s_or_b32 s23, s23, s72
	s_or_b32 exec_lo, exec_lo, s16
	s_and_saveexec_b32 s16, s23
	s_cbranch_execnz .LBB6_14686
	s_branch .LBB6_14687
.LBB6_15129:                            ;   in Loop: Header=BB6_12577 Depth=3
	s_or_saveexec_b32 s16, s16
	v_mov_b32_e32 v30, 0x7f800001
	s_xor_b32 exec_lo, exec_lo, s16
	s_cbranch_execz .LBB6_14691
.LBB6_15130:                            ;   in Loop: Header=BB6_12577 Depth=3
	v_cmp_ne_u16_sdwa s72, v11, v2 src0_sel:BYTE_0 src1_sel:DWORD
	v_mov_b32_e32 v30, 0
	s_andn2_b32 s23, s23, exec_lo
	s_and_b32 s72, s72, exec_lo
	s_or_b32 s23, s23, s72
	s_or_b32 exec_lo, exec_lo, s16
	s_and_saveexec_b32 s16, s23
	s_cbranch_execnz .LBB6_14692
	s_branch .LBB6_14693
.LBB6_15131:                            ;   in Loop: Header=BB6_12577 Depth=3
	s_or_saveexec_b32 s23, s23
	v_mov_b32_e32 v30, 0x7f800001
	s_xor_b32 exec_lo, exec_lo, s23
	s_cbranch_execz .LBB6_14705
.LBB6_15132:                            ;   in Loop: Header=BB6_12577 Depth=3
	v_cmp_ne_u16_sdwa s72, v98, v2 src0_sel:BYTE_1 src1_sel:DWORD
	v_mov_b32_e32 v30, 0
	s_andn2_b32 s16, s16, exec_lo
	s_and_b32 s72, s72, exec_lo
	s_or_b32 s16, s16, s72
	s_or_b32 exec_lo, exec_lo, s23
	s_and_saveexec_b32 s23, s16
	s_cbranch_execnz .LBB6_14706
	s_branch .LBB6_14707
.LBB6_15133:                            ;   in Loop: Header=BB6_12577 Depth=3
	s_or_saveexec_b32 s23, s23
	v_mov_b32_e32 v62, 0x7f800001
	s_xor_b32 exec_lo, exec_lo, s23
	s_cbranch_execz .LBB6_14711
.LBB6_15134:                            ;   in Loop: Header=BB6_12577 Depth=3
	v_cmp_ne_u16_sdwa s72, v11, v2 src0_sel:BYTE_1 src1_sel:DWORD
	v_mov_b32_e32 v62, 0
	s_andn2_b32 s16, s16, exec_lo
	s_and_b32 s72, s72, exec_lo
	s_or_b32 s16, s16, s72
	s_or_b32 exec_lo, exec_lo, s23
	s_and_saveexec_b32 s23, s16
	s_cbranch_execnz .LBB6_14712
	s_branch .LBB6_14713
.LBB6_15135:                            ;   in Loop: Header=BB6_12577 Depth=3
	s_or_saveexec_b32 s16, s16
	v_mov_b32_e32 v24, 0x7f800001
	s_xor_b32 exec_lo, exec_lo, s16
	s_cbranch_execz .LBB6_14725
.LBB6_15136:                            ;   in Loop: Header=BB6_12577 Depth=3
	v_cmp_ne_u16_sdwa s72, v28, v2 src0_sel:BYTE_0 src1_sel:DWORD
	v_mov_b32_e32 v24, 0
	s_andn2_b32 s23, s23, exec_lo
	s_and_b32 s72, s72, exec_lo
	s_or_b32 s23, s23, s72
	s_or_b32 exec_lo, exec_lo, s16
	v_lshl_or_b32 v28, v28, 16, v98
	s_and_saveexec_b32 s16, s23
	s_cbranch_execnz .LBB6_14726
	s_branch .LBB6_14727
.LBB6_15137:                            ;   in Loop: Header=BB6_12577 Depth=3
	s_or_saveexec_b32 s16, s16
	v_mov_b32_e32 v98, 0x7f800001
	s_xor_b32 exec_lo, exec_lo, s16
	s_cbranch_execz .LBB6_14731
.LBB6_15138:                            ;   in Loop: Header=BB6_12577 Depth=3
	v_cmp_ne_u16_e32 vcc_lo, 0, v62
	v_mov_b32_e32 v98, 0
	s_andn2_b32 s23, s23, exec_lo
	s_and_b32 s72, vcc_lo, exec_lo
	s_or_b32 s23, s23, s72
	s_or_b32 exec_lo, exec_lo, s16
	s_and_saveexec_b32 s16, s23
	s_cbranch_execnz .LBB6_14732
	s_branch .LBB6_14733
.LBB6_15139:                            ;   in Loop: Header=BB6_12577 Depth=3
	s_or_saveexec_b32 s23, s23
	v_mov_b32_e32 v98, 0x7f800001
	s_xor_b32 exec_lo, exec_lo, s23
	s_cbranch_execz .LBB6_14745
.LBB6_15140:                            ;   in Loop: Header=BB6_12577 Depth=3
	v_cmp_ne_u16_sdwa s72, v28, v2 src0_sel:BYTE_3 src1_sel:DWORD
	v_mov_b32_e32 v98, 0
	s_andn2_b32 s16, s16, exec_lo
	s_and_b32 s72, s72, exec_lo
	s_or_b32 s16, s16, s72
	s_or_b32 exec_lo, exec_lo, s23
	s_and_saveexec_b32 s23, s16
	s_cbranch_execnz .LBB6_14746
	s_branch .LBB6_14747
.LBB6_15141:                            ;   in Loop: Header=BB6_12577 Depth=3
	s_or_saveexec_b32 s23, s23
	v_mov_b32_e32 v28, 0x7f800001
	s_xor_b32 exec_lo, exec_lo, s23
	s_cbranch_execz .LBB6_14751
.LBB6_15142:                            ;   in Loop: Header=BB6_12577 Depth=3
	v_cmp_ne_u16_sdwa s72, v11, v2 src0_sel:BYTE_3 src1_sel:DWORD
	v_mov_b32_e32 v28, 0
	s_andn2_b32 s16, s16, exec_lo
	s_and_b32 s72, s72, exec_lo
	s_or_b32 s16, s16, s72
	s_or_b32 exec_lo, exec_lo, s23
	s_and_saveexec_b32 s23, s16
	s_cbranch_execnz .LBB6_14752
	s_branch .LBB6_14753
.LBB6_15143:                            ;   in Loop: Header=BB6_7909 Depth=2
	s_or_b32 exec_lo, exec_lo, s18
.LBB6_15144:                            ;   in Loop: Header=BB6_7909 Depth=2
	s_or_b32 exec_lo, exec_lo, s17
	buffer_load_dword v0, off, s[0:3], s33 offset:260 ; 4-byte Folded Reload
	v_lshlrev_b32_e32 v5, 11, v97
	s_mov_b32 s16, 0
                                        ; implicit-def: $vgpr1
                                        ; implicit-def: $vgpr4
	s_waitcnt vmcnt(0)
	v_cmp_ne_u32_e32 vcc_lo, v0, v5
	v_mov_b32_e32 v0, 0
	s_and_saveexec_b32 s18, vcc_lo
	s_cbranch_execz .LBB6_15798
; %bb.15145:                            ;   in Loop: Header=BB6_7909 Depth=2
	s_clause 0x1
	buffer_load_dword v1, off, s[0:3], s33 offset:420
	buffer_load_dword v4, off, s[0:3], s33 offset:260
	v_lshlrev_b32_e32 v0, 5, v96
	s_mov_b32 s19, exec_lo
	s_waitcnt vmcnt(1)
	v_sub_nc_u32_e32 v0, v1, v0
	s_waitcnt vmcnt(0)
	v_sub_nc_u32_e32 v6, v4, v5
	v_ashrrev_i32_e32 v1, 31, v0
	v_ashrrev_i32_e32 v4, 31, v6
	v_lshrrev_b32_e32 v1, 27, v1
	v_lshrrev_b32_e32 v4, 23, v4
	v_add_nc_u32_e32 v1, v0, v1
	v_add_nc_u32_e32 v8, v6, v4
	v_and_b32_e32 v7, 0xffffffe0, v1
	v_ashrrev_i32_e32 v9, 5, v1
	v_ashrrev_i32_e32 v10, 9, v8
	v_sub_nc_u32_e32 v4, v0, v7
	v_and_b32_e32 v0, 0xfffffe00, v8
	v_lshlrev_b32_e32 v7, 4, v4
	v_sub_nc_u32_e32 v1, v6, v0
	v_lshl_add_u32 v8, v9, 9, v7
	v_cmp_lt_i32_e64 s16, 15, v1
	v_sub_nc_u32_e32 v7, v6, v8
	v_add_co_ci_u32_e64 v10, null, 0, v10, s16
	v_sub_nc_u32_e32 v6, v10, v9
	v_cmpx_lt_i32_e32 15, v7
	s_cbranch_execz .LBB6_15797
; %bb.15146:                            ;   in Loop: Header=BB6_7909 Depth=2
	s_trap 2
	ds_read_b64 v[9:10], v0
	s_clause 0x1
	buffer_load_dword v14, off, s[0:3], s33 offset:264
	buffer_load_dword v15, off, s[0:3], s33 offset:268
	v_add_nc_u32_e32 v8, v8, v5
	v_ashrrev_i32_e32 v11, 31, v8
	v_add_co_u32 v12, vcc_lo, v8, v69
	v_add_co_ci_u32_e64 v13, null, v11, v70, vcc_lo
	s_waitcnt lgkmcnt(0)
	v_readfirstlane_b32 s17, v9
	s_and_b32 s22, s17, 3
	s_bfe_u32 s73, s17, 0x50002
	s_flbit_i32_b32 s23, s22
	s_min_u32 s23, s23, 32
	s_sub_i32 s72, s23, 29
	s_sub_i32 s23, 30, s23
	s_lshl_b32 s72, s17, s72
	s_and_b32 s72, s72, 3
	s_cmp_eq_u32 s73, 0
	s_cselect_b32 s23, s23, s73
	s_cselect_b32 s22, s72, s22
	s_lshl_b32 s72, s17, 24
	s_lshl_b32 s23, s23, 23
	s_and_b32 s72, s72, 0x80000000
	s_add_i32 s23, s23, 0x37800000
	s_lshl_b32 s73, s22, 21
	s_or_b32 s23, s72, s23
	s_mov_b32 s22, 0
	s_or_b32 s23, s23, s73
	s_and_b32 s72, s17, 0xff
	s_waitcnt vmcnt(1)
	v_add_co_u32 v14, vcc_lo, v8, v14
	s_waitcnt vmcnt(0)
	v_add_co_ci_u32_e64 v15, null, v11, v15, vcc_lo
	v_add_co_u32 v16, vcc_lo, v9, v8
	v_add_co_ci_u32_e64 v17, null, v10, v11, vcc_lo
	s_branch .LBB6_15150
.LBB6_15147:                            ;   in Loop: Header=BB6_15150 Depth=3
	s_or_b32 exec_lo, exec_lo, s17
	v_lshrrev_b32_e32 v24, 21, v24
	v_min_i32_e32 v31, 31, v22
	v_cmp_gt_i32_e32 vcc_lo, 32, v22
	v_and_b32_sdwa v11, v11, v117 dst_sel:DWORD dst_unused:UNUSED_PAD src0_sel:BYTE_3 src1_sel:DWORD
	v_lshlrev_b32_e32 v31, 2, v31
	v_cndmask_b32_e32 v24, 3, v24, vcc_lo
	v_and_b32_e32 v31, 0xfc, v31
	v_and_b32_e32 v37, 3, v24
	v_or_b32_e32 v22, v22, v24
	v_or3_b32 v11, v11, v31, v37
	v_cmp_ne_u32_e32 vcc_lo, 0, v22
	v_lshlrev_b32_e32 v11, 8, v11
	v_cndmask_b32_e32 v22, 0, v11, vcc_lo
.LBB6_15148:                            ;   in Loop: Header=BB6_15150 Depth=3
	s_or_b32 exec_lo, exec_lo, s74
.LBB6_15149:                            ;   in Loop: Header=BB6_15150 Depth=3
	s_or_b32 exec_lo, exec_lo, s73
	v_or_b32_sdwa v9, v9, v28 dst_sel:WORD_1 dst_unused:UNUSED_PAD src0_sel:DWORD src1_sel:DWORD
	v_or_b32_sdwa v8, v8, v26 dst_sel:WORD_1 dst_unused:UNUSED_PAD src0_sel:DWORD src1_sel:DWORD
	;; [unrolled: 1-line block ×4, first 2 shown]
	v_sub_nc_u32_e32 v6, v6, v103
	v_or3_b32 v9, v36, v30, v9
	v_or3_b32 v8, v21, v18, v8
	;; [unrolled: 1-line block ×4, first 2 shown]
	global_store_dwordx4 v[14:15], v[8:11], off glc slc
	v_lshlrev_b32_e32 v8, 9, v103
	v_sub_nc_u32_e32 v7, v7, v8
	v_add_co_u32 v12, vcc_lo, v12, v8
	v_add_co_ci_u32_e64 v13, null, 0, v13, vcc_lo
	v_add_co_u32 v16, vcc_lo, v16, v8
	v_add_co_ci_u32_e64 v17, null, 0, v17, vcc_lo
	v_cmp_gt_i32_e32 vcc_lo, 16, v7
	v_add_co_u32 v14, s17, v14, v8
	v_add_co_ci_u32_e64 v15, null, 0, v15, s17
	s_or_b32 s22, vcc_lo, s22
	s_andn2_b32 exec_lo, exec_lo, s22
	s_cbranch_execz .LBB6_15796
.LBB6_15150:                            ;   Parent Loop BB6_47 Depth=1
                                        ;     Parent Loop BB6_7909 Depth=2
                                        ; =>    This Inner Loop Header: Depth=3
	s_cmpk_lt_i32 s72, 0x80
	s_cbranch_scc1 .LBB6_15154
; %bb.15151:                            ;   in Loop: Header=BB6_15150 Depth=3
	s_and_b32 s17, 0xffff, s72
	s_cmpk_eq_i32 s17, 0x80
	s_mov_b32 s17, -1
	s_cbranch_scc0 .LBB6_15153
; %bb.15152:                            ;   in Loop: Header=BB6_15150 Depth=3
	s_mov_b32 s17, 0
.LBB6_15153:                            ;   in Loop: Header=BB6_15150 Depth=3
	s_mov_b32 s73, 0x7f800001
	s_branch .LBB6_15156
.LBB6_15154:                            ;   in Loop: Header=BB6_15150 Depth=3
	s_mov_b32 s17, 0
	s_mov_b32 s73, 0x7f800001
	s_cbranch_execz .LBB6_15156
; %bb.15155:                            ;   in Loop: Header=BB6_15150 Depth=3
	s_and_b32 s17, 0xffff, s72
	s_mov_b32 s73, 0
	s_cmp_lg_u32 s17, 0
	s_cselect_b32 s17, -1, 0
.LBB6_15156:                            ;   in Loop: Header=BB6_15150 Depth=3
	s_andn2_b32 vcc_lo, exec_lo, s17
	s_cbranch_vccnz .LBB6_15158
; %bb.15157:                            ;   in Loop: Header=BB6_15150 Depth=3
	s_mov_b32 s73, s23
.LBB6_15158:                            ;   in Loop: Header=BB6_15150 Depth=3
	global_load_dwordx4 v[8:11], v[12:13], off slc
	s_mov_b32 s17, 0
	s_waitcnt vmcnt(0)
	v_cmp_gt_i16_sdwa s74, v8, v116 src0_sel:BYTE_0 src1_sel:DWORD
	s_and_saveexec_b32 s75, s74
	s_xor_b32 s74, exec_lo, s75
	s_cbranch_execz .LBB6_15700
; %bb.15159:                            ;   in Loop: Header=BB6_15150 Depth=3
	v_cmp_eq_u16_sdwa s76, v8, v117 src0_sel:BYTE_0 src1_sel:DWORD
	s_mov_b32 s17, -1
	s_and_saveexec_b32 s75, s76
; %bb.15160:                            ;   in Loop: Header=BB6_15150 Depth=3
	s_xor_b32 s17, exec_lo, -1
; %bb.15161:                            ;   in Loop: Header=BB6_15150 Depth=3
	s_or_b32 exec_lo, exec_lo, s75
	s_and_b32 s17, s17, exec_lo
	s_or_saveexec_b32 s74, s74
	v_mov_b32_e32 v18, 0x7f800001
	s_xor_b32 exec_lo, exec_lo, s74
	s_cbranch_execnz .LBB6_15701
.LBB6_15162:                            ;   in Loop: Header=BB6_15150 Depth=3
	s_or_b32 exec_lo, exec_lo, s74
	s_and_saveexec_b32 s74, s17
	s_cbranch_execz .LBB6_15164
.LBB6_15163:                            ;   in Loop: Header=BB6_15150 Depth=3
	v_and_b32_e32 v18, 3, v8
	v_bfe_u32 v21, v8, 2, 5
	v_lshlrev_b32_e32 v22, 24, v8
	v_ffbh_u32_e32 v19, v18
	v_cmp_eq_u32_e32 vcc_lo, 0, v21
	v_min_u32_e32 v19, 32, v19
	v_subrev_nc_u32_e32 v20, 29, v19
	v_sub_nc_u32_e32 v19, 30, v19
	v_lshlrev_b32_e32 v20, v20, v8
	v_cndmask_b32_e32 v19, v21, v19, vcc_lo
	v_and_b32_e32 v20, 3, v20
	v_lshl_add_u32 v19, v19, 23, 0x37800000
	v_cndmask_b32_e32 v18, v18, v20, vcc_lo
	v_and_b32_e32 v20, 0x80000000, v22
	v_lshlrev_b32_e32 v18, 21, v18
	v_or3_b32 v18, v20, v19, v18
.LBB6_15164:                            ;   in Loop: Header=BB6_15150 Depth=3
	s_or_b32 exec_lo, exec_lo, s74
	v_mul_f32_e32 v19, s73, v18
	v_and_b32_e32 v18, 0x7f800000, v19
	v_cmp_ne_u32_e32 vcc_lo, 0x7f800000, v18
	v_mov_b32_e32 v18, 0x80
	s_and_saveexec_b32 s74, vcc_lo
	s_cbranch_execz .LBB6_15172
; %bb.15165:                            ;   in Loop: Header=BB6_15150 Depth=3
	v_mov_b32_e32 v18, 0
	s_mov_b32 s75, exec_lo
	v_cmpx_ne_u32_e32 0, v19
	s_cbranch_execz .LBB6_15171
; %bb.15166:                            ;   in Loop: Header=BB6_15150 Depth=3
	v_bfe_u32 v18, v19, 23, 8
	v_and_b32_e32 v20, 0x7fffff, v19
	v_sub_nc_u32_e32 v21, 0x70, v18
	v_cmp_gt_u32_e32 vcc_lo, 0x71, v18
	v_or_b32_e32 v22, 0x800000, v20
	v_cndmask_b32_e32 v21, 0, v21, vcc_lo
	v_cmp_eq_u32_e32 vcc_lo, 0, v18
	v_add_nc_u32_e32 v18, 0xffffff91, v18
	v_cndmask_b32_e64 v21, v21, 0x6f, vcc_lo
	v_cndmask_b32_e32 v20, v22, v20, vcc_lo
	v_cndmask_b32_e64 v18, v18, 0xffffff92, vcc_lo
	v_lshl_add_u32 v22, 0x200000, v21, -1
	v_lshrrev_b32_e32 v23, v21, v20
	v_lshlrev_b32_e64 v25, v21, 0x100000
	v_add_nc_u32_e32 v21, v21, v18
	v_and_b32_e32 v20, v22, v20
	v_bfe_u32 v24, v23, 21, 1
	v_cmp_eq_u32_e64 s17, v20, v25
	v_add_nc_u32_e32 v22, -1, v24
	v_cndmask_b32_e64 v20, 0, v22, s17
	v_lshrrev_b32_e32 v22, 23, v23
	s_mov_b32 s17, exec_lo
	v_add_nc_u32_e32 v20, v20, v23
	v_xor_b32_e32 v22, 1, v22
	v_and_b32_e32 v18, 0x1fffff, v20
	v_add_nc_u32_e32 v20, v18, v23
                                        ; implicit-def: $vgpr18
	v_cmpx_ne_u32_e64 v21, v22
	s_xor_b32 s17, exec_lo, s17
; %bb.15167:                            ;   in Loop: Header=BB6_15150 Depth=3
	v_cmp_lt_u32_e32 vcc_lo, 0xffffff, v20
	v_sub_nc_u32_e32 v18, v21, v22
	v_cndmask_b32_e64 v21, 0, 1, vcc_lo
	v_add_co_ci_u32_e64 v18, null, 0, v18, vcc_lo
	v_lshrrev_b32_e32 v20, v21, v20
; %bb.15168:                            ;   in Loop: Header=BB6_15150 Depth=3
	s_andn2_saveexec_b32 s17, s17
; %bb.15169:                            ;   in Loop: Header=BB6_15150 Depth=3
	v_bfe_u32 v18, v20, 23, 1
; %bb.15170:                            ;   in Loop: Header=BB6_15150 Depth=3
	s_or_b32 exec_lo, exec_lo, s17
	v_lshrrev_b32_e32 v20, 21, v20
	v_min_i32_e32 v21, 31, v18
	v_cmp_gt_i32_e32 vcc_lo, 32, v18
	v_and_b32_sdwa v19, v19, v117 dst_sel:DWORD dst_unused:UNUSED_PAD src0_sel:BYTE_3 src1_sel:DWORD
	v_lshlrev_b32_e32 v21, 2, v21
	v_cndmask_b32_e32 v20, 3, v20, vcc_lo
	v_and_b32_e32 v21, 0xfc, v21
	v_and_b32_e32 v22, 3, v20
	v_or_b32_e32 v18, v18, v20
	v_or3_b32 v19, v21, v19, v22
	v_cmp_ne_u32_e32 vcc_lo, 0, v18
	v_cndmask_b32_e32 v18, 0, v19, vcc_lo
.LBB6_15171:                            ;   in Loop: Header=BB6_15150 Depth=3
	s_or_b32 exec_lo, exec_lo, s75
.LBB6_15172:                            ;   in Loop: Header=BB6_15150 Depth=3
	s_or_b32 exec_lo, exec_lo, s74
	v_cmp_gt_i16_sdwa s74, v8, v116 src0_sel:BYTE_1 src1_sel:DWORD
	s_mov_b32 s17, 0
	s_and_saveexec_b32 s75, s74
	s_xor_b32 s74, exec_lo, s75
	s_cbranch_execz .LBB6_15702
; %bb.15173:                            ;   in Loop: Header=BB6_15150 Depth=3
	v_cmp_eq_u16_sdwa s76, v8, v117 src0_sel:BYTE_1 src1_sel:DWORD
	s_mov_b32 s17, -1
	s_and_saveexec_b32 s75, s76
; %bb.15174:                            ;   in Loop: Header=BB6_15150 Depth=3
	s_xor_b32 s17, exec_lo, -1
; %bb.15175:                            ;   in Loop: Header=BB6_15150 Depth=3
	s_or_b32 exec_lo, exec_lo, s75
	s_and_b32 s17, s17, exec_lo
	s_or_saveexec_b32 s74, s74
	v_mov_b32_e32 v19, 0x7f800001
	s_xor_b32 exec_lo, exec_lo, s74
	s_cbranch_execnz .LBB6_15703
.LBB6_15176:                            ;   in Loop: Header=BB6_15150 Depth=3
	s_or_b32 exec_lo, exec_lo, s74
	s_and_saveexec_b32 s74, s17
	s_cbranch_execz .LBB6_15178
.LBB6_15177:                            ;   in Loop: Header=BB6_15150 Depth=3
	v_and_b32_sdwa v19, v118, v8 dst_sel:DWORD dst_unused:UNUSED_PAD src0_sel:DWORD src1_sel:BYTE_1
	v_and_b32_e32 v20, 3, v19
	v_bfe_u32 v23, v19, 2, 5
	v_ffbh_u32_e32 v21, v20
	v_cmp_eq_u32_e32 vcc_lo, 0, v23
	v_min_u32_e32 v21, 32, v21
	v_subrev_nc_u32_e32 v22, 29, v21
	v_sub_nc_u32_e32 v21, 30, v21
	v_lshlrev_b32_e32 v19, v22, v19
	v_lshlrev_b32_sdwa v22, v119, v8 dst_sel:DWORD dst_unused:UNUSED_PAD src0_sel:DWORD src1_sel:BYTE_1
	v_cndmask_b32_e32 v21, v23, v21, vcc_lo
	v_and_b32_e32 v19, 3, v19
	v_lshl_add_u32 v21, v21, 23, 0x37800000
	v_cndmask_b32_e32 v19, v20, v19, vcc_lo
	v_and_b32_e32 v20, 0x80000000, v22
	v_lshlrev_b32_e32 v19, 21, v19
	v_or3_b32 v19, v20, v21, v19
.LBB6_15178:                            ;   in Loop: Header=BB6_15150 Depth=3
	s_or_b32 exec_lo, exec_lo, s74
	v_mul_f32_e32 v19, s73, v19
	v_mov_b32_e32 v21, 0x8000
	s_mov_b32 s74, exec_lo
	v_and_b32_e32 v20, 0x7f800000, v19
	v_cmpx_ne_u32_e32 0x7f800000, v20
	s_cbranch_execz .LBB6_15186
; %bb.15179:                            ;   in Loop: Header=BB6_15150 Depth=3
	v_mov_b32_e32 v21, 0
	s_mov_b32 s75, exec_lo
	v_cmpx_ne_u32_e32 0, v19
	s_cbranch_execz .LBB6_15185
; %bb.15180:                            ;   in Loop: Header=BB6_15150 Depth=3
	v_bfe_u32 v20, v19, 23, 8
	v_and_b32_e32 v21, 0x7fffff, v19
	v_sub_nc_u32_e32 v22, 0x70, v20
	v_cmp_gt_u32_e32 vcc_lo, 0x71, v20
	v_or_b32_e32 v23, 0x800000, v21
	v_cndmask_b32_e32 v22, 0, v22, vcc_lo
	v_cmp_eq_u32_e32 vcc_lo, 0, v20
	v_add_nc_u32_e32 v20, 0xffffff91, v20
	v_cndmask_b32_e64 v22, v22, 0x6f, vcc_lo
	v_cndmask_b32_e32 v21, v23, v21, vcc_lo
	v_cndmask_b32_e64 v20, v20, 0xffffff92, vcc_lo
	v_lshl_add_u32 v23, 0x200000, v22, -1
	v_lshrrev_b32_e32 v24, v22, v21
	v_lshlrev_b32_e64 v26, v22, 0x100000
	v_add_nc_u32_e32 v22, v22, v20
	v_and_b32_e32 v21, v23, v21
	v_bfe_u32 v25, v24, 21, 1
	v_cmp_eq_u32_e64 s17, v21, v26
	v_add_nc_u32_e32 v23, -1, v25
	v_cndmask_b32_e64 v21, 0, v23, s17
	v_lshrrev_b32_e32 v23, 23, v24
	s_mov_b32 s17, exec_lo
	v_add_nc_u32_e32 v21, v21, v24
	v_xor_b32_e32 v23, 1, v23
	v_and_b32_e32 v20, 0x1fffff, v21
	v_add_nc_u32_e32 v21, v20, v24
                                        ; implicit-def: $vgpr20
	v_cmpx_ne_u32_e64 v22, v23
	s_xor_b32 s17, exec_lo, s17
; %bb.15181:                            ;   in Loop: Header=BB6_15150 Depth=3
	v_cmp_lt_u32_e32 vcc_lo, 0xffffff, v21
	v_sub_nc_u32_e32 v20, v22, v23
	v_cndmask_b32_e64 v22, 0, 1, vcc_lo
	v_add_co_ci_u32_e64 v20, null, 0, v20, vcc_lo
	v_lshrrev_b32_e32 v21, v22, v21
; %bb.15182:                            ;   in Loop: Header=BB6_15150 Depth=3
	s_andn2_saveexec_b32 s17, s17
; %bb.15183:                            ;   in Loop: Header=BB6_15150 Depth=3
	v_bfe_u32 v20, v21, 23, 1
; %bb.15184:                            ;   in Loop: Header=BB6_15150 Depth=3
	s_or_b32 exec_lo, exec_lo, s17
	v_lshrrev_b32_e32 v21, 21, v21
	v_min_i32_e32 v22, 31, v20
	v_cmp_gt_i32_e32 vcc_lo, 32, v20
	v_and_b32_sdwa v19, v19, v117 dst_sel:DWORD dst_unused:UNUSED_PAD src0_sel:BYTE_3 src1_sel:DWORD
	v_lshlrev_b32_e32 v22, 2, v22
	v_cndmask_b32_e32 v21, 3, v21, vcc_lo
	v_and_b32_e32 v22, 0xfc, v22
	v_and_b32_e32 v23, 3, v21
	v_or_b32_e32 v20, v20, v21
	v_or3_b32 v19, v19, v22, v23
	v_cmp_ne_u32_e32 vcc_lo, 0, v20
	v_lshlrev_b32_e32 v19, 8, v19
	v_cndmask_b32_e32 v21, 0, v19, vcc_lo
.LBB6_15185:                            ;   in Loop: Header=BB6_15150 Depth=3
	s_or_b32 exec_lo, exec_lo, s75
.LBB6_15186:                            ;   in Loop: Header=BB6_15150 Depth=3
	s_or_b32 exec_lo, exec_lo, s74
	v_and_b32_sdwa v20, v8, v40 dst_sel:DWORD dst_unused:UNUSED_PAD src0_sel:WORD_1 src1_sel:DWORD
	s_mov_b32 s17, 0
	s_mov_b32 s74, exec_lo
	v_cmpx_lt_i16_e32 0x7f, v20
	s_xor_b32 s74, exec_lo, s74
	s_cbranch_execz .LBB6_15704
; %bb.15187:                            ;   in Loop: Header=BB6_15150 Depth=3
	s_mov_b32 s17, -1
	s_mov_b32 s75, exec_lo
	v_cmpx_eq_u16_e32 0x80, v20
; %bb.15188:                            ;   in Loop: Header=BB6_15150 Depth=3
	s_xor_b32 s17, exec_lo, -1
; %bb.15189:                            ;   in Loop: Header=BB6_15150 Depth=3
	s_or_b32 exec_lo, exec_lo, s75
	s_and_b32 s17, s17, exec_lo
                                        ; implicit-def: $vgpr20
	s_or_saveexec_b32 s74, s74
	v_mov_b32_e32 v19, 0x7f800001
	s_xor_b32 exec_lo, exec_lo, s74
	s_cbranch_execnz .LBB6_15705
.LBB6_15190:                            ;   in Loop: Header=BB6_15150 Depth=3
	s_or_b32 exec_lo, exec_lo, s74
	s_and_saveexec_b32 s74, s17
	s_cbranch_execz .LBB6_15192
.LBB6_15191:                            ;   in Loop: Header=BB6_15150 Depth=3
	v_bfe_u32 v19, v8, 16, 2
	v_bfe_u32 v23, v8, 18, 5
	v_lshlrev_b32_e32 v24, 8, v8
	v_ffbh_u32_e32 v20, v19
	v_cmp_eq_u32_e32 vcc_lo, 0, v23
	v_min_u32_e32 v20, 32, v20
	v_subrev_nc_u32_e32 v22, 29, v20
	v_sub_nc_u32_e32 v20, 30, v20
	v_lshlrev_b32_sdwa v22, v22, v8 dst_sel:DWORD dst_unused:UNUSED_PAD src0_sel:DWORD src1_sel:WORD_1
	v_cndmask_b32_e32 v20, v23, v20, vcc_lo
	v_and_b32_e32 v22, 3, v22
	v_lshl_add_u32 v20, v20, 23, 0x37800000
	v_cndmask_b32_e32 v19, v19, v22, vcc_lo
	v_and_b32_e32 v22, 0x80000000, v24
	v_lshlrev_b32_e32 v19, 21, v19
	v_or3_b32 v19, v22, v20, v19
.LBB6_15192:                            ;   in Loop: Header=BB6_15150 Depth=3
	s_or_b32 exec_lo, exec_lo, s74
	v_mul_f32_e32 v19, s73, v19
	v_mov_b32_e32 v26, 0x80
	s_mov_b32 s74, exec_lo
	v_and_b32_e32 v20, 0x7f800000, v19
	v_cmpx_ne_u32_e32 0x7f800000, v20
	s_cbranch_execz .LBB6_15200
; %bb.15193:                            ;   in Loop: Header=BB6_15150 Depth=3
	v_mov_b32_e32 v26, 0
	s_mov_b32 s75, exec_lo
	v_cmpx_ne_u32_e32 0, v19
	s_cbranch_execz .LBB6_15199
; %bb.15194:                            ;   in Loop: Header=BB6_15150 Depth=3
	v_bfe_u32 v20, v19, 23, 8
	v_and_b32_e32 v22, 0x7fffff, v19
	v_sub_nc_u32_e32 v23, 0x70, v20
	v_cmp_gt_u32_e32 vcc_lo, 0x71, v20
	v_or_b32_e32 v24, 0x800000, v22
	v_cndmask_b32_e32 v23, 0, v23, vcc_lo
	v_cmp_eq_u32_e32 vcc_lo, 0, v20
	v_add_nc_u32_e32 v20, 0xffffff91, v20
	v_cndmask_b32_e64 v23, v23, 0x6f, vcc_lo
	v_cndmask_b32_e32 v22, v24, v22, vcc_lo
	v_cndmask_b32_e64 v20, v20, 0xffffff92, vcc_lo
	v_lshl_add_u32 v24, 0x200000, v23, -1
	v_lshrrev_b32_e32 v25, v23, v22
	v_lshlrev_b32_e64 v27, v23, 0x100000
	v_add_nc_u32_e32 v23, v23, v20
	v_and_b32_e32 v22, v24, v22
	v_bfe_u32 v26, v25, 21, 1
	v_cmp_eq_u32_e64 s17, v22, v27
	v_add_nc_u32_e32 v24, -1, v26
	v_cndmask_b32_e64 v22, 0, v24, s17
	v_lshrrev_b32_e32 v24, 23, v25
	s_mov_b32 s17, exec_lo
	v_add_nc_u32_e32 v22, v22, v25
	v_xor_b32_e32 v24, 1, v24
	v_and_b32_e32 v20, 0x1fffff, v22
	v_add_nc_u32_e32 v22, v20, v25
                                        ; implicit-def: $vgpr20
	v_cmpx_ne_u32_e64 v23, v24
	s_xor_b32 s17, exec_lo, s17
; %bb.15195:                            ;   in Loop: Header=BB6_15150 Depth=3
	v_cmp_lt_u32_e32 vcc_lo, 0xffffff, v22
	v_sub_nc_u32_e32 v20, v23, v24
	v_cndmask_b32_e64 v23, 0, 1, vcc_lo
	v_add_co_ci_u32_e64 v20, null, 0, v20, vcc_lo
	v_lshrrev_b32_e32 v22, v23, v22
; %bb.15196:                            ;   in Loop: Header=BB6_15150 Depth=3
	s_andn2_saveexec_b32 s17, s17
; %bb.15197:                            ;   in Loop: Header=BB6_15150 Depth=3
	v_bfe_u32 v20, v22, 23, 1
; %bb.15198:                            ;   in Loop: Header=BB6_15150 Depth=3
	s_or_b32 exec_lo, exec_lo, s17
	v_lshrrev_b32_e32 v22, 21, v22
	v_min_i32_e32 v23, 31, v20
	v_cmp_gt_i32_e32 vcc_lo, 32, v20
	v_and_b32_sdwa v19, v19, v117 dst_sel:DWORD dst_unused:UNUSED_PAD src0_sel:BYTE_3 src1_sel:DWORD
	v_lshlrev_b32_e32 v23, 2, v23
	v_cndmask_b32_e32 v22, 3, v22, vcc_lo
	v_and_b32_e32 v23, 0xfc, v23
	v_and_b32_e32 v24, 3, v22
	v_or_b32_e32 v20, v20, v22
	v_or3_b32 v19, v23, v19, v24
	v_cmp_ne_u32_e32 vcc_lo, 0, v20
	v_cndmask_b32_e32 v26, 0, v19, vcc_lo
.LBB6_15199:                            ;   in Loop: Header=BB6_15150 Depth=3
	s_or_b32 exec_lo, exec_lo, s75
.LBB6_15200:                            ;   in Loop: Header=BB6_15150 Depth=3
	s_or_b32 exec_lo, exec_lo, s74
	v_cmp_gt_i16_sdwa s74, v8, v116 src0_sel:BYTE_3 src1_sel:DWORD
	s_mov_b32 s17, 0
	s_and_saveexec_b32 s75, s74
	s_xor_b32 s74, exec_lo, s75
	s_cbranch_execz .LBB6_15706
; %bb.15201:                            ;   in Loop: Header=BB6_15150 Depth=3
	v_cmp_eq_u16_sdwa s76, v8, v117 src0_sel:BYTE_3 src1_sel:DWORD
	s_mov_b32 s17, -1
	s_and_saveexec_b32 s75, s76
; %bb.15202:                            ;   in Loop: Header=BB6_15150 Depth=3
	s_xor_b32 s17, exec_lo, -1
; %bb.15203:                            ;   in Loop: Header=BB6_15150 Depth=3
	s_or_b32 exec_lo, exec_lo, s75
	s_and_b32 s17, s17, exec_lo
	s_or_saveexec_b32 s74, s74
	v_mov_b32_e32 v19, 0x7f800001
	s_xor_b32 exec_lo, exec_lo, s74
	s_cbranch_execnz .LBB6_15707
.LBB6_15204:                            ;   in Loop: Header=BB6_15150 Depth=3
	s_or_b32 exec_lo, exec_lo, s74
	s_and_saveexec_b32 s74, s17
	s_cbranch_execz .LBB6_15206
.LBB6_15205:                            ;   in Loop: Header=BB6_15150 Depth=3
	v_bfe_u32 v19, v8, 24, 2
	v_bfe_u32 v23, v8, 26, 5
	v_ffbh_u32_e32 v20, v19
	v_cmp_eq_u32_e32 vcc_lo, 0, v23
	v_min_u32_e32 v20, 32, v20
	v_subrev_nc_u32_e32 v22, 29, v20
	v_sub_nc_u32_e32 v20, 30, v20
	v_lshlrev_b32_sdwa v22, v22, v8 dst_sel:DWORD dst_unused:UNUSED_PAD src0_sel:DWORD src1_sel:BYTE_3
	v_cndmask_b32_e32 v20, v23, v20, vcc_lo
	v_and_b32_e32 v8, 0x80000000, v8
	v_and_b32_e32 v22, 3, v22
	v_lshl_add_u32 v20, v20, 23, 0x37800000
	v_cndmask_b32_e32 v19, v19, v22, vcc_lo
	v_lshlrev_b32_e32 v19, 21, v19
	v_or3_b32 v19, v8, v20, v19
.LBB6_15206:                            ;   in Loop: Header=BB6_15150 Depth=3
	s_or_b32 exec_lo, exec_lo, s74
	v_mul_f32_e32 v8, s73, v19
	v_mov_b32_e32 v37, 0x8000
	s_mov_b32 s74, exec_lo
	v_and_b32_e32 v19, 0x7f800000, v8
	v_cmpx_ne_u32_e32 0x7f800000, v19
	s_cbranch_execz .LBB6_15214
; %bb.15207:                            ;   in Loop: Header=BB6_15150 Depth=3
	v_mov_b32_e32 v37, 0
	s_mov_b32 s75, exec_lo
	v_cmpx_ne_u32_e32 0, v8
	s_cbranch_execz .LBB6_15213
; %bb.15208:                            ;   in Loop: Header=BB6_15150 Depth=3
	v_bfe_u32 v19, v8, 23, 8
	v_and_b32_e32 v20, 0x7fffff, v8
	v_sub_nc_u32_e32 v22, 0x70, v19
	v_cmp_gt_u32_e32 vcc_lo, 0x71, v19
	v_or_b32_e32 v23, 0x800000, v20
	v_cndmask_b32_e32 v22, 0, v22, vcc_lo
	v_cmp_eq_u32_e32 vcc_lo, 0, v19
	v_add_nc_u32_e32 v19, 0xffffff91, v19
	v_cndmask_b32_e64 v22, v22, 0x6f, vcc_lo
	v_cndmask_b32_e32 v20, v23, v20, vcc_lo
	v_cndmask_b32_e64 v19, v19, 0xffffff92, vcc_lo
	v_lshl_add_u32 v23, 0x200000, v22, -1
	v_lshrrev_b32_e32 v24, v22, v20
	v_lshlrev_b32_e64 v27, v22, 0x100000
	v_add_nc_u32_e32 v22, v22, v19
	v_and_b32_e32 v20, v23, v20
	v_bfe_u32 v25, v24, 21, 1
	v_cmp_eq_u32_e64 s17, v20, v27
	v_add_nc_u32_e32 v23, -1, v25
	v_cndmask_b32_e64 v20, 0, v23, s17
	v_lshrrev_b32_e32 v23, 23, v24
	s_mov_b32 s17, exec_lo
	v_add_nc_u32_e32 v20, v20, v24
	v_xor_b32_e32 v23, 1, v23
	v_and_b32_e32 v19, 0x1fffff, v20
	v_add_nc_u32_e32 v20, v19, v24
                                        ; implicit-def: $vgpr19
	v_cmpx_ne_u32_e64 v22, v23
	s_xor_b32 s17, exec_lo, s17
; %bb.15209:                            ;   in Loop: Header=BB6_15150 Depth=3
	v_cmp_lt_u32_e32 vcc_lo, 0xffffff, v20
	v_sub_nc_u32_e32 v19, v22, v23
	v_cndmask_b32_e64 v22, 0, 1, vcc_lo
	v_add_co_ci_u32_e64 v19, null, 0, v19, vcc_lo
	v_lshrrev_b32_e32 v20, v22, v20
; %bb.15210:                            ;   in Loop: Header=BB6_15150 Depth=3
	s_andn2_saveexec_b32 s17, s17
; %bb.15211:                            ;   in Loop: Header=BB6_15150 Depth=3
	v_bfe_u32 v19, v20, 23, 1
; %bb.15212:                            ;   in Loop: Header=BB6_15150 Depth=3
	s_or_b32 exec_lo, exec_lo, s17
	v_lshrrev_b32_e32 v20, 21, v20
	v_min_i32_e32 v22, 31, v19
	v_cmp_gt_i32_e32 vcc_lo, 32, v19
	v_and_b32_sdwa v8, v8, v117 dst_sel:DWORD dst_unused:UNUSED_PAD src0_sel:BYTE_3 src1_sel:DWORD
	v_lshlrev_b32_e32 v22, 2, v22
	v_cndmask_b32_e32 v20, 3, v20, vcc_lo
	v_and_b32_e32 v22, 0xfc, v22
	v_and_b32_e32 v23, 3, v20
	v_or_b32_e32 v19, v19, v20
	v_or3_b32 v8, v8, v22, v23
	v_cmp_ne_u32_e32 vcc_lo, 0, v19
	v_lshlrev_b32_e32 v8, 8, v8
	v_cndmask_b32_e32 v37, 0, v8, vcc_lo
.LBB6_15213:                            ;   in Loop: Header=BB6_15150 Depth=3
	s_or_b32 exec_lo, exec_lo, s75
.LBB6_15214:                            ;   in Loop: Header=BB6_15150 Depth=3
	s_or_b32 exec_lo, exec_lo, s74
	v_cmp_gt_i16_sdwa s74, v9, v116 src0_sel:BYTE_0 src1_sel:DWORD
	s_mov_b32 s17, 0
	s_and_saveexec_b32 s75, s74
	s_xor_b32 s74, exec_lo, s75
	s_cbranch_execz .LBB6_15708
; %bb.15215:                            ;   in Loop: Header=BB6_15150 Depth=3
	v_cmp_eq_u16_sdwa s76, v9, v117 src0_sel:BYTE_0 src1_sel:DWORD
	s_mov_b32 s17, -1
	s_and_saveexec_b32 s75, s76
; %bb.15216:                            ;   in Loop: Header=BB6_15150 Depth=3
	s_xor_b32 s17, exec_lo, -1
; %bb.15217:                            ;   in Loop: Header=BB6_15150 Depth=3
	s_or_b32 exec_lo, exec_lo, s75
	s_and_b32 s17, s17, exec_lo
	s_or_saveexec_b32 s74, s74
	v_mov_b32_e32 v8, 0x7f800001
	s_xor_b32 exec_lo, exec_lo, s74
	s_cbranch_execnz .LBB6_15709
.LBB6_15218:                            ;   in Loop: Header=BB6_15150 Depth=3
	s_or_b32 exec_lo, exec_lo, s74
	s_and_saveexec_b32 s74, s17
	s_cbranch_execz .LBB6_15220
.LBB6_15219:                            ;   in Loop: Header=BB6_15150 Depth=3
	v_and_b32_e32 v8, 3, v9
	v_bfe_u32 v22, v9, 2, 5
	v_lshlrev_b32_e32 v23, 24, v9
	v_ffbh_u32_e32 v19, v8
	v_cmp_eq_u32_e32 vcc_lo, 0, v22
	v_min_u32_e32 v19, 32, v19
	v_subrev_nc_u32_e32 v20, 29, v19
	v_sub_nc_u32_e32 v19, 30, v19
	v_lshlrev_b32_e32 v20, v20, v9
	v_cndmask_b32_e32 v19, v22, v19, vcc_lo
	v_and_b32_e32 v20, 3, v20
	v_lshl_add_u32 v19, v19, 23, 0x37800000
	v_cndmask_b32_e32 v8, v8, v20, vcc_lo
	v_and_b32_e32 v20, 0x80000000, v23
	v_lshlrev_b32_e32 v8, 21, v8
	v_or3_b32 v8, v20, v19, v8
.LBB6_15220:                            ;   in Loop: Header=BB6_15150 Depth=3
	s_or_b32 exec_lo, exec_lo, s74
	v_mul_f32_e32 v8, s73, v8
	v_mov_b32_e32 v30, 0x80
	s_mov_b32 s74, exec_lo
	v_and_b32_e32 v19, 0x7f800000, v8
	v_cmpx_ne_u32_e32 0x7f800000, v19
	s_cbranch_execz .LBB6_15228
; %bb.15221:                            ;   in Loop: Header=BB6_15150 Depth=3
	v_mov_b32_e32 v30, 0
	s_mov_b32 s75, exec_lo
	v_cmpx_ne_u32_e32 0, v8
	s_cbranch_execz .LBB6_15227
; %bb.15222:                            ;   in Loop: Header=BB6_15150 Depth=3
	v_bfe_u32 v19, v8, 23, 8
	v_and_b32_e32 v20, 0x7fffff, v8
	v_sub_nc_u32_e32 v22, 0x70, v19
	v_cmp_gt_u32_e32 vcc_lo, 0x71, v19
	v_or_b32_e32 v23, 0x800000, v20
	v_cndmask_b32_e32 v22, 0, v22, vcc_lo
	v_cmp_eq_u32_e32 vcc_lo, 0, v19
	v_add_nc_u32_e32 v19, 0xffffff91, v19
	v_cndmask_b32_e64 v22, v22, 0x6f, vcc_lo
	v_cndmask_b32_e32 v20, v23, v20, vcc_lo
	v_cndmask_b32_e64 v19, v19, 0xffffff92, vcc_lo
	v_lshl_add_u32 v23, 0x200000, v22, -1
	v_lshrrev_b32_e32 v24, v22, v20
	v_lshlrev_b32_e64 v27, v22, 0x100000
	v_add_nc_u32_e32 v22, v22, v19
	v_and_b32_e32 v20, v23, v20
	v_bfe_u32 v25, v24, 21, 1
	v_cmp_eq_u32_e64 s17, v20, v27
	v_add_nc_u32_e32 v23, -1, v25
	v_cndmask_b32_e64 v20, 0, v23, s17
	v_lshrrev_b32_e32 v23, 23, v24
	s_mov_b32 s17, exec_lo
	v_add_nc_u32_e32 v20, v20, v24
	v_xor_b32_e32 v23, 1, v23
	v_and_b32_e32 v19, 0x1fffff, v20
	v_add_nc_u32_e32 v20, v19, v24
                                        ; implicit-def: $vgpr19
	v_cmpx_ne_u32_e64 v22, v23
	s_xor_b32 s17, exec_lo, s17
; %bb.15223:                            ;   in Loop: Header=BB6_15150 Depth=3
	v_cmp_lt_u32_e32 vcc_lo, 0xffffff, v20
	v_sub_nc_u32_e32 v19, v22, v23
	v_cndmask_b32_e64 v22, 0, 1, vcc_lo
	v_add_co_ci_u32_e64 v19, null, 0, v19, vcc_lo
	v_lshrrev_b32_e32 v20, v22, v20
; %bb.15224:                            ;   in Loop: Header=BB6_15150 Depth=3
	s_andn2_saveexec_b32 s17, s17
; %bb.15225:                            ;   in Loop: Header=BB6_15150 Depth=3
	v_bfe_u32 v19, v20, 23, 1
; %bb.15226:                            ;   in Loop: Header=BB6_15150 Depth=3
	s_or_b32 exec_lo, exec_lo, s17
	v_lshrrev_b32_e32 v20, 21, v20
	v_min_i32_e32 v22, 31, v19
	v_cmp_gt_i32_e32 vcc_lo, 32, v19
	v_and_b32_sdwa v8, v8, v117 dst_sel:DWORD dst_unused:UNUSED_PAD src0_sel:BYTE_3 src1_sel:DWORD
	v_lshlrev_b32_e32 v22, 2, v22
	v_cndmask_b32_e32 v20, 3, v20, vcc_lo
	v_and_b32_e32 v22, 0xfc, v22
	v_and_b32_e32 v23, 3, v20
	v_or_b32_e32 v19, v19, v20
	v_or3_b32 v8, v22, v8, v23
	v_cmp_ne_u32_e32 vcc_lo, 0, v19
	v_cndmask_b32_e32 v30, 0, v8, vcc_lo
.LBB6_15227:                            ;   in Loop: Header=BB6_15150 Depth=3
	s_or_b32 exec_lo, exec_lo, s75
.LBB6_15228:                            ;   in Loop: Header=BB6_15150 Depth=3
	s_or_b32 exec_lo, exec_lo, s74
	v_cmp_gt_i16_sdwa s74, v9, v116 src0_sel:BYTE_1 src1_sel:DWORD
	s_mov_b32 s17, 0
	s_and_saveexec_b32 s75, s74
	s_xor_b32 s74, exec_lo, s75
	s_cbranch_execz .LBB6_15710
; %bb.15229:                            ;   in Loop: Header=BB6_15150 Depth=3
	v_cmp_eq_u16_sdwa s76, v9, v117 src0_sel:BYTE_1 src1_sel:DWORD
	s_mov_b32 s17, -1
	s_and_saveexec_b32 s75, s76
; %bb.15230:                            ;   in Loop: Header=BB6_15150 Depth=3
	s_xor_b32 s17, exec_lo, -1
; %bb.15231:                            ;   in Loop: Header=BB6_15150 Depth=3
	s_or_b32 exec_lo, exec_lo, s75
	s_and_b32 s17, s17, exec_lo
	s_or_saveexec_b32 s74, s74
	v_mov_b32_e32 v8, 0x7f800001
	s_xor_b32 exec_lo, exec_lo, s74
	s_cbranch_execnz .LBB6_15711
.LBB6_15232:                            ;   in Loop: Header=BB6_15150 Depth=3
	s_or_b32 exec_lo, exec_lo, s74
	s_and_saveexec_b32 s74, s17
	s_cbranch_execz .LBB6_15234
.LBB6_15233:                            ;   in Loop: Header=BB6_15150 Depth=3
	v_and_b32_sdwa v8, v118, v9 dst_sel:DWORD dst_unused:UNUSED_PAD src0_sel:DWORD src1_sel:BYTE_1
	v_and_b32_e32 v19, 3, v8
	v_bfe_u32 v23, v8, 2, 5
	v_ffbh_u32_e32 v20, v19
	v_cmp_eq_u32_e32 vcc_lo, 0, v23
	v_min_u32_e32 v20, 32, v20
	v_subrev_nc_u32_e32 v22, 29, v20
	v_sub_nc_u32_e32 v20, 30, v20
	v_lshlrev_b32_e32 v8, v22, v8
	v_lshlrev_b32_sdwa v22, v119, v9 dst_sel:DWORD dst_unused:UNUSED_PAD src0_sel:DWORD src1_sel:BYTE_1
	v_cndmask_b32_e32 v20, v23, v20, vcc_lo
	v_and_b32_e32 v8, 3, v8
	v_lshl_add_u32 v20, v20, 23, 0x37800000
	v_cndmask_b32_e32 v8, v19, v8, vcc_lo
	v_and_b32_e32 v19, 0x80000000, v22
	v_lshlrev_b32_e32 v8, 21, v8
	v_or3_b32 v8, v19, v20, v8
.LBB6_15234:                            ;   in Loop: Header=BB6_15150 Depth=3
	s_or_b32 exec_lo, exec_lo, s74
	v_mul_f32_e32 v8, s73, v8
	v_mov_b32_e32 v36, 0x8000
	s_mov_b32 s74, exec_lo
	v_and_b32_e32 v19, 0x7f800000, v8
	v_cmpx_ne_u32_e32 0x7f800000, v19
	s_cbranch_execz .LBB6_15242
; %bb.15235:                            ;   in Loop: Header=BB6_15150 Depth=3
	v_mov_b32_e32 v36, 0
	s_mov_b32 s75, exec_lo
	v_cmpx_ne_u32_e32 0, v8
	s_cbranch_execz .LBB6_15241
; %bb.15236:                            ;   in Loop: Header=BB6_15150 Depth=3
	v_bfe_u32 v19, v8, 23, 8
	v_and_b32_e32 v20, 0x7fffff, v8
	v_sub_nc_u32_e32 v22, 0x70, v19
	v_cmp_gt_u32_e32 vcc_lo, 0x71, v19
	v_or_b32_e32 v23, 0x800000, v20
	v_cndmask_b32_e32 v22, 0, v22, vcc_lo
	v_cmp_eq_u32_e32 vcc_lo, 0, v19
	v_add_nc_u32_e32 v19, 0xffffff91, v19
	v_cndmask_b32_e64 v22, v22, 0x6f, vcc_lo
	v_cndmask_b32_e32 v20, v23, v20, vcc_lo
	v_cndmask_b32_e64 v19, v19, 0xffffff92, vcc_lo
	v_lshl_add_u32 v23, 0x200000, v22, -1
	v_lshrrev_b32_e32 v24, v22, v20
	v_lshlrev_b32_e64 v27, v22, 0x100000
	v_add_nc_u32_e32 v22, v22, v19
	v_and_b32_e32 v20, v23, v20
	v_bfe_u32 v25, v24, 21, 1
	v_cmp_eq_u32_e64 s17, v20, v27
	v_add_nc_u32_e32 v23, -1, v25
	v_cndmask_b32_e64 v20, 0, v23, s17
	v_lshrrev_b32_e32 v23, 23, v24
	s_mov_b32 s17, exec_lo
	v_add_nc_u32_e32 v20, v20, v24
	v_xor_b32_e32 v23, 1, v23
	v_and_b32_e32 v19, 0x1fffff, v20
	v_add_nc_u32_e32 v20, v19, v24
                                        ; implicit-def: $vgpr19
	v_cmpx_ne_u32_e64 v22, v23
	s_xor_b32 s17, exec_lo, s17
; %bb.15237:                            ;   in Loop: Header=BB6_15150 Depth=3
	v_cmp_lt_u32_e32 vcc_lo, 0xffffff, v20
	v_sub_nc_u32_e32 v19, v22, v23
	v_cndmask_b32_e64 v22, 0, 1, vcc_lo
	v_add_co_ci_u32_e64 v19, null, 0, v19, vcc_lo
	v_lshrrev_b32_e32 v20, v22, v20
; %bb.15238:                            ;   in Loop: Header=BB6_15150 Depth=3
	s_andn2_saveexec_b32 s17, s17
; %bb.15239:                            ;   in Loop: Header=BB6_15150 Depth=3
	v_bfe_u32 v19, v20, 23, 1
; %bb.15240:                            ;   in Loop: Header=BB6_15150 Depth=3
	s_or_b32 exec_lo, exec_lo, s17
	v_lshrrev_b32_e32 v20, 21, v20
	v_min_i32_e32 v22, 31, v19
	v_cmp_gt_i32_e32 vcc_lo, 32, v19
	v_and_b32_sdwa v8, v8, v117 dst_sel:DWORD dst_unused:UNUSED_PAD src0_sel:BYTE_3 src1_sel:DWORD
	v_lshlrev_b32_e32 v22, 2, v22
	v_cndmask_b32_e32 v20, 3, v20, vcc_lo
	v_and_b32_e32 v22, 0xfc, v22
	v_and_b32_e32 v23, 3, v20
	v_or_b32_e32 v19, v19, v20
	v_or3_b32 v8, v8, v22, v23
	v_cmp_ne_u32_e32 vcc_lo, 0, v19
	v_lshlrev_b32_e32 v8, 8, v8
	v_cndmask_b32_e32 v36, 0, v8, vcc_lo
.LBB6_15241:                            ;   in Loop: Header=BB6_15150 Depth=3
	s_or_b32 exec_lo, exec_lo, s75
.LBB6_15242:                            ;   in Loop: Header=BB6_15150 Depth=3
	s_or_b32 exec_lo, exec_lo, s74
	v_and_b32_sdwa v19, v9, v40 dst_sel:DWORD dst_unused:UNUSED_PAD src0_sel:WORD_1 src1_sel:DWORD
	s_mov_b32 s17, 0
	s_mov_b32 s74, exec_lo
	v_cmpx_lt_i16_e32 0x7f, v19
	s_xor_b32 s74, exec_lo, s74
	s_cbranch_execz .LBB6_15712
; %bb.15243:                            ;   in Loop: Header=BB6_15150 Depth=3
	s_mov_b32 s17, -1
	s_mov_b32 s75, exec_lo
	v_cmpx_eq_u16_e32 0x80, v19
; %bb.15244:                            ;   in Loop: Header=BB6_15150 Depth=3
	s_xor_b32 s17, exec_lo, -1
; %bb.15245:                            ;   in Loop: Header=BB6_15150 Depth=3
	s_or_b32 exec_lo, exec_lo, s75
	s_and_b32 s17, s17, exec_lo
                                        ; implicit-def: $vgpr19
	s_or_saveexec_b32 s74, s74
	v_mov_b32_e32 v8, 0x7f800001
	s_xor_b32 exec_lo, exec_lo, s74
	s_cbranch_execnz .LBB6_15713
.LBB6_15246:                            ;   in Loop: Header=BB6_15150 Depth=3
	s_or_b32 exec_lo, exec_lo, s74
	s_and_saveexec_b32 s74, s17
	s_cbranch_execz .LBB6_15248
.LBB6_15247:                            ;   in Loop: Header=BB6_15150 Depth=3
	v_bfe_u32 v8, v9, 16, 2
	v_bfe_u32 v22, v9, 18, 5
	v_lshlrev_b32_e32 v23, 8, v9
	v_ffbh_u32_e32 v19, v8
	v_cmp_eq_u32_e32 vcc_lo, 0, v22
	v_min_u32_e32 v19, 32, v19
	v_subrev_nc_u32_e32 v20, 29, v19
	v_sub_nc_u32_e32 v19, 30, v19
	v_lshlrev_b32_sdwa v20, v20, v9 dst_sel:DWORD dst_unused:UNUSED_PAD src0_sel:DWORD src1_sel:WORD_1
	v_cndmask_b32_e32 v19, v22, v19, vcc_lo
	v_and_b32_e32 v20, 3, v20
	v_lshl_add_u32 v19, v19, 23, 0x37800000
	v_cndmask_b32_e32 v8, v8, v20, vcc_lo
	v_and_b32_e32 v20, 0x80000000, v23
	v_lshlrev_b32_e32 v8, 21, v8
	v_or3_b32 v8, v20, v19, v8
.LBB6_15248:                            ;   in Loop: Header=BB6_15150 Depth=3
	s_or_b32 exec_lo, exec_lo, s74
	v_mul_f32_e32 v8, s73, v8
	v_mov_b32_e32 v28, 0x80
	s_mov_b32 s74, exec_lo
	v_and_b32_e32 v19, 0x7f800000, v8
	v_cmpx_ne_u32_e32 0x7f800000, v19
	s_cbranch_execz .LBB6_15256
; %bb.15249:                            ;   in Loop: Header=BB6_15150 Depth=3
	v_mov_b32_e32 v28, 0
	s_mov_b32 s75, exec_lo
	v_cmpx_ne_u32_e32 0, v8
	s_cbranch_execz .LBB6_15255
; %bb.15250:                            ;   in Loop: Header=BB6_15150 Depth=3
	v_bfe_u32 v19, v8, 23, 8
	v_and_b32_e32 v20, 0x7fffff, v8
	v_sub_nc_u32_e32 v22, 0x70, v19
	v_cmp_gt_u32_e32 vcc_lo, 0x71, v19
	v_or_b32_e32 v23, 0x800000, v20
	v_cndmask_b32_e32 v22, 0, v22, vcc_lo
	v_cmp_eq_u32_e32 vcc_lo, 0, v19
	v_add_nc_u32_e32 v19, 0xffffff91, v19
	v_cndmask_b32_e64 v22, v22, 0x6f, vcc_lo
	v_cndmask_b32_e32 v20, v23, v20, vcc_lo
	v_cndmask_b32_e64 v19, v19, 0xffffff92, vcc_lo
	v_lshl_add_u32 v23, 0x200000, v22, -1
	v_lshrrev_b32_e32 v24, v22, v20
	v_lshlrev_b32_e64 v27, v22, 0x100000
	v_add_nc_u32_e32 v22, v22, v19
	v_and_b32_e32 v20, v23, v20
	v_bfe_u32 v25, v24, 21, 1
	v_cmp_eq_u32_e64 s17, v20, v27
	v_add_nc_u32_e32 v23, -1, v25
	v_cndmask_b32_e64 v20, 0, v23, s17
	v_lshrrev_b32_e32 v23, 23, v24
	s_mov_b32 s17, exec_lo
	v_add_nc_u32_e32 v20, v20, v24
	v_xor_b32_e32 v23, 1, v23
	v_and_b32_e32 v19, 0x1fffff, v20
	v_add_nc_u32_e32 v20, v19, v24
                                        ; implicit-def: $vgpr19
	v_cmpx_ne_u32_e64 v22, v23
	s_xor_b32 s17, exec_lo, s17
; %bb.15251:                            ;   in Loop: Header=BB6_15150 Depth=3
	v_cmp_lt_u32_e32 vcc_lo, 0xffffff, v20
	v_sub_nc_u32_e32 v19, v22, v23
	v_cndmask_b32_e64 v22, 0, 1, vcc_lo
	v_add_co_ci_u32_e64 v19, null, 0, v19, vcc_lo
	v_lshrrev_b32_e32 v20, v22, v20
; %bb.15252:                            ;   in Loop: Header=BB6_15150 Depth=3
	s_andn2_saveexec_b32 s17, s17
; %bb.15253:                            ;   in Loop: Header=BB6_15150 Depth=3
	v_bfe_u32 v19, v20, 23, 1
; %bb.15254:                            ;   in Loop: Header=BB6_15150 Depth=3
	s_or_b32 exec_lo, exec_lo, s17
	v_lshrrev_b32_e32 v20, 21, v20
	v_min_i32_e32 v22, 31, v19
	v_cmp_gt_i32_e32 vcc_lo, 32, v19
	v_and_b32_sdwa v8, v8, v117 dst_sel:DWORD dst_unused:UNUSED_PAD src0_sel:BYTE_3 src1_sel:DWORD
	v_lshlrev_b32_e32 v22, 2, v22
	v_cndmask_b32_e32 v20, 3, v20, vcc_lo
	v_and_b32_e32 v22, 0xfc, v22
	v_and_b32_e32 v23, 3, v20
	v_or_b32_e32 v19, v19, v20
	v_or3_b32 v8, v22, v8, v23
	v_cmp_ne_u32_e32 vcc_lo, 0, v19
	v_cndmask_b32_e32 v28, 0, v8, vcc_lo
.LBB6_15255:                            ;   in Loop: Header=BB6_15150 Depth=3
	s_or_b32 exec_lo, exec_lo, s75
.LBB6_15256:                            ;   in Loop: Header=BB6_15150 Depth=3
	s_or_b32 exec_lo, exec_lo, s74
	v_cmp_gt_i16_sdwa s74, v9, v116 src0_sel:BYTE_3 src1_sel:DWORD
	s_mov_b32 s17, 0
	s_and_saveexec_b32 s75, s74
	s_xor_b32 s74, exec_lo, s75
	s_cbranch_execz .LBB6_15714
; %bb.15257:                            ;   in Loop: Header=BB6_15150 Depth=3
	v_cmp_eq_u16_sdwa s76, v9, v117 src0_sel:BYTE_3 src1_sel:DWORD
	s_mov_b32 s17, -1
	s_and_saveexec_b32 s75, s76
; %bb.15258:                            ;   in Loop: Header=BB6_15150 Depth=3
	s_xor_b32 s17, exec_lo, -1
; %bb.15259:                            ;   in Loop: Header=BB6_15150 Depth=3
	s_or_b32 exec_lo, exec_lo, s75
	s_and_b32 s17, s17, exec_lo
	s_or_saveexec_b32 s74, s74
	v_mov_b32_e32 v8, 0x7f800001
	s_xor_b32 exec_lo, exec_lo, s74
	s_cbranch_execnz .LBB6_15715
.LBB6_15260:                            ;   in Loop: Header=BB6_15150 Depth=3
	s_or_b32 exec_lo, exec_lo, s74
	s_and_saveexec_b32 s74, s17
	s_cbranch_execz .LBB6_15262
.LBB6_15261:                            ;   in Loop: Header=BB6_15150 Depth=3
	v_bfe_u32 v8, v9, 24, 2
	v_bfe_u32 v22, v9, 26, 5
	v_ffbh_u32_e32 v19, v8
	v_cmp_eq_u32_e32 vcc_lo, 0, v22
	v_min_u32_e32 v19, 32, v19
	v_subrev_nc_u32_e32 v20, 29, v19
	v_sub_nc_u32_e32 v19, 30, v19
	v_lshlrev_b32_sdwa v20, v20, v9 dst_sel:DWORD dst_unused:UNUSED_PAD src0_sel:DWORD src1_sel:BYTE_3
	v_cndmask_b32_e32 v19, v22, v19, vcc_lo
	v_and_b32_e32 v9, 0x80000000, v9
	v_and_b32_e32 v20, 3, v20
	v_lshl_add_u32 v19, v19, 23, 0x37800000
	v_cndmask_b32_e32 v8, v8, v20, vcc_lo
	v_lshlrev_b32_e32 v8, 21, v8
	v_or3_b32 v8, v9, v19, v8
.LBB6_15262:                            ;   in Loop: Header=BB6_15150 Depth=3
	s_or_b32 exec_lo, exec_lo, s74
	v_mul_f32_e32 v8, s73, v8
	v_mov_b32_e32 v31, 0x8000
	s_mov_b32 s74, exec_lo
	v_and_b32_e32 v9, 0x7f800000, v8
	v_cmpx_ne_u32_e32 0x7f800000, v9
	s_cbranch_execz .LBB6_15270
; %bb.15263:                            ;   in Loop: Header=BB6_15150 Depth=3
	v_mov_b32_e32 v31, 0
	s_mov_b32 s75, exec_lo
	v_cmpx_ne_u32_e32 0, v8
	s_cbranch_execz .LBB6_15269
; %bb.15264:                            ;   in Loop: Header=BB6_15150 Depth=3
	v_bfe_u32 v9, v8, 23, 8
	v_and_b32_e32 v19, 0x7fffff, v8
	v_sub_nc_u32_e32 v20, 0x70, v9
	v_cmp_gt_u32_e32 vcc_lo, 0x71, v9
	v_or_b32_e32 v22, 0x800000, v19
	v_cndmask_b32_e32 v20, 0, v20, vcc_lo
	v_cmp_eq_u32_e32 vcc_lo, 0, v9
	v_add_nc_u32_e32 v9, 0xffffff91, v9
	v_cndmask_b32_e64 v20, v20, 0x6f, vcc_lo
	v_cndmask_b32_e32 v19, v22, v19, vcc_lo
	v_cndmask_b32_e64 v9, v9, 0xffffff92, vcc_lo
	v_lshl_add_u32 v22, 0x200000, v20, -1
	v_lshrrev_b32_e32 v23, v20, v19
	v_lshlrev_b32_e64 v25, v20, 0x100000
	v_add_nc_u32_e32 v20, v20, v9
	v_and_b32_e32 v19, v22, v19
	v_bfe_u32 v24, v23, 21, 1
	v_cmp_eq_u32_e64 s17, v19, v25
	v_add_nc_u32_e32 v22, -1, v24
	v_cndmask_b32_e64 v19, 0, v22, s17
	v_lshrrev_b32_e32 v22, 23, v23
	s_mov_b32 s17, exec_lo
	v_add_nc_u32_e32 v19, v19, v23
	v_xor_b32_e32 v22, 1, v22
	v_and_b32_e32 v9, 0x1fffff, v19
	v_add_nc_u32_e32 v19, v9, v23
                                        ; implicit-def: $vgpr9
	v_cmpx_ne_u32_e64 v20, v22
	s_xor_b32 s17, exec_lo, s17
; %bb.15265:                            ;   in Loop: Header=BB6_15150 Depth=3
	v_cmp_lt_u32_e32 vcc_lo, 0xffffff, v19
	v_sub_nc_u32_e32 v9, v20, v22
	v_cndmask_b32_e64 v20, 0, 1, vcc_lo
	v_add_co_ci_u32_e64 v9, null, 0, v9, vcc_lo
	v_lshrrev_b32_e32 v19, v20, v19
; %bb.15266:                            ;   in Loop: Header=BB6_15150 Depth=3
	s_andn2_saveexec_b32 s17, s17
; %bb.15267:                            ;   in Loop: Header=BB6_15150 Depth=3
	v_bfe_u32 v9, v19, 23, 1
; %bb.15268:                            ;   in Loop: Header=BB6_15150 Depth=3
	s_or_b32 exec_lo, exec_lo, s17
	v_lshrrev_b32_e32 v19, 21, v19
	v_min_i32_e32 v20, 31, v9
	v_cmp_gt_i32_e32 vcc_lo, 32, v9
	v_and_b32_sdwa v8, v8, v117 dst_sel:DWORD dst_unused:UNUSED_PAD src0_sel:BYTE_3 src1_sel:DWORD
	v_lshlrev_b32_e32 v20, 2, v20
	v_cndmask_b32_e32 v19, 3, v19, vcc_lo
	v_and_b32_e32 v20, 0xfc, v20
	v_and_b32_e32 v22, 3, v19
	v_or_b32_e32 v9, v9, v19
	v_or3_b32 v8, v8, v20, v22
	v_cmp_ne_u32_e32 vcc_lo, 0, v9
	v_lshlrev_b32_e32 v8, 8, v8
	v_cndmask_b32_e32 v31, 0, v8, vcc_lo
.LBB6_15269:                            ;   in Loop: Header=BB6_15150 Depth=3
	s_or_b32 exec_lo, exec_lo, s75
.LBB6_15270:                            ;   in Loop: Header=BB6_15150 Depth=3
	s_or_b32 exec_lo, exec_lo, s74
	v_cmp_gt_i16_sdwa s74, v10, v116 src0_sel:BYTE_0 src1_sel:DWORD
	s_mov_b32 s17, 0
	s_and_saveexec_b32 s75, s74
	s_xor_b32 s74, exec_lo, s75
	s_cbranch_execz .LBB6_15716
; %bb.15271:                            ;   in Loop: Header=BB6_15150 Depth=3
	v_cmp_eq_u16_sdwa s76, v10, v117 src0_sel:BYTE_0 src1_sel:DWORD
	s_mov_b32 s17, -1
	s_and_saveexec_b32 s75, s76
; %bb.15272:                            ;   in Loop: Header=BB6_15150 Depth=3
	s_xor_b32 s17, exec_lo, -1
; %bb.15273:                            ;   in Loop: Header=BB6_15150 Depth=3
	s_or_b32 exec_lo, exec_lo, s75
	s_and_b32 s17, s17, exec_lo
	s_or_saveexec_b32 s74, s74
	v_mov_b32_e32 v8, 0x7f800001
	s_xor_b32 exec_lo, exec_lo, s74
	s_cbranch_execnz .LBB6_15717
.LBB6_15274:                            ;   in Loop: Header=BB6_15150 Depth=3
	s_or_b32 exec_lo, exec_lo, s74
	s_and_saveexec_b32 s74, s17
	s_cbranch_execz .LBB6_15276
.LBB6_15275:                            ;   in Loop: Header=BB6_15150 Depth=3
	v_and_b32_e32 v8, 3, v10
	v_bfe_u32 v20, v10, 2, 5
	v_lshlrev_b32_e32 v22, 24, v10
	v_ffbh_u32_e32 v9, v8
	v_cmp_eq_u32_e32 vcc_lo, 0, v20
	v_min_u32_e32 v9, 32, v9
	v_subrev_nc_u32_e32 v19, 29, v9
	v_sub_nc_u32_e32 v9, 30, v9
	v_lshlrev_b32_e32 v19, v19, v10
	v_cndmask_b32_e32 v9, v20, v9, vcc_lo
	v_and_b32_e32 v19, 3, v19
	v_lshl_add_u32 v9, v9, 23, 0x37800000
	v_cndmask_b32_e32 v8, v8, v19, vcc_lo
	v_and_b32_e32 v19, 0x80000000, v22
	v_lshlrev_b32_e32 v8, 21, v8
	v_or3_b32 v8, v19, v9, v8
.LBB6_15276:                            ;   in Loop: Header=BB6_15150 Depth=3
	s_or_b32 exec_lo, exec_lo, s74
	v_mul_f32_e32 v8, s73, v8
	v_mov_b32_e32 v25, 0x80
	s_mov_b32 s74, exec_lo
	v_and_b32_e32 v9, 0x7f800000, v8
	v_cmpx_ne_u32_e32 0x7f800000, v9
	s_cbranch_execz .LBB6_15284
; %bb.15277:                            ;   in Loop: Header=BB6_15150 Depth=3
	v_mov_b32_e32 v25, 0
	s_mov_b32 s75, exec_lo
	v_cmpx_ne_u32_e32 0, v8
	s_cbranch_execz .LBB6_15283
; %bb.15278:                            ;   in Loop: Header=BB6_15150 Depth=3
	v_bfe_u32 v9, v8, 23, 8
	v_and_b32_e32 v19, 0x7fffff, v8
	v_sub_nc_u32_e32 v20, 0x70, v9
	v_cmp_gt_u32_e32 vcc_lo, 0x71, v9
	v_or_b32_e32 v22, 0x800000, v19
	v_cndmask_b32_e32 v20, 0, v20, vcc_lo
	v_cmp_eq_u32_e32 vcc_lo, 0, v9
	v_add_nc_u32_e32 v9, 0xffffff91, v9
	v_cndmask_b32_e64 v20, v20, 0x6f, vcc_lo
	v_cndmask_b32_e32 v19, v22, v19, vcc_lo
	v_cndmask_b32_e64 v9, v9, 0xffffff92, vcc_lo
	v_lshl_add_u32 v22, 0x200000, v20, -1
	v_lshrrev_b32_e32 v23, v20, v19
	v_lshlrev_b32_e64 v25, v20, 0x100000
	v_add_nc_u32_e32 v20, v20, v9
	v_and_b32_e32 v19, v22, v19
	v_bfe_u32 v24, v23, 21, 1
	v_cmp_eq_u32_e64 s17, v19, v25
	v_add_nc_u32_e32 v22, -1, v24
	v_cndmask_b32_e64 v19, 0, v22, s17
	v_lshrrev_b32_e32 v22, 23, v23
	s_mov_b32 s17, exec_lo
	v_add_nc_u32_e32 v19, v19, v23
	v_xor_b32_e32 v22, 1, v22
	v_and_b32_e32 v9, 0x1fffff, v19
	v_add_nc_u32_e32 v19, v9, v23
                                        ; implicit-def: $vgpr9
	v_cmpx_ne_u32_e64 v20, v22
	s_xor_b32 s17, exec_lo, s17
; %bb.15279:                            ;   in Loop: Header=BB6_15150 Depth=3
	v_cmp_lt_u32_e32 vcc_lo, 0xffffff, v19
	v_sub_nc_u32_e32 v9, v20, v22
	v_cndmask_b32_e64 v20, 0, 1, vcc_lo
	v_add_co_ci_u32_e64 v9, null, 0, v9, vcc_lo
	v_lshrrev_b32_e32 v19, v20, v19
; %bb.15280:                            ;   in Loop: Header=BB6_15150 Depth=3
	s_andn2_saveexec_b32 s17, s17
; %bb.15281:                            ;   in Loop: Header=BB6_15150 Depth=3
	v_bfe_u32 v9, v19, 23, 1
; %bb.15282:                            ;   in Loop: Header=BB6_15150 Depth=3
	s_or_b32 exec_lo, exec_lo, s17
	v_lshrrev_b32_e32 v19, 21, v19
	v_min_i32_e32 v20, 31, v9
	v_cmp_gt_i32_e32 vcc_lo, 32, v9
	v_and_b32_sdwa v8, v8, v117 dst_sel:DWORD dst_unused:UNUSED_PAD src0_sel:BYTE_3 src1_sel:DWORD
	v_lshlrev_b32_e32 v20, 2, v20
	v_cndmask_b32_e32 v19, 3, v19, vcc_lo
	v_and_b32_e32 v20, 0xfc, v20
	v_and_b32_e32 v22, 3, v19
	v_or_b32_e32 v9, v9, v19
	v_or3_b32 v8, v20, v8, v22
	v_cmp_ne_u32_e32 vcc_lo, 0, v9
	v_cndmask_b32_e32 v25, 0, v8, vcc_lo
.LBB6_15283:                            ;   in Loop: Header=BB6_15150 Depth=3
	s_or_b32 exec_lo, exec_lo, s75
.LBB6_15284:                            ;   in Loop: Header=BB6_15150 Depth=3
	s_or_b32 exec_lo, exec_lo, s74
	v_cmp_gt_i16_sdwa s74, v10, v116 src0_sel:BYTE_1 src1_sel:DWORD
	s_mov_b32 s17, 0
	s_and_saveexec_b32 s75, s74
	s_xor_b32 s74, exec_lo, s75
	s_cbranch_execz .LBB6_15718
; %bb.15285:                            ;   in Loop: Header=BB6_15150 Depth=3
	v_cmp_eq_u16_sdwa s76, v10, v117 src0_sel:BYTE_1 src1_sel:DWORD
	s_mov_b32 s17, -1
	s_and_saveexec_b32 s75, s76
; %bb.15286:                            ;   in Loop: Header=BB6_15150 Depth=3
	s_xor_b32 s17, exec_lo, -1
; %bb.15287:                            ;   in Loop: Header=BB6_15150 Depth=3
	s_or_b32 exec_lo, exec_lo, s75
	s_and_b32 s17, s17, exec_lo
	s_or_saveexec_b32 s74, s74
	v_mov_b32_e32 v8, 0x7f800001
	s_xor_b32 exec_lo, exec_lo, s74
	s_cbranch_execnz .LBB6_15719
.LBB6_15288:                            ;   in Loop: Header=BB6_15150 Depth=3
	s_or_b32 exec_lo, exec_lo, s74
	s_and_saveexec_b32 s74, s17
	s_cbranch_execz .LBB6_15290
.LBB6_15289:                            ;   in Loop: Header=BB6_15150 Depth=3
	v_and_b32_sdwa v8, v118, v10 dst_sel:DWORD dst_unused:UNUSED_PAD src0_sel:DWORD src1_sel:BYTE_1
	v_and_b32_e32 v9, 3, v8
	v_bfe_u32 v22, v8, 2, 5
	v_ffbh_u32_e32 v19, v9
	v_cmp_eq_u32_e32 vcc_lo, 0, v22
	v_min_u32_e32 v19, 32, v19
	v_subrev_nc_u32_e32 v20, 29, v19
	v_sub_nc_u32_e32 v19, 30, v19
	v_lshlrev_b32_e32 v8, v20, v8
	v_lshlrev_b32_sdwa v20, v119, v10 dst_sel:DWORD dst_unused:UNUSED_PAD src0_sel:DWORD src1_sel:BYTE_1
	v_cndmask_b32_e32 v19, v22, v19, vcc_lo
	v_and_b32_e32 v8, 3, v8
	v_lshl_add_u32 v19, v19, 23, 0x37800000
	v_cndmask_b32_e32 v8, v9, v8, vcc_lo
	v_and_b32_e32 v9, 0x80000000, v20
	v_lshlrev_b32_e32 v8, 21, v8
	v_or3_b32 v8, v9, v19, v8
.LBB6_15290:                            ;   in Loop: Header=BB6_15150 Depth=3
	s_or_b32 exec_lo, exec_lo, s74
	v_mul_f32_e32 v8, s73, v8
	v_mov_b32_e32 v29, 0x8000
	s_mov_b32 s74, exec_lo
	v_and_b32_e32 v9, 0x7f800000, v8
	v_cmpx_ne_u32_e32 0x7f800000, v9
	s_cbranch_execz .LBB6_15298
; %bb.15291:                            ;   in Loop: Header=BB6_15150 Depth=3
	v_mov_b32_e32 v29, 0
	s_mov_b32 s75, exec_lo
	v_cmpx_ne_u32_e32 0, v8
	s_cbranch_execz .LBB6_15297
; %bb.15292:                            ;   in Loop: Header=BB6_15150 Depth=3
	v_bfe_u32 v9, v8, 23, 8
	v_and_b32_e32 v19, 0x7fffff, v8
	v_sub_nc_u32_e32 v20, 0x70, v9
	v_cmp_gt_u32_e32 vcc_lo, 0x71, v9
	v_or_b32_e32 v22, 0x800000, v19
	v_cndmask_b32_e32 v20, 0, v20, vcc_lo
	v_cmp_eq_u32_e32 vcc_lo, 0, v9
	v_add_nc_u32_e32 v9, 0xffffff91, v9
	v_cndmask_b32_e64 v20, v20, 0x6f, vcc_lo
	v_cndmask_b32_e32 v19, v22, v19, vcc_lo
	v_cndmask_b32_e64 v9, v9, 0xffffff92, vcc_lo
	v_lshl_add_u32 v22, 0x200000, v20, -1
	v_lshrrev_b32_e32 v23, v20, v19
	v_lshlrev_b32_e64 v27, v20, 0x100000
	v_add_nc_u32_e32 v20, v20, v9
	v_and_b32_e32 v19, v22, v19
	v_bfe_u32 v24, v23, 21, 1
	v_cmp_eq_u32_e64 s17, v19, v27
	v_add_nc_u32_e32 v22, -1, v24
	v_cndmask_b32_e64 v19, 0, v22, s17
	v_lshrrev_b32_e32 v22, 23, v23
	s_mov_b32 s17, exec_lo
	v_add_nc_u32_e32 v19, v19, v23
	v_xor_b32_e32 v22, 1, v22
	v_and_b32_e32 v9, 0x1fffff, v19
	v_add_nc_u32_e32 v19, v9, v23
                                        ; implicit-def: $vgpr9
	v_cmpx_ne_u32_e64 v20, v22
	s_xor_b32 s17, exec_lo, s17
; %bb.15293:                            ;   in Loop: Header=BB6_15150 Depth=3
	v_cmp_lt_u32_e32 vcc_lo, 0xffffff, v19
	v_sub_nc_u32_e32 v9, v20, v22
	v_cndmask_b32_e64 v20, 0, 1, vcc_lo
	v_add_co_ci_u32_e64 v9, null, 0, v9, vcc_lo
	v_lshrrev_b32_e32 v19, v20, v19
; %bb.15294:                            ;   in Loop: Header=BB6_15150 Depth=3
	s_andn2_saveexec_b32 s17, s17
; %bb.15295:                            ;   in Loop: Header=BB6_15150 Depth=3
	v_bfe_u32 v9, v19, 23, 1
; %bb.15296:                            ;   in Loop: Header=BB6_15150 Depth=3
	s_or_b32 exec_lo, exec_lo, s17
	v_lshrrev_b32_e32 v19, 21, v19
	v_min_i32_e32 v20, 31, v9
	v_cmp_gt_i32_e32 vcc_lo, 32, v9
	v_and_b32_sdwa v8, v8, v117 dst_sel:DWORD dst_unused:UNUSED_PAD src0_sel:BYTE_3 src1_sel:DWORD
	v_lshlrev_b32_e32 v20, 2, v20
	v_cndmask_b32_e32 v19, 3, v19, vcc_lo
	v_and_b32_e32 v20, 0xfc, v20
	v_and_b32_e32 v22, 3, v19
	v_or_b32_e32 v9, v9, v19
	v_or3_b32 v8, v8, v20, v22
	v_cmp_ne_u32_e32 vcc_lo, 0, v9
	v_lshlrev_b32_e32 v8, 8, v8
	v_cndmask_b32_e32 v29, 0, v8, vcc_lo
.LBB6_15297:                            ;   in Loop: Header=BB6_15150 Depth=3
	s_or_b32 exec_lo, exec_lo, s75
.LBB6_15298:                            ;   in Loop: Header=BB6_15150 Depth=3
	s_or_b32 exec_lo, exec_lo, s74
	v_and_b32_sdwa v9, v10, v40 dst_sel:DWORD dst_unused:UNUSED_PAD src0_sel:WORD_1 src1_sel:DWORD
	s_mov_b32 s17, 0
	s_mov_b32 s74, exec_lo
	v_cmpx_lt_i16_e32 0x7f, v9
	s_xor_b32 s74, exec_lo, s74
	s_cbranch_execz .LBB6_15720
; %bb.15299:                            ;   in Loop: Header=BB6_15150 Depth=3
	s_mov_b32 s17, -1
	s_mov_b32 s75, exec_lo
	v_cmpx_eq_u16_e32 0x80, v9
; %bb.15300:                            ;   in Loop: Header=BB6_15150 Depth=3
	s_xor_b32 s17, exec_lo, -1
; %bb.15301:                            ;   in Loop: Header=BB6_15150 Depth=3
	s_or_b32 exec_lo, exec_lo, s75
	s_and_b32 s17, s17, exec_lo
                                        ; implicit-def: $vgpr9
	s_or_saveexec_b32 s74, s74
	v_mov_b32_e32 v8, 0x7f800001
	s_xor_b32 exec_lo, exec_lo, s74
	s_cbranch_execnz .LBB6_15721
.LBB6_15302:                            ;   in Loop: Header=BB6_15150 Depth=3
	s_or_b32 exec_lo, exec_lo, s74
	s_and_saveexec_b32 s74, s17
	s_cbranch_execz .LBB6_15304
.LBB6_15303:                            ;   in Loop: Header=BB6_15150 Depth=3
	v_bfe_u32 v8, v10, 16, 2
	v_bfe_u32 v20, v10, 18, 5
	v_lshlrev_b32_e32 v22, 8, v10
	v_ffbh_u32_e32 v9, v8
	v_cmp_eq_u32_e32 vcc_lo, 0, v20
	v_min_u32_e32 v9, 32, v9
	v_subrev_nc_u32_e32 v19, 29, v9
	v_sub_nc_u32_e32 v9, 30, v9
	v_lshlrev_b32_sdwa v19, v19, v10 dst_sel:DWORD dst_unused:UNUSED_PAD src0_sel:DWORD src1_sel:WORD_1
	v_cndmask_b32_e32 v9, v20, v9, vcc_lo
	v_and_b32_e32 v19, 3, v19
	v_lshl_add_u32 v9, v9, 23, 0x37800000
	v_cndmask_b32_e32 v8, v8, v19, vcc_lo
	v_and_b32_e32 v19, 0x80000000, v22
	v_lshlrev_b32_e32 v8, 21, v8
	v_or3_b32 v8, v19, v9, v8
.LBB6_15304:                            ;   in Loop: Header=BB6_15150 Depth=3
	s_or_b32 exec_lo, exec_lo, s74
	v_mul_f32_e32 v8, s73, v8
	v_mov_b32_e32 v23, 0x80
	s_mov_b32 s74, exec_lo
	v_and_b32_e32 v9, 0x7f800000, v8
	v_cmpx_ne_u32_e32 0x7f800000, v9
	s_cbranch_execz .LBB6_15312
; %bb.15305:                            ;   in Loop: Header=BB6_15150 Depth=3
	v_mov_b32_e32 v23, 0
	s_mov_b32 s75, exec_lo
	v_cmpx_ne_u32_e32 0, v8
	s_cbranch_execz .LBB6_15311
; %bb.15306:                            ;   in Loop: Header=BB6_15150 Depth=3
	v_bfe_u32 v9, v8, 23, 8
	v_and_b32_e32 v19, 0x7fffff, v8
	v_sub_nc_u32_e32 v20, 0x70, v9
	v_cmp_gt_u32_e32 vcc_lo, 0x71, v9
	v_or_b32_e32 v22, 0x800000, v19
	v_cndmask_b32_e32 v20, 0, v20, vcc_lo
	v_cmp_eq_u32_e32 vcc_lo, 0, v9
	v_add_nc_u32_e32 v9, 0xffffff91, v9
	v_cndmask_b32_e64 v20, v20, 0x6f, vcc_lo
	v_cndmask_b32_e32 v19, v22, v19, vcc_lo
	v_cndmask_b32_e64 v9, v9, 0xffffff92, vcc_lo
	v_lshl_add_u32 v22, 0x200000, v20, -1
	v_lshrrev_b32_e32 v23, v20, v19
	v_lshlrev_b32_e64 v27, v20, 0x100000
	v_add_nc_u32_e32 v20, v20, v9
	v_and_b32_e32 v19, v22, v19
	v_bfe_u32 v24, v23, 21, 1
	v_cmp_eq_u32_e64 s17, v19, v27
	v_add_nc_u32_e32 v22, -1, v24
	v_cndmask_b32_e64 v19, 0, v22, s17
	v_lshrrev_b32_e32 v22, 23, v23
	s_mov_b32 s17, exec_lo
	v_add_nc_u32_e32 v19, v19, v23
	v_xor_b32_e32 v22, 1, v22
	v_and_b32_e32 v9, 0x1fffff, v19
	v_add_nc_u32_e32 v19, v9, v23
                                        ; implicit-def: $vgpr9
	v_cmpx_ne_u32_e64 v20, v22
	s_xor_b32 s17, exec_lo, s17
; %bb.15307:                            ;   in Loop: Header=BB6_15150 Depth=3
	v_cmp_lt_u32_e32 vcc_lo, 0xffffff, v19
	v_sub_nc_u32_e32 v9, v20, v22
	v_cndmask_b32_e64 v20, 0, 1, vcc_lo
	v_add_co_ci_u32_e64 v9, null, 0, v9, vcc_lo
	v_lshrrev_b32_e32 v19, v20, v19
; %bb.15308:                            ;   in Loop: Header=BB6_15150 Depth=3
	s_andn2_saveexec_b32 s17, s17
; %bb.15309:                            ;   in Loop: Header=BB6_15150 Depth=3
	v_bfe_u32 v9, v19, 23, 1
; %bb.15310:                            ;   in Loop: Header=BB6_15150 Depth=3
	s_or_b32 exec_lo, exec_lo, s17
	v_lshrrev_b32_e32 v19, 21, v19
	v_min_i32_e32 v20, 31, v9
	v_cmp_gt_i32_e32 vcc_lo, 32, v9
	v_and_b32_sdwa v8, v8, v117 dst_sel:DWORD dst_unused:UNUSED_PAD src0_sel:BYTE_3 src1_sel:DWORD
	v_lshlrev_b32_e32 v20, 2, v20
	v_cndmask_b32_e32 v19, 3, v19, vcc_lo
	v_and_b32_e32 v20, 0xfc, v20
	v_and_b32_e32 v22, 3, v19
	v_or_b32_e32 v9, v9, v19
	v_or3_b32 v8, v20, v8, v22
	v_cmp_ne_u32_e32 vcc_lo, 0, v9
	v_cndmask_b32_e32 v23, 0, v8, vcc_lo
.LBB6_15311:                            ;   in Loop: Header=BB6_15150 Depth=3
	s_or_b32 exec_lo, exec_lo, s75
.LBB6_15312:                            ;   in Loop: Header=BB6_15150 Depth=3
	s_or_b32 exec_lo, exec_lo, s74
	v_cmp_gt_i16_sdwa s74, v10, v116 src0_sel:BYTE_3 src1_sel:DWORD
	s_mov_b32 s17, 0
	s_and_saveexec_b32 s75, s74
	s_xor_b32 s74, exec_lo, s75
	s_cbranch_execz .LBB6_15722
; %bb.15313:                            ;   in Loop: Header=BB6_15150 Depth=3
	v_cmp_eq_u16_sdwa s76, v10, v117 src0_sel:BYTE_3 src1_sel:DWORD
	s_mov_b32 s17, -1
	s_and_saveexec_b32 s75, s76
; %bb.15314:                            ;   in Loop: Header=BB6_15150 Depth=3
	s_xor_b32 s17, exec_lo, -1
; %bb.15315:                            ;   in Loop: Header=BB6_15150 Depth=3
	s_or_b32 exec_lo, exec_lo, s75
	s_and_b32 s17, s17, exec_lo
	s_or_saveexec_b32 s74, s74
	v_mov_b32_e32 v8, 0x7f800001
	s_xor_b32 exec_lo, exec_lo, s74
	s_cbranch_execnz .LBB6_15723
.LBB6_15316:                            ;   in Loop: Header=BB6_15150 Depth=3
	s_or_b32 exec_lo, exec_lo, s74
	s_and_saveexec_b32 s74, s17
	s_cbranch_execz .LBB6_15318
.LBB6_15317:                            ;   in Loop: Header=BB6_15150 Depth=3
	v_bfe_u32 v8, v10, 24, 2
	v_bfe_u32 v20, v10, 26, 5
	v_ffbh_u32_e32 v9, v8
	v_cmp_eq_u32_e32 vcc_lo, 0, v20
	v_min_u32_e32 v9, 32, v9
	v_subrev_nc_u32_e32 v19, 29, v9
	v_sub_nc_u32_e32 v9, 30, v9
	v_lshlrev_b32_sdwa v19, v19, v10 dst_sel:DWORD dst_unused:UNUSED_PAD src0_sel:DWORD src1_sel:BYTE_3
	v_cndmask_b32_e32 v9, v20, v9, vcc_lo
	v_and_b32_e32 v10, 0x80000000, v10
	v_and_b32_e32 v19, 3, v19
	v_lshl_add_u32 v9, v9, 23, 0x37800000
	v_cndmask_b32_e32 v8, v8, v19, vcc_lo
	v_lshlrev_b32_e32 v8, 21, v8
	v_or3_b32 v8, v10, v9, v8
.LBB6_15318:                            ;   in Loop: Header=BB6_15150 Depth=3
	s_or_b32 exec_lo, exec_lo, s74
	v_mul_f32_e32 v8, s73, v8
	v_mov_b32_e32 v27, 0x8000
	s_mov_b32 s74, exec_lo
	v_and_b32_e32 v9, 0x7f800000, v8
	v_cmpx_ne_u32_e32 0x7f800000, v9
	s_cbranch_execz .LBB6_15326
; %bb.15319:                            ;   in Loop: Header=BB6_15150 Depth=3
	v_mov_b32_e32 v27, 0
	s_mov_b32 s75, exec_lo
	v_cmpx_ne_u32_e32 0, v8
	s_cbranch_execz .LBB6_15325
; %bb.15320:                            ;   in Loop: Header=BB6_15150 Depth=3
	v_bfe_u32 v9, v8, 23, 8
	v_and_b32_e32 v10, 0x7fffff, v8
	v_sub_nc_u32_e32 v19, 0x70, v9
	v_cmp_gt_u32_e32 vcc_lo, 0x71, v9
	v_or_b32_e32 v20, 0x800000, v10
	v_cndmask_b32_e32 v19, 0, v19, vcc_lo
	v_cmp_eq_u32_e32 vcc_lo, 0, v9
	v_add_nc_u32_e32 v9, 0xffffff91, v9
	v_cndmask_b32_e64 v19, v19, 0x6f, vcc_lo
	v_cndmask_b32_e32 v10, v20, v10, vcc_lo
	v_cndmask_b32_e64 v9, v9, 0xffffff92, vcc_lo
	v_lshl_add_u32 v20, 0x200000, v19, -1
	v_lshrrev_b32_e32 v22, v19, v10
	v_lshlrev_b32_e64 v27, v19, 0x100000
	v_add_nc_u32_e32 v19, v19, v9
	v_and_b32_e32 v10, v20, v10
	v_bfe_u32 v24, v22, 21, 1
	v_cmp_eq_u32_e64 s17, v10, v27
	v_add_nc_u32_e32 v20, -1, v24
	v_cndmask_b32_e64 v10, 0, v20, s17
	v_lshrrev_b32_e32 v20, 23, v22
	s_mov_b32 s17, exec_lo
	v_add_nc_u32_e32 v10, v10, v22
	v_xor_b32_e32 v20, 1, v20
	v_and_b32_e32 v9, 0x1fffff, v10
	v_add_nc_u32_e32 v10, v9, v22
                                        ; implicit-def: $vgpr9
	v_cmpx_ne_u32_e64 v19, v20
	s_xor_b32 s17, exec_lo, s17
; %bb.15321:                            ;   in Loop: Header=BB6_15150 Depth=3
	v_cmp_lt_u32_e32 vcc_lo, 0xffffff, v10
	v_sub_nc_u32_e32 v9, v19, v20
	v_cndmask_b32_e64 v19, 0, 1, vcc_lo
	v_add_co_ci_u32_e64 v9, null, 0, v9, vcc_lo
	v_lshrrev_b32_e32 v10, v19, v10
; %bb.15322:                            ;   in Loop: Header=BB6_15150 Depth=3
	s_andn2_saveexec_b32 s17, s17
; %bb.15323:                            ;   in Loop: Header=BB6_15150 Depth=3
	v_bfe_u32 v9, v10, 23, 1
; %bb.15324:                            ;   in Loop: Header=BB6_15150 Depth=3
	s_or_b32 exec_lo, exec_lo, s17
	v_lshrrev_b32_e32 v10, 21, v10
	v_min_i32_e32 v19, 31, v9
	v_cmp_gt_i32_e32 vcc_lo, 32, v9
	v_and_b32_sdwa v8, v8, v117 dst_sel:DWORD dst_unused:UNUSED_PAD src0_sel:BYTE_3 src1_sel:DWORD
	v_lshlrev_b32_e32 v19, 2, v19
	v_cndmask_b32_e32 v10, 3, v10, vcc_lo
	v_and_b32_e32 v19, 0xfc, v19
	v_and_b32_e32 v20, 3, v10
	v_or_b32_e32 v9, v9, v10
	v_or3_b32 v8, v8, v19, v20
	v_cmp_ne_u32_e32 vcc_lo, 0, v9
	v_lshlrev_b32_e32 v8, 8, v8
	v_cndmask_b32_e32 v27, 0, v8, vcc_lo
.LBB6_15325:                            ;   in Loop: Header=BB6_15150 Depth=3
	s_or_b32 exec_lo, exec_lo, s75
.LBB6_15326:                            ;   in Loop: Header=BB6_15150 Depth=3
	s_or_b32 exec_lo, exec_lo, s74
	v_cmp_gt_i16_sdwa s74, v11, v116 src0_sel:BYTE_0 src1_sel:DWORD
	s_mov_b32 s17, 0
	s_and_saveexec_b32 s75, s74
	s_xor_b32 s74, exec_lo, s75
	s_cbranch_execz .LBB6_15724
; %bb.15327:                            ;   in Loop: Header=BB6_15150 Depth=3
	v_cmp_eq_u16_sdwa s76, v11, v117 src0_sel:BYTE_0 src1_sel:DWORD
	s_mov_b32 s17, -1
	s_and_saveexec_b32 s75, s76
; %bb.15328:                            ;   in Loop: Header=BB6_15150 Depth=3
	s_xor_b32 s17, exec_lo, -1
; %bb.15329:                            ;   in Loop: Header=BB6_15150 Depth=3
	s_or_b32 exec_lo, exec_lo, s75
	s_and_b32 s17, s17, exec_lo
	s_or_saveexec_b32 s74, s74
	v_mov_b32_e32 v8, 0x7f800001
	s_xor_b32 exec_lo, exec_lo, s74
	s_cbranch_execnz .LBB6_15725
.LBB6_15330:                            ;   in Loop: Header=BB6_15150 Depth=3
	s_or_b32 exec_lo, exec_lo, s74
	s_and_saveexec_b32 s74, s17
	s_cbranch_execz .LBB6_15332
.LBB6_15331:                            ;   in Loop: Header=BB6_15150 Depth=3
	v_and_b32_e32 v8, 3, v11
	v_bfe_u32 v19, v11, 2, 5
	v_lshlrev_b32_e32 v20, 24, v11
	v_ffbh_u32_e32 v9, v8
	v_cmp_eq_u32_e32 vcc_lo, 0, v19
	v_min_u32_e32 v9, 32, v9
	v_subrev_nc_u32_e32 v10, 29, v9
	v_sub_nc_u32_e32 v9, 30, v9
	v_lshlrev_b32_e32 v10, v10, v11
	v_cndmask_b32_e32 v9, v19, v9, vcc_lo
	v_and_b32_e32 v10, 3, v10
	v_lshl_add_u32 v9, v9, 23, 0x37800000
	v_cndmask_b32_e32 v8, v8, v10, vcc_lo
	v_and_b32_e32 v10, 0x80000000, v20
	v_lshlrev_b32_e32 v8, 21, v8
	v_or3_b32 v8, v10, v9, v8
.LBB6_15332:                            ;   in Loop: Header=BB6_15150 Depth=3
	s_or_b32 exec_lo, exec_lo, s74
	v_mul_f32_e32 v8, s73, v8
	v_mov_b32_e32 v20, 0x80
	s_mov_b32 s74, exec_lo
	v_and_b32_e32 v9, 0x7f800000, v8
	v_cmpx_ne_u32_e32 0x7f800000, v9
	s_cbranch_execz .LBB6_15340
; %bb.15333:                            ;   in Loop: Header=BB6_15150 Depth=3
	v_mov_b32_e32 v20, 0
	s_mov_b32 s75, exec_lo
	v_cmpx_ne_u32_e32 0, v8
	s_cbranch_execz .LBB6_15339
; %bb.15334:                            ;   in Loop: Header=BB6_15150 Depth=3
	v_bfe_u32 v9, v8, 23, 8
	v_and_b32_e32 v10, 0x7fffff, v8
	v_sub_nc_u32_e32 v19, 0x70, v9
	v_cmp_gt_u32_e32 vcc_lo, 0x71, v9
	v_or_b32_e32 v20, 0x800000, v10
	v_cndmask_b32_e32 v19, 0, v19, vcc_lo
	v_cmp_eq_u32_e32 vcc_lo, 0, v9
	v_add_nc_u32_e32 v9, 0xffffff91, v9
	v_cndmask_b32_e64 v19, v19, 0x6f, vcc_lo
	v_cndmask_b32_e32 v10, v20, v10, vcc_lo
	v_cndmask_b32_e64 v9, v9, 0xffffff92, vcc_lo
	v_lshl_add_u32 v20, 0x200000, v19, -1
	v_lshrrev_b32_e32 v22, v19, v10
	v_lshlrev_b32_e64 v50, v19, 0x100000
	v_add_nc_u32_e32 v19, v19, v9
	v_and_b32_e32 v10, v20, v10
	v_bfe_u32 v24, v22, 21, 1
	v_cmp_eq_u32_e64 s17, v10, v50
	v_add_nc_u32_e32 v20, -1, v24
	v_cndmask_b32_e64 v10, 0, v20, s17
	v_lshrrev_b32_e32 v20, 23, v22
	s_mov_b32 s17, exec_lo
	v_add_nc_u32_e32 v10, v10, v22
	v_xor_b32_e32 v20, 1, v20
	v_and_b32_e32 v9, 0x1fffff, v10
	v_add_nc_u32_e32 v10, v9, v22
                                        ; implicit-def: $vgpr9
	v_cmpx_ne_u32_e64 v19, v20
	s_xor_b32 s17, exec_lo, s17
; %bb.15335:                            ;   in Loop: Header=BB6_15150 Depth=3
	v_cmp_lt_u32_e32 vcc_lo, 0xffffff, v10
	v_sub_nc_u32_e32 v9, v19, v20
	v_cndmask_b32_e64 v19, 0, 1, vcc_lo
	v_add_co_ci_u32_e64 v9, null, 0, v9, vcc_lo
	v_lshrrev_b32_e32 v10, v19, v10
; %bb.15336:                            ;   in Loop: Header=BB6_15150 Depth=3
	s_andn2_saveexec_b32 s17, s17
; %bb.15337:                            ;   in Loop: Header=BB6_15150 Depth=3
	v_bfe_u32 v9, v10, 23, 1
; %bb.15338:                            ;   in Loop: Header=BB6_15150 Depth=3
	s_or_b32 exec_lo, exec_lo, s17
	v_lshrrev_b32_e32 v10, 21, v10
	v_min_i32_e32 v19, 31, v9
	v_cmp_gt_i32_e32 vcc_lo, 32, v9
	v_and_b32_sdwa v8, v8, v117 dst_sel:DWORD dst_unused:UNUSED_PAD src0_sel:BYTE_3 src1_sel:DWORD
	v_lshlrev_b32_e32 v19, 2, v19
	v_cndmask_b32_e32 v10, 3, v10, vcc_lo
	v_and_b32_e32 v19, 0xfc, v19
	v_and_b32_e32 v20, 3, v10
	v_or_b32_e32 v9, v9, v10
	v_or3_b32 v8, v19, v8, v20
	v_cmp_ne_u32_e32 vcc_lo, 0, v9
	v_cndmask_b32_e32 v20, 0, v8, vcc_lo
.LBB6_15339:                            ;   in Loop: Header=BB6_15150 Depth=3
	s_or_b32 exec_lo, exec_lo, s75
.LBB6_15340:                            ;   in Loop: Header=BB6_15150 Depth=3
	s_or_b32 exec_lo, exec_lo, s74
	v_cmp_gt_i16_sdwa s74, v11, v116 src0_sel:BYTE_1 src1_sel:DWORD
	s_mov_b32 s17, 0
	s_and_saveexec_b32 s75, s74
	s_xor_b32 s74, exec_lo, s75
	s_cbranch_execz .LBB6_15726
; %bb.15341:                            ;   in Loop: Header=BB6_15150 Depth=3
	v_cmp_eq_u16_sdwa s76, v11, v117 src0_sel:BYTE_1 src1_sel:DWORD
	s_mov_b32 s17, -1
	s_and_saveexec_b32 s75, s76
; %bb.15342:                            ;   in Loop: Header=BB6_15150 Depth=3
	s_xor_b32 s17, exec_lo, -1
; %bb.15343:                            ;   in Loop: Header=BB6_15150 Depth=3
	s_or_b32 exec_lo, exec_lo, s75
	s_and_b32 s17, s17, exec_lo
	s_or_saveexec_b32 s74, s74
	v_mov_b32_e32 v8, 0x7f800001
	s_xor_b32 exec_lo, exec_lo, s74
	s_cbranch_execnz .LBB6_15727
.LBB6_15344:                            ;   in Loop: Header=BB6_15150 Depth=3
	s_or_b32 exec_lo, exec_lo, s74
	s_and_saveexec_b32 s74, s17
	s_cbranch_execz .LBB6_15346
.LBB6_15345:                            ;   in Loop: Header=BB6_15150 Depth=3
	v_and_b32_sdwa v8, v118, v11 dst_sel:DWORD dst_unused:UNUSED_PAD src0_sel:DWORD src1_sel:BYTE_1
	v_and_b32_e32 v9, 3, v8
	v_bfe_u32 v22, v8, 2, 5
	v_ffbh_u32_e32 v10, v9
	v_cmp_eq_u32_e32 vcc_lo, 0, v22
	v_min_u32_e32 v10, 32, v10
	v_subrev_nc_u32_e32 v19, 29, v10
	v_sub_nc_u32_e32 v10, 30, v10
	v_lshlrev_b32_e32 v8, v19, v8
	v_lshlrev_b32_sdwa v19, v119, v11 dst_sel:DWORD dst_unused:UNUSED_PAD src0_sel:DWORD src1_sel:BYTE_1
	v_cndmask_b32_e32 v10, v22, v10, vcc_lo
	v_and_b32_e32 v8, 3, v8
	v_lshl_add_u32 v10, v10, 23, 0x37800000
	v_cndmask_b32_e32 v8, v9, v8, vcc_lo
	v_and_b32_e32 v9, 0x80000000, v19
	v_lshlrev_b32_e32 v8, 21, v8
	v_or3_b32 v8, v9, v10, v8
.LBB6_15346:                            ;   in Loop: Header=BB6_15150 Depth=3
	s_or_b32 exec_lo, exec_lo, s74
	v_mul_f32_e32 v8, s73, v8
	v_mov_b32_e32 v24, 0x8000
	s_mov_b32 s74, exec_lo
	v_and_b32_e32 v9, 0x7f800000, v8
	v_cmpx_ne_u32_e32 0x7f800000, v9
	s_cbranch_execz .LBB6_15354
; %bb.15347:                            ;   in Loop: Header=BB6_15150 Depth=3
	v_mov_b32_e32 v24, 0
	s_mov_b32 s75, exec_lo
	v_cmpx_ne_u32_e32 0, v8
	s_cbranch_execz .LBB6_15353
; %bb.15348:                            ;   in Loop: Header=BB6_15150 Depth=3
	v_bfe_u32 v9, v8, 23, 8
	v_and_b32_e32 v10, 0x7fffff, v8
	v_sub_nc_u32_e32 v19, 0x70, v9
	v_cmp_gt_u32_e32 vcc_lo, 0x71, v9
	v_or_b32_e32 v22, 0x800000, v10
	v_cndmask_b32_e32 v19, 0, v19, vcc_lo
	v_cmp_eq_u32_e32 vcc_lo, 0, v9
	v_add_nc_u32_e32 v9, 0xffffff91, v9
	v_cndmask_b32_e64 v19, v19, 0x6f, vcc_lo
	v_cndmask_b32_e32 v10, v22, v10, vcc_lo
	v_cndmask_b32_e64 v9, v9, 0xffffff92, vcc_lo
	v_lshl_add_u32 v22, 0x200000, v19, -1
	v_lshrrev_b32_e32 v24, v19, v10
	v_lshlrev_b32_e64 v51, v19, 0x100000
	v_add_nc_u32_e32 v19, v19, v9
	v_and_b32_e32 v10, v22, v10
	v_bfe_u32 v50, v24, 21, 1
	v_cmp_eq_u32_e64 s17, v10, v51
	v_add_nc_u32_e32 v22, -1, v50
	v_cndmask_b32_e64 v10, 0, v22, s17
	v_lshrrev_b32_e32 v22, 23, v24
	s_mov_b32 s17, exec_lo
	v_add_nc_u32_e32 v10, v10, v24
	v_xor_b32_e32 v22, 1, v22
	v_and_b32_e32 v9, 0x1fffff, v10
	v_add_nc_u32_e32 v10, v9, v24
                                        ; implicit-def: $vgpr9
	v_cmpx_ne_u32_e64 v19, v22
	s_xor_b32 s17, exec_lo, s17
; %bb.15349:                            ;   in Loop: Header=BB6_15150 Depth=3
	v_cmp_lt_u32_e32 vcc_lo, 0xffffff, v10
	v_sub_nc_u32_e32 v9, v19, v22
	v_cndmask_b32_e64 v19, 0, 1, vcc_lo
	v_add_co_ci_u32_e64 v9, null, 0, v9, vcc_lo
	v_lshrrev_b32_e32 v10, v19, v10
; %bb.15350:                            ;   in Loop: Header=BB6_15150 Depth=3
	s_andn2_saveexec_b32 s17, s17
; %bb.15351:                            ;   in Loop: Header=BB6_15150 Depth=3
	v_bfe_u32 v9, v10, 23, 1
; %bb.15352:                            ;   in Loop: Header=BB6_15150 Depth=3
	s_or_b32 exec_lo, exec_lo, s17
	v_lshrrev_b32_e32 v10, 21, v10
	v_min_i32_e32 v19, 31, v9
	v_cmp_gt_i32_e32 vcc_lo, 32, v9
	v_and_b32_sdwa v8, v8, v117 dst_sel:DWORD dst_unused:UNUSED_PAD src0_sel:BYTE_3 src1_sel:DWORD
	v_lshlrev_b32_e32 v19, 2, v19
	v_cndmask_b32_e32 v10, 3, v10, vcc_lo
	v_and_b32_e32 v19, 0xfc, v19
	v_and_b32_e32 v22, 3, v10
	v_or_b32_e32 v9, v9, v10
	v_or3_b32 v8, v8, v19, v22
	v_cmp_ne_u32_e32 vcc_lo, 0, v9
	v_lshlrev_b32_e32 v8, 8, v8
	v_cndmask_b32_e32 v24, 0, v8, vcc_lo
.LBB6_15353:                            ;   in Loop: Header=BB6_15150 Depth=3
	s_or_b32 exec_lo, exec_lo, s75
.LBB6_15354:                            ;   in Loop: Header=BB6_15150 Depth=3
	s_or_b32 exec_lo, exec_lo, s74
	v_and_b32_sdwa v9, v11, v40 dst_sel:DWORD dst_unused:UNUSED_PAD src0_sel:WORD_1 src1_sel:DWORD
	s_mov_b32 s17, 0
	s_mov_b32 s74, exec_lo
	v_cmpx_lt_i16_e32 0x7f, v9
	s_xor_b32 s74, exec_lo, s74
	s_cbranch_execz .LBB6_15728
; %bb.15355:                            ;   in Loop: Header=BB6_15150 Depth=3
	s_mov_b32 s17, -1
	s_mov_b32 s75, exec_lo
	v_cmpx_eq_u16_e32 0x80, v9
; %bb.15356:                            ;   in Loop: Header=BB6_15150 Depth=3
	s_xor_b32 s17, exec_lo, -1
; %bb.15357:                            ;   in Loop: Header=BB6_15150 Depth=3
	s_or_b32 exec_lo, exec_lo, s75
	s_and_b32 s17, s17, exec_lo
                                        ; implicit-def: $vgpr9
	s_or_saveexec_b32 s74, s74
	v_mov_b32_e32 v8, 0x7f800001
	s_xor_b32 exec_lo, exec_lo, s74
	s_cbranch_execnz .LBB6_15729
.LBB6_15358:                            ;   in Loop: Header=BB6_15150 Depth=3
	s_or_b32 exec_lo, exec_lo, s74
	s_and_saveexec_b32 s74, s17
	s_cbranch_execz .LBB6_15360
.LBB6_15359:                            ;   in Loop: Header=BB6_15150 Depth=3
	v_bfe_u32 v8, v11, 16, 2
	v_bfe_u32 v19, v11, 18, 5
	v_lshlrev_b32_e32 v22, 8, v11
	v_ffbh_u32_e32 v9, v8
	v_cmp_eq_u32_e32 vcc_lo, 0, v19
	v_min_u32_e32 v9, 32, v9
	v_subrev_nc_u32_e32 v10, 29, v9
	v_sub_nc_u32_e32 v9, 30, v9
	v_lshlrev_b32_sdwa v10, v10, v11 dst_sel:DWORD dst_unused:UNUSED_PAD src0_sel:DWORD src1_sel:WORD_1
	v_cndmask_b32_e32 v9, v19, v9, vcc_lo
	v_and_b32_e32 v10, 3, v10
	v_lshl_add_u32 v9, v9, 23, 0x37800000
	v_cndmask_b32_e32 v8, v8, v10, vcc_lo
	v_and_b32_e32 v10, 0x80000000, v22
	v_lshlrev_b32_e32 v8, 21, v8
	v_or3_b32 v8, v10, v9, v8
.LBB6_15360:                            ;   in Loop: Header=BB6_15150 Depth=3
	s_or_b32 exec_lo, exec_lo, s74
	v_mul_f32_e32 v8, s73, v8
	v_mov_b32_e32 v19, 0x80
	s_mov_b32 s74, exec_lo
	v_and_b32_e32 v9, 0x7f800000, v8
	v_cmpx_ne_u32_e32 0x7f800000, v9
	s_cbranch_execz .LBB6_15368
; %bb.15361:                            ;   in Loop: Header=BB6_15150 Depth=3
	v_mov_b32_e32 v19, 0
	s_mov_b32 s75, exec_lo
	v_cmpx_ne_u32_e32 0, v8
	s_cbranch_execz .LBB6_15367
; %bb.15362:                            ;   in Loop: Header=BB6_15150 Depth=3
	v_bfe_u32 v9, v8, 23, 8
	v_and_b32_e32 v10, 0x7fffff, v8
	v_sub_nc_u32_e32 v19, 0x70, v9
	v_cmp_gt_u32_e32 vcc_lo, 0x71, v9
	v_or_b32_e32 v22, 0x800000, v10
	v_cndmask_b32_e32 v19, 0, v19, vcc_lo
	v_cmp_eq_u32_e32 vcc_lo, 0, v9
	v_add_nc_u32_e32 v9, 0xffffff91, v9
	v_cndmask_b32_e64 v19, v19, 0x6f, vcc_lo
	v_cndmask_b32_e32 v10, v22, v10, vcc_lo
	v_cndmask_b32_e64 v9, v9, 0xffffff92, vcc_lo
	v_lshl_add_u32 v22, 0x200000, v19, -1
	v_lshrrev_b32_e32 v50, v19, v10
	v_lshlrev_b32_e64 v52, v19, 0x100000
	v_add_nc_u32_e32 v19, v19, v9
	v_and_b32_e32 v10, v22, v10
	v_bfe_u32 v51, v50, 21, 1
	v_cmp_eq_u32_e64 s17, v10, v52
	v_add_nc_u32_e32 v22, -1, v51
	v_cndmask_b32_e64 v10, 0, v22, s17
	v_lshrrev_b32_e32 v22, 23, v50
	s_mov_b32 s17, exec_lo
	v_add_nc_u32_e32 v10, v10, v50
	v_xor_b32_e32 v22, 1, v22
	v_and_b32_e32 v9, 0x1fffff, v10
	v_add_nc_u32_e32 v10, v9, v50
                                        ; implicit-def: $vgpr9
	v_cmpx_ne_u32_e64 v19, v22
	s_xor_b32 s17, exec_lo, s17
; %bb.15363:                            ;   in Loop: Header=BB6_15150 Depth=3
	v_cmp_lt_u32_e32 vcc_lo, 0xffffff, v10
	v_sub_nc_u32_e32 v9, v19, v22
	v_cndmask_b32_e64 v19, 0, 1, vcc_lo
	v_add_co_ci_u32_e64 v9, null, 0, v9, vcc_lo
	v_lshrrev_b32_e32 v10, v19, v10
; %bb.15364:                            ;   in Loop: Header=BB6_15150 Depth=3
	s_andn2_saveexec_b32 s17, s17
; %bb.15365:                            ;   in Loop: Header=BB6_15150 Depth=3
	v_bfe_u32 v9, v10, 23, 1
; %bb.15366:                            ;   in Loop: Header=BB6_15150 Depth=3
	s_or_b32 exec_lo, exec_lo, s17
	v_lshrrev_b32_e32 v10, 21, v10
	v_min_i32_e32 v19, 31, v9
	v_cmp_gt_i32_e32 vcc_lo, 32, v9
	v_and_b32_sdwa v8, v8, v117 dst_sel:DWORD dst_unused:UNUSED_PAD src0_sel:BYTE_3 src1_sel:DWORD
	v_lshlrev_b32_e32 v19, 2, v19
	v_cndmask_b32_e32 v10, 3, v10, vcc_lo
	v_and_b32_e32 v19, 0xfc, v19
	v_and_b32_e32 v22, 3, v10
	v_or_b32_e32 v9, v9, v10
	v_or3_b32 v8, v19, v8, v22
	v_cmp_ne_u32_e32 vcc_lo, 0, v9
	v_cndmask_b32_e32 v19, 0, v8, vcc_lo
.LBB6_15367:                            ;   in Loop: Header=BB6_15150 Depth=3
	s_or_b32 exec_lo, exec_lo, s75
.LBB6_15368:                            ;   in Loop: Header=BB6_15150 Depth=3
	s_or_b32 exec_lo, exec_lo, s74
	v_cmp_gt_i16_sdwa s74, v11, v116 src0_sel:BYTE_3 src1_sel:DWORD
	s_mov_b32 s17, 0
	s_and_saveexec_b32 s75, s74
	s_xor_b32 s74, exec_lo, s75
	s_cbranch_execz .LBB6_15730
; %bb.15369:                            ;   in Loop: Header=BB6_15150 Depth=3
	v_cmp_eq_u16_sdwa s76, v11, v117 src0_sel:BYTE_3 src1_sel:DWORD
	s_mov_b32 s17, -1
	s_and_saveexec_b32 s75, s76
; %bb.15370:                            ;   in Loop: Header=BB6_15150 Depth=3
	s_xor_b32 s17, exec_lo, -1
; %bb.15371:                            ;   in Loop: Header=BB6_15150 Depth=3
	s_or_b32 exec_lo, exec_lo, s75
	s_and_b32 s17, s17, exec_lo
	s_or_saveexec_b32 s74, s74
	v_mov_b32_e32 v8, 0x7f800001
	s_xor_b32 exec_lo, exec_lo, s74
	s_cbranch_execnz .LBB6_15731
.LBB6_15372:                            ;   in Loop: Header=BB6_15150 Depth=3
	s_or_b32 exec_lo, exec_lo, s74
	s_and_saveexec_b32 s74, s17
	s_cbranch_execz .LBB6_15374
.LBB6_15373:                            ;   in Loop: Header=BB6_15150 Depth=3
	v_bfe_u32 v8, v11, 24, 2
	v_bfe_u32 v22, v11, 26, 5
	v_ffbh_u32_e32 v9, v8
	v_cmp_eq_u32_e32 vcc_lo, 0, v22
	v_min_u32_e32 v9, 32, v9
	v_subrev_nc_u32_e32 v10, 29, v9
	v_sub_nc_u32_e32 v9, 30, v9
	v_lshlrev_b32_sdwa v10, v10, v11 dst_sel:DWORD dst_unused:UNUSED_PAD src0_sel:DWORD src1_sel:BYTE_3
	v_cndmask_b32_e32 v9, v22, v9, vcc_lo
	v_and_b32_e32 v10, 3, v10
	v_lshl_add_u32 v9, v9, 23, 0x37800000
	v_cndmask_b32_e32 v8, v8, v10, vcc_lo
	v_and_b32_e32 v10, 0x80000000, v11
	v_lshlrev_b32_e32 v8, 21, v8
	v_or3_b32 v8, v10, v9, v8
.LBB6_15374:                            ;   in Loop: Header=BB6_15150 Depth=3
	s_or_b32 exec_lo, exec_lo, s74
	v_mul_f32_e32 v8, s73, v8
	v_mov_b32_e32 v22, 0x8000
	s_mov_b32 s73, exec_lo
	v_and_b32_e32 v9, 0x7f800000, v8
	v_cmpx_ne_u32_e32 0x7f800000, v9
	s_cbranch_execz .LBB6_15382
; %bb.15375:                            ;   in Loop: Header=BB6_15150 Depth=3
	v_mov_b32_e32 v22, 0
	s_mov_b32 s74, exec_lo
	v_cmpx_ne_u32_e32 0, v8
	s_cbranch_execz .LBB6_15381
; %bb.15376:                            ;   in Loop: Header=BB6_15150 Depth=3
	v_bfe_u32 v9, v8, 23, 8
	v_and_b32_e32 v10, 0x7fffff, v8
	v_sub_nc_u32_e32 v11, 0x70, v9
	v_cmp_gt_u32_e32 vcc_lo, 0x71, v9
	v_or_b32_e32 v22, 0x800000, v10
	v_cndmask_b32_e32 v11, 0, v11, vcc_lo
	v_cmp_eq_u32_e32 vcc_lo, 0, v9
	v_add_nc_u32_e32 v9, 0xffffff91, v9
	v_cndmask_b32_e64 v11, v11, 0x6f, vcc_lo
	v_cndmask_b32_e32 v10, v22, v10, vcc_lo
	v_cndmask_b32_e64 v9, v9, 0xffffff92, vcc_lo
	v_lshl_add_u32 v22, 0x200000, v11, -1
	v_lshrrev_b32_e32 v50, v11, v10
	v_lshlrev_b32_e64 v52, v11, 0x100000
	v_add_nc_u32_e32 v11, v11, v9
	v_and_b32_e32 v10, v22, v10
	v_bfe_u32 v51, v50, 21, 1
	v_cmp_eq_u32_e64 s17, v10, v52
	v_add_nc_u32_e32 v22, -1, v51
	v_cndmask_b32_e64 v10, 0, v22, s17
	v_lshrrev_b32_e32 v22, 23, v50
	s_mov_b32 s17, exec_lo
	v_add_nc_u32_e32 v10, v10, v50
	v_xor_b32_e32 v22, 1, v22
	v_and_b32_e32 v9, 0x1fffff, v10
	v_add_nc_u32_e32 v10, v9, v50
                                        ; implicit-def: $vgpr9
	v_cmpx_ne_u32_e64 v11, v22
	s_xor_b32 s17, exec_lo, s17
; %bb.15377:                            ;   in Loop: Header=BB6_15150 Depth=3
	v_cmp_lt_u32_e32 vcc_lo, 0xffffff, v10
	v_sub_nc_u32_e32 v9, v11, v22
	v_cndmask_b32_e64 v11, 0, 1, vcc_lo
	v_add_co_ci_u32_e64 v9, null, 0, v9, vcc_lo
	v_lshrrev_b32_e32 v10, v11, v10
; %bb.15378:                            ;   in Loop: Header=BB6_15150 Depth=3
	s_andn2_saveexec_b32 s17, s17
; %bb.15379:                            ;   in Loop: Header=BB6_15150 Depth=3
	v_bfe_u32 v9, v10, 23, 1
; %bb.15380:                            ;   in Loop: Header=BB6_15150 Depth=3
	s_or_b32 exec_lo, exec_lo, s17
	v_lshrrev_b32_e32 v10, 21, v10
	v_min_i32_e32 v11, 31, v9
	v_cmp_gt_i32_e32 vcc_lo, 32, v9
	v_and_b32_sdwa v8, v8, v117 dst_sel:DWORD dst_unused:UNUSED_PAD src0_sel:BYTE_3 src1_sel:DWORD
	v_lshlrev_b32_e32 v11, 2, v11
	v_cndmask_b32_e32 v10, 3, v10, vcc_lo
	v_and_b32_e32 v11, 0xfc, v11
	v_and_b32_e32 v22, 3, v10
	v_or_b32_e32 v9, v9, v10
	v_or3_b32 v8, v8, v11, v22
	v_cmp_ne_u32_e32 vcc_lo, 0, v9
	v_lshlrev_b32_e32 v8, 8, v8
	v_cndmask_b32_e32 v22, 0, v8, vcc_lo
.LBB6_15381:                            ;   in Loop: Header=BB6_15150 Depth=3
	s_or_b32 exec_lo, exec_lo, s74
.LBB6_15382:                            ;   in Loop: Header=BB6_15150 Depth=3
	s_or_b32 exec_lo, exec_lo, s73
	global_load_dwordx4 v[8:11], v[16:17], off slc
	v_or_b32_e32 v50, v21, v18
	s_mov_b32 s17, 0
	v_cmp_gt_i16_sdwa s73, v50, v116 src0_sel:BYTE_0 src1_sel:DWORD
	s_and_saveexec_b32 s74, s73
	s_xor_b32 s73, exec_lo, s74
	s_cbranch_execz .LBB6_15732
; %bb.15383:                            ;   in Loop: Header=BB6_15150 Depth=3
	v_cmp_eq_u16_sdwa s75, v50, v117 src0_sel:BYTE_0 src1_sel:DWORD
	s_mov_b32 s17, -1
	s_and_saveexec_b32 s74, s75
; %bb.15384:                            ;   in Loop: Header=BB6_15150 Depth=3
	s_xor_b32 s17, exec_lo, -1
; %bb.15385:                            ;   in Loop: Header=BB6_15150 Depth=3
	s_or_b32 exec_lo, exec_lo, s74
	s_and_b32 s17, s17, exec_lo
	s_or_saveexec_b32 s73, s73
	v_mov_b32_e32 v18, 0x7f800001
	s_xor_b32 exec_lo, exec_lo, s73
	s_cbranch_execnz .LBB6_15733
.LBB6_15386:                            ;   in Loop: Header=BB6_15150 Depth=3
	s_or_b32 exec_lo, exec_lo, s73
	s_and_saveexec_b32 s73, s17
	s_cbranch_execz .LBB6_15388
.LBB6_15387:                            ;   in Loop: Header=BB6_15150 Depth=3
	v_and_b32_e32 v18, 3, v50
	v_bfe_u32 v52, v50, 2, 5
	v_lshlrev_b32_e32 v53, 24, v50
	v_ffbh_u32_e32 v21, v18
	v_cmp_eq_u32_e32 vcc_lo, 0, v52
	v_min_u32_e32 v21, 32, v21
	v_subrev_nc_u32_e32 v51, 29, v21
	v_sub_nc_u32_e32 v21, 30, v21
	v_lshlrev_b32_e32 v51, v51, v50
	v_cndmask_b32_e32 v21, v52, v21, vcc_lo
	v_and_b32_e32 v51, 3, v51
	v_lshl_add_u32 v21, v21, 23, 0x37800000
	v_cndmask_b32_e32 v18, v18, v51, vcc_lo
	v_and_b32_e32 v51, 0x80000000, v53
	v_lshlrev_b32_e32 v18, 21, v18
	v_or3_b32 v18, v51, v21, v18
.LBB6_15388:                            ;   in Loop: Header=BB6_15150 Depth=3
	s_or_b32 exec_lo, exec_lo, s73
	s_waitcnt vmcnt(0)
	v_cmp_gt_i16_sdwa s73, v8, v116 src0_sel:BYTE_0 src1_sel:DWORD
	s_mov_b32 s17, 0
	s_and_saveexec_b32 s74, s73
	s_xor_b32 s73, exec_lo, s74
	s_cbranch_execz .LBB6_15734
; %bb.15389:                            ;   in Loop: Header=BB6_15150 Depth=3
	v_cmp_eq_u16_sdwa s75, v8, v117 src0_sel:BYTE_0 src1_sel:DWORD
	s_mov_b32 s17, -1
	s_and_saveexec_b32 s74, s75
; %bb.15390:                            ;   in Loop: Header=BB6_15150 Depth=3
	s_xor_b32 s17, exec_lo, -1
; %bb.15391:                            ;   in Loop: Header=BB6_15150 Depth=3
	s_or_b32 exec_lo, exec_lo, s74
	s_and_b32 s17, s17, exec_lo
	s_or_saveexec_b32 s73, s73
	v_mov_b32_e32 v21, 0x7f800001
	s_xor_b32 exec_lo, exec_lo, s73
	s_cbranch_execnz .LBB6_15735
.LBB6_15392:                            ;   in Loop: Header=BB6_15150 Depth=3
	s_or_b32 exec_lo, exec_lo, s73
	s_and_saveexec_b32 s73, s17
	s_cbranch_execz .LBB6_15394
.LBB6_15393:                            ;   in Loop: Header=BB6_15150 Depth=3
	v_and_b32_e32 v21, 3, v8
	v_bfe_u32 v53, v8, 2, 5
	v_lshlrev_b32_e32 v54, 24, v8
	v_ffbh_u32_e32 v51, v21
	v_cmp_eq_u32_e32 vcc_lo, 0, v53
	v_min_u32_e32 v51, 32, v51
	v_subrev_nc_u32_e32 v52, 29, v51
	v_sub_nc_u32_e32 v51, 30, v51
	v_lshlrev_b32_e32 v52, v52, v8
	v_cndmask_b32_e32 v51, v53, v51, vcc_lo
	v_and_b32_e32 v52, 3, v52
	v_lshl_add_u32 v51, v51, 23, 0x37800000
	v_cndmask_b32_e32 v21, v21, v52, vcc_lo
	v_and_b32_e32 v52, 0x80000000, v54
	v_lshlrev_b32_e32 v21, 21, v21
	v_or3_b32 v21, v52, v51, v21
.LBB6_15394:                            ;   in Loop: Header=BB6_15150 Depth=3
	s_or_b32 exec_lo, exec_lo, s73
	v_add_f32_e32 v21, v18, v21
	v_and_b32_e32 v18, 0x7f800000, v21
	v_cmp_ne_u32_e32 vcc_lo, 0x7f800000, v18
	v_mov_b32_e32 v18, 0x80
	s_and_saveexec_b32 s73, vcc_lo
	s_cbranch_execz .LBB6_15402
; %bb.15395:                            ;   in Loop: Header=BB6_15150 Depth=3
	v_mov_b32_e32 v18, 0
	s_mov_b32 s74, exec_lo
	v_cmpx_ne_u32_e32 0, v21
	s_cbranch_execz .LBB6_15401
; %bb.15396:                            ;   in Loop: Header=BB6_15150 Depth=3
	v_bfe_u32 v18, v21, 23, 8
	v_and_b32_e32 v51, 0x7fffff, v21
	v_sub_nc_u32_e32 v52, 0x70, v18
	v_cmp_gt_u32_e32 vcc_lo, 0x71, v18
	v_or_b32_e32 v53, 0x800000, v51
	v_cndmask_b32_e32 v52, 0, v52, vcc_lo
	v_cmp_eq_u32_e32 vcc_lo, 0, v18
	v_add_nc_u32_e32 v18, 0xffffff91, v18
	v_cndmask_b32_e64 v52, v52, 0x6f, vcc_lo
	v_cndmask_b32_e32 v51, v53, v51, vcc_lo
	v_cndmask_b32_e64 v18, v18, 0xffffff92, vcc_lo
	v_lshl_add_u32 v53, 0x200000, v52, -1
	v_lshrrev_b32_e32 v54, v52, v51
	v_lshlrev_b32_e64 v66, v52, 0x100000
	v_add_nc_u32_e32 v52, v52, v18
	v_and_b32_e32 v51, v53, v51
	v_bfe_u32 v55, v54, 21, 1
	v_cmp_eq_u32_e64 s17, v51, v66
	v_add_nc_u32_e32 v53, -1, v55
	v_cndmask_b32_e64 v51, 0, v53, s17
	v_lshrrev_b32_e32 v53, 23, v54
	s_mov_b32 s17, exec_lo
	v_add_nc_u32_e32 v51, v51, v54
	v_xor_b32_e32 v53, 1, v53
	v_and_b32_e32 v18, 0x1fffff, v51
	v_add_nc_u32_e32 v51, v18, v54
                                        ; implicit-def: $vgpr18
	v_cmpx_ne_u32_e64 v52, v53
	s_xor_b32 s17, exec_lo, s17
; %bb.15397:                            ;   in Loop: Header=BB6_15150 Depth=3
	v_cmp_lt_u32_e32 vcc_lo, 0xffffff, v51
	v_sub_nc_u32_e32 v18, v52, v53
	v_cndmask_b32_e64 v52, 0, 1, vcc_lo
	v_add_co_ci_u32_e64 v18, null, 0, v18, vcc_lo
	v_lshrrev_b32_e32 v51, v52, v51
; %bb.15398:                            ;   in Loop: Header=BB6_15150 Depth=3
	s_andn2_saveexec_b32 s17, s17
; %bb.15399:                            ;   in Loop: Header=BB6_15150 Depth=3
	v_bfe_u32 v18, v51, 23, 1
; %bb.15400:                            ;   in Loop: Header=BB6_15150 Depth=3
	s_or_b32 exec_lo, exec_lo, s17
	v_lshrrev_b32_e32 v51, 21, v51
	v_min_i32_e32 v52, 31, v18
	v_cmp_gt_i32_e32 vcc_lo, 32, v18
	v_and_b32_sdwa v21, v21, v117 dst_sel:DWORD dst_unused:UNUSED_PAD src0_sel:BYTE_3 src1_sel:DWORD
	v_lshlrev_b32_e32 v52, 2, v52
	v_cndmask_b32_e32 v51, 3, v51, vcc_lo
	v_and_b32_e32 v52, 0xfc, v52
	v_and_b32_e32 v53, 3, v51
	v_or_b32_e32 v18, v18, v51
	v_or3_b32 v21, v52, v21, v53
	v_cmp_ne_u32_e32 vcc_lo, 0, v18
	v_cndmask_b32_e32 v18, 0, v21, vcc_lo
.LBB6_15401:                            ;   in Loop: Header=BB6_15150 Depth=3
	s_or_b32 exec_lo, exec_lo, s74
.LBB6_15402:                            ;   in Loop: Header=BB6_15150 Depth=3
	s_or_b32 exec_lo, exec_lo, s73
	v_cmp_gt_i16_sdwa s73, v50, v116 src0_sel:BYTE_1 src1_sel:DWORD
	s_mov_b32 s17, 0
	s_and_saveexec_b32 s74, s73
	s_xor_b32 s73, exec_lo, s74
	s_cbranch_execz .LBB6_15736
; %bb.15403:                            ;   in Loop: Header=BB6_15150 Depth=3
	v_cmp_eq_u16_sdwa s75, v50, v117 src0_sel:BYTE_1 src1_sel:DWORD
	s_mov_b32 s17, -1
	s_and_saveexec_b32 s74, s75
; %bb.15404:                            ;   in Loop: Header=BB6_15150 Depth=3
	s_xor_b32 s17, exec_lo, -1
; %bb.15405:                            ;   in Loop: Header=BB6_15150 Depth=3
	s_or_b32 exec_lo, exec_lo, s74
	s_and_b32 s17, s17, exec_lo
	s_or_saveexec_b32 s73, s73
	v_mov_b32_e32 v21, 0x7f800001
	s_xor_b32 exec_lo, exec_lo, s73
	s_cbranch_execnz .LBB6_15737
.LBB6_15406:                            ;   in Loop: Header=BB6_15150 Depth=3
	s_or_b32 exec_lo, exec_lo, s73
	s_and_saveexec_b32 s73, s17
	s_cbranch_execz .LBB6_15408
.LBB6_15407:                            ;   in Loop: Header=BB6_15150 Depth=3
	v_and_b32_sdwa v21, v118, v50 dst_sel:DWORD dst_unused:UNUSED_PAD src0_sel:DWORD src1_sel:BYTE_1
	v_and_b32_e32 v51, 3, v21
	v_bfe_u32 v54, v21, 2, 5
	v_ffbh_u32_e32 v52, v51
	v_cmp_eq_u32_e32 vcc_lo, 0, v54
	v_min_u32_e32 v52, 32, v52
	v_subrev_nc_u32_e32 v53, 29, v52
	v_sub_nc_u32_e32 v52, 30, v52
	v_lshlrev_b32_e32 v21, v53, v21
	v_lshlrev_b32_sdwa v53, v119, v50 dst_sel:DWORD dst_unused:UNUSED_PAD src0_sel:DWORD src1_sel:BYTE_1
	v_cndmask_b32_e32 v52, v54, v52, vcc_lo
	v_and_b32_e32 v21, 3, v21
	v_lshl_add_u32 v52, v52, 23, 0x37800000
	v_cndmask_b32_e32 v21, v51, v21, vcc_lo
	v_and_b32_e32 v51, 0x80000000, v53
	v_lshlrev_b32_e32 v21, 21, v21
	v_or3_b32 v21, v51, v52, v21
.LBB6_15408:                            ;   in Loop: Header=BB6_15150 Depth=3
	s_or_b32 exec_lo, exec_lo, s73
	v_cmp_gt_i16_sdwa s73, v8, v116 src0_sel:BYTE_1 src1_sel:DWORD
	s_mov_b32 s17, 0
	s_and_saveexec_b32 s74, s73
	s_xor_b32 s73, exec_lo, s74
	s_cbranch_execz .LBB6_15738
; %bb.15409:                            ;   in Loop: Header=BB6_15150 Depth=3
	v_cmp_eq_u16_sdwa s75, v8, v117 src0_sel:BYTE_1 src1_sel:DWORD
	s_mov_b32 s17, -1
	s_and_saveexec_b32 s74, s75
; %bb.15410:                            ;   in Loop: Header=BB6_15150 Depth=3
	s_xor_b32 s17, exec_lo, -1
; %bb.15411:                            ;   in Loop: Header=BB6_15150 Depth=3
	s_or_b32 exec_lo, exec_lo, s74
	s_and_b32 s17, s17, exec_lo
	s_or_saveexec_b32 s73, s73
	v_mov_b32_e32 v51, 0x7f800001
	s_xor_b32 exec_lo, exec_lo, s73
	s_cbranch_execnz .LBB6_15739
.LBB6_15412:                            ;   in Loop: Header=BB6_15150 Depth=3
	s_or_b32 exec_lo, exec_lo, s73
	s_and_saveexec_b32 s73, s17
	s_cbranch_execz .LBB6_15414
.LBB6_15413:                            ;   in Loop: Header=BB6_15150 Depth=3
	v_and_b32_sdwa v51, v118, v8 dst_sel:DWORD dst_unused:UNUSED_PAD src0_sel:DWORD src1_sel:BYTE_1
	v_and_b32_e32 v52, 3, v51
	v_bfe_u32 v55, v51, 2, 5
	v_ffbh_u32_e32 v53, v52
	v_cmp_eq_u32_e32 vcc_lo, 0, v55
	v_min_u32_e32 v53, 32, v53
	v_subrev_nc_u32_e32 v54, 29, v53
	v_sub_nc_u32_e32 v53, 30, v53
	v_lshlrev_b32_e32 v51, v54, v51
	v_lshlrev_b32_sdwa v54, v119, v8 dst_sel:DWORD dst_unused:UNUSED_PAD src0_sel:DWORD src1_sel:BYTE_1
	v_cndmask_b32_e32 v53, v55, v53, vcc_lo
	v_and_b32_e32 v51, 3, v51
	v_lshl_add_u32 v53, v53, 23, 0x37800000
	v_cndmask_b32_e32 v51, v52, v51, vcc_lo
	v_and_b32_e32 v52, 0x80000000, v54
	v_lshlrev_b32_e32 v51, 21, v51
	v_or3_b32 v51, v52, v53, v51
.LBB6_15414:                            ;   in Loop: Header=BB6_15150 Depth=3
	s_or_b32 exec_lo, exec_lo, s73
	v_add_f32_e32 v51, v21, v51
	v_and_b32_e32 v21, 0x7f800000, v51
	v_cmp_ne_u32_e32 vcc_lo, 0x7f800000, v21
	v_mov_b32_e32 v21, 0x8000
	s_and_saveexec_b32 s73, vcc_lo
	s_cbranch_execz .LBB6_15422
; %bb.15415:                            ;   in Loop: Header=BB6_15150 Depth=3
	v_mov_b32_e32 v21, 0
	s_mov_b32 s74, exec_lo
	v_cmpx_ne_u32_e32 0, v51
	s_cbranch_execz .LBB6_15421
; %bb.15416:                            ;   in Loop: Header=BB6_15150 Depth=3
	v_bfe_u32 v21, v51, 23, 8
	v_and_b32_e32 v52, 0x7fffff, v51
	v_sub_nc_u32_e32 v53, 0x70, v21
	v_cmp_gt_u32_e32 vcc_lo, 0x71, v21
	v_or_b32_e32 v54, 0x800000, v52
	v_cndmask_b32_e32 v53, 0, v53, vcc_lo
	v_cmp_eq_u32_e32 vcc_lo, 0, v21
	v_add_nc_u32_e32 v21, 0xffffff91, v21
	v_cndmask_b32_e64 v53, v53, 0x6f, vcc_lo
	v_cndmask_b32_e32 v52, v54, v52, vcc_lo
	v_cndmask_b32_e64 v21, v21, 0xffffff92, vcc_lo
	v_lshl_add_u32 v54, 0x200000, v53, -1
	v_lshrrev_b32_e32 v55, v53, v52
	v_lshlrev_b32_e64 v67, v53, 0x100000
	v_add_nc_u32_e32 v53, v53, v21
	v_and_b32_e32 v52, v54, v52
	v_bfe_u32 v66, v55, 21, 1
	v_cmp_eq_u32_e64 s17, v52, v67
	v_add_nc_u32_e32 v54, -1, v66
	v_cndmask_b32_e64 v52, 0, v54, s17
	v_lshrrev_b32_e32 v54, 23, v55
	s_mov_b32 s17, exec_lo
	v_add_nc_u32_e32 v52, v52, v55
	v_xor_b32_e32 v54, 1, v54
	v_and_b32_e32 v21, 0x1fffff, v52
	v_add_nc_u32_e32 v52, v21, v55
                                        ; implicit-def: $vgpr21
	v_cmpx_ne_u32_e64 v53, v54
	s_xor_b32 s17, exec_lo, s17
; %bb.15417:                            ;   in Loop: Header=BB6_15150 Depth=3
	v_cmp_lt_u32_e32 vcc_lo, 0xffffff, v52
	v_sub_nc_u32_e32 v21, v53, v54
	v_cndmask_b32_e64 v53, 0, 1, vcc_lo
	v_add_co_ci_u32_e64 v21, null, 0, v21, vcc_lo
	v_lshrrev_b32_e32 v52, v53, v52
; %bb.15418:                            ;   in Loop: Header=BB6_15150 Depth=3
	s_andn2_saveexec_b32 s17, s17
; %bb.15419:                            ;   in Loop: Header=BB6_15150 Depth=3
	v_bfe_u32 v21, v52, 23, 1
; %bb.15420:                            ;   in Loop: Header=BB6_15150 Depth=3
	s_or_b32 exec_lo, exec_lo, s17
	v_lshrrev_b32_e32 v52, 21, v52
	v_min_i32_e32 v53, 31, v21
	v_cmp_gt_i32_e32 vcc_lo, 32, v21
	v_and_b32_sdwa v51, v51, v117 dst_sel:DWORD dst_unused:UNUSED_PAD src0_sel:BYTE_3 src1_sel:DWORD
	v_lshlrev_b32_e32 v53, 2, v53
	v_cndmask_b32_e32 v52, 3, v52, vcc_lo
	v_and_b32_e32 v53, 0xfc, v53
	v_and_b32_e32 v54, 3, v52
	v_or_b32_e32 v21, v21, v52
	v_or3_b32 v51, v51, v53, v54
	v_cmp_ne_u32_e32 vcc_lo, 0, v21
	v_lshlrev_b32_e32 v51, 8, v51
	v_cndmask_b32_e32 v21, 0, v51, vcc_lo
.LBB6_15421:                            ;   in Loop: Header=BB6_15150 Depth=3
	s_or_b32 exec_lo, exec_lo, s74
.LBB6_15422:                            ;   in Loop: Header=BB6_15150 Depth=3
	s_or_b32 exec_lo, exec_lo, s73
	v_or_b32_e32 v37, v37, v26
	s_mov_b32 s17, 0
	v_cmp_gt_i16_sdwa s73, v37, v116 src0_sel:BYTE_0 src1_sel:DWORD
	s_and_saveexec_b32 s74, s73
	s_xor_b32 s73, exec_lo, s74
	s_cbranch_execz .LBB6_15740
; %bb.15423:                            ;   in Loop: Header=BB6_15150 Depth=3
	v_cmp_eq_u16_sdwa s75, v37, v117 src0_sel:BYTE_0 src1_sel:DWORD
	s_mov_b32 s17, -1
	s_and_saveexec_b32 s74, s75
; %bb.15424:                            ;   in Loop: Header=BB6_15150 Depth=3
	s_xor_b32 s17, exec_lo, -1
; %bb.15425:                            ;   in Loop: Header=BB6_15150 Depth=3
	s_or_b32 exec_lo, exec_lo, s74
	s_and_b32 s17, s17, exec_lo
	s_or_saveexec_b32 s73, s73
	v_mov_b32_e32 v26, 0x7f800001
	s_xor_b32 exec_lo, exec_lo, s73
	s_cbranch_execnz .LBB6_15741
.LBB6_15426:                            ;   in Loop: Header=BB6_15150 Depth=3
	s_or_b32 exec_lo, exec_lo, s73
	v_lshl_or_b32 v37, v37, 16, v50
	s_and_saveexec_b32 s73, s17
	s_cbranch_execz .LBB6_15428
.LBB6_15427:                            ;   in Loop: Header=BB6_15150 Depth=3
	v_bfe_u32 v26, v37, 16, 2
	v_bfe_u32 v52, v37, 18, 5
	v_lshlrev_b32_e32 v53, 8, v37
	v_ffbh_u32_e32 v50, v26
	v_cmp_eq_u32_e32 vcc_lo, 0, v52
	v_min_u32_e32 v50, 32, v50
	v_subrev_nc_u32_e32 v51, 29, v50
	v_sub_nc_u32_e32 v50, 30, v50
	v_lshlrev_b32_sdwa v51, v51, v37 dst_sel:DWORD dst_unused:UNUSED_PAD src0_sel:DWORD src1_sel:WORD_1
	v_cndmask_b32_e32 v50, v52, v50, vcc_lo
	v_and_b32_e32 v51, 3, v51
	v_lshl_add_u32 v50, v50, 23, 0x37800000
	v_cndmask_b32_e32 v26, v26, v51, vcc_lo
	v_and_b32_e32 v51, 0x80000000, v53
	v_lshlrev_b32_e32 v26, 21, v26
	v_or3_b32 v26, v51, v50, v26
.LBB6_15428:                            ;   in Loop: Header=BB6_15150 Depth=3
	s_or_b32 exec_lo, exec_lo, s73
	v_and_b32_sdwa v51, v8, v40 dst_sel:DWORD dst_unused:UNUSED_PAD src0_sel:WORD_1 src1_sel:DWORD
	s_mov_b32 s17, 0
	s_mov_b32 s73, exec_lo
	v_cmpx_lt_i16_e32 0x7f, v51
	s_xor_b32 s73, exec_lo, s73
	s_cbranch_execz .LBB6_15742
; %bb.15429:                            ;   in Loop: Header=BB6_15150 Depth=3
	s_mov_b32 s17, -1
	s_mov_b32 s74, exec_lo
	v_cmpx_eq_u16_e32 0x80, v51
; %bb.15430:                            ;   in Loop: Header=BB6_15150 Depth=3
	s_xor_b32 s17, exec_lo, -1
; %bb.15431:                            ;   in Loop: Header=BB6_15150 Depth=3
	s_or_b32 exec_lo, exec_lo, s74
	s_and_b32 s17, s17, exec_lo
                                        ; implicit-def: $vgpr51
	s_or_saveexec_b32 s73, s73
	v_mov_b32_e32 v50, 0x7f800001
	s_xor_b32 exec_lo, exec_lo, s73
	s_cbranch_execnz .LBB6_15743
.LBB6_15432:                            ;   in Loop: Header=BB6_15150 Depth=3
	s_or_b32 exec_lo, exec_lo, s73
	s_and_saveexec_b32 s73, s17
	s_cbranch_execz .LBB6_15434
.LBB6_15433:                            ;   in Loop: Header=BB6_15150 Depth=3
	v_mov_b32_e32 v50, 3
	v_bfe_u32 v53, v8, 18, 5
	v_lshlrev_b32_sdwa v54, v119, v8 dst_sel:DWORD dst_unused:UNUSED_PAD src0_sel:DWORD src1_sel:WORD_1
	v_and_b32_sdwa v50, v8, v50 dst_sel:DWORD dst_unused:UNUSED_PAD src0_sel:WORD_1 src1_sel:DWORD
	v_cmp_eq_u32_e32 vcc_lo, 0, v53
	v_ffbh_u32_e32 v51, v50
	v_min_u32_e32 v51, 32, v51
	v_subrev_nc_u32_e32 v52, 29, v51
	v_sub_nc_u32_e32 v51, 30, v51
	v_lshlrev_b32_sdwa v52, v52, v8 dst_sel:DWORD dst_unused:UNUSED_PAD src0_sel:DWORD src1_sel:WORD_1
	v_cndmask_b32_e32 v51, v53, v51, vcc_lo
	v_and_b32_e32 v52, 3, v52
	v_lshl_add_u32 v51, v51, 23, 0x37800000
	v_cndmask_b32_e32 v50, v50, v52, vcc_lo
	v_and_b32_e32 v52, 0x80000000, v54
	v_lshlrev_b32_e32 v50, 21, v50
	v_or3_b32 v50, v52, v51, v50
.LBB6_15434:                            ;   in Loop: Header=BB6_15150 Depth=3
	s_or_b32 exec_lo, exec_lo, s73
	v_add_f32_e32 v50, v26, v50
	v_and_b32_e32 v26, 0x7f800000, v50
	v_cmp_ne_u32_e32 vcc_lo, 0x7f800000, v26
	v_mov_b32_e32 v26, 0x80
	s_and_saveexec_b32 s73, vcc_lo
	s_cbranch_execz .LBB6_15442
; %bb.15435:                            ;   in Loop: Header=BB6_15150 Depth=3
	v_mov_b32_e32 v26, 0
	s_mov_b32 s74, exec_lo
	v_cmpx_ne_u32_e32 0, v50
	s_cbranch_execz .LBB6_15441
; %bb.15436:                            ;   in Loop: Header=BB6_15150 Depth=3
	v_bfe_u32 v26, v50, 23, 8
	v_and_b32_e32 v51, 0x7fffff, v50
	v_sub_nc_u32_e32 v52, 0x70, v26
	v_cmp_gt_u32_e32 vcc_lo, 0x71, v26
	v_or_b32_e32 v53, 0x800000, v51
	v_cndmask_b32_e32 v52, 0, v52, vcc_lo
	v_cmp_eq_u32_e32 vcc_lo, 0, v26
	v_add_nc_u32_e32 v26, 0xffffff91, v26
	v_cndmask_b32_e64 v52, v52, 0x6f, vcc_lo
	v_cndmask_b32_e32 v51, v53, v51, vcc_lo
	v_cndmask_b32_e64 v26, v26, 0xffffff92, vcc_lo
	v_lshl_add_u32 v53, 0x200000, v52, -1
	v_lshrrev_b32_e32 v54, v52, v51
	v_lshlrev_b32_e64 v66, v52, 0x100000
	v_add_nc_u32_e32 v52, v52, v26
	v_and_b32_e32 v51, v53, v51
	v_bfe_u32 v55, v54, 21, 1
	v_cmp_eq_u32_e64 s17, v51, v66
	v_add_nc_u32_e32 v53, -1, v55
	v_cndmask_b32_e64 v51, 0, v53, s17
	v_lshrrev_b32_e32 v53, 23, v54
	s_mov_b32 s17, exec_lo
	v_add_nc_u32_e32 v51, v51, v54
	v_xor_b32_e32 v53, 1, v53
	v_and_b32_e32 v26, 0x1fffff, v51
	v_add_nc_u32_e32 v51, v26, v54
                                        ; implicit-def: $vgpr26
	v_cmpx_ne_u32_e64 v52, v53
	s_xor_b32 s17, exec_lo, s17
; %bb.15437:                            ;   in Loop: Header=BB6_15150 Depth=3
	v_cmp_lt_u32_e32 vcc_lo, 0xffffff, v51
	v_sub_nc_u32_e32 v26, v52, v53
	v_cndmask_b32_e64 v52, 0, 1, vcc_lo
	v_add_co_ci_u32_e64 v26, null, 0, v26, vcc_lo
	v_lshrrev_b32_e32 v51, v52, v51
; %bb.15438:                            ;   in Loop: Header=BB6_15150 Depth=3
	s_andn2_saveexec_b32 s17, s17
; %bb.15439:                            ;   in Loop: Header=BB6_15150 Depth=3
	v_bfe_u32 v26, v51, 23, 1
; %bb.15440:                            ;   in Loop: Header=BB6_15150 Depth=3
	s_or_b32 exec_lo, exec_lo, s17
	v_lshrrev_b32_e32 v51, 21, v51
	v_min_i32_e32 v52, 31, v26
	v_cmp_gt_i32_e32 vcc_lo, 32, v26
	v_and_b32_sdwa v50, v50, v117 dst_sel:DWORD dst_unused:UNUSED_PAD src0_sel:BYTE_3 src1_sel:DWORD
	v_lshlrev_b32_e32 v52, 2, v52
	v_cndmask_b32_e32 v51, 3, v51, vcc_lo
	v_and_b32_e32 v52, 0xfc, v52
	v_and_b32_e32 v53, 3, v51
	v_or_b32_e32 v26, v26, v51
	v_or3_b32 v50, v52, v50, v53
	v_cmp_ne_u32_e32 vcc_lo, 0, v26
	v_cndmask_b32_e32 v26, 0, v50, vcc_lo
.LBB6_15441:                            ;   in Loop: Header=BB6_15150 Depth=3
	s_or_b32 exec_lo, exec_lo, s74
.LBB6_15442:                            ;   in Loop: Header=BB6_15150 Depth=3
	s_or_b32 exec_lo, exec_lo, s73
	v_cmp_gt_i16_sdwa s73, v37, v116 src0_sel:BYTE_3 src1_sel:DWORD
	s_mov_b32 s17, 0
	s_and_saveexec_b32 s74, s73
	s_xor_b32 s73, exec_lo, s74
	s_cbranch_execz .LBB6_15744
; %bb.15443:                            ;   in Loop: Header=BB6_15150 Depth=3
	v_cmp_eq_u16_sdwa s75, v37, v117 src0_sel:BYTE_3 src1_sel:DWORD
	s_mov_b32 s17, -1
	s_and_saveexec_b32 s74, s75
; %bb.15444:                            ;   in Loop: Header=BB6_15150 Depth=3
	s_xor_b32 s17, exec_lo, -1
; %bb.15445:                            ;   in Loop: Header=BB6_15150 Depth=3
	s_or_b32 exec_lo, exec_lo, s74
	s_and_b32 s17, s17, exec_lo
	s_or_saveexec_b32 s73, s73
	v_mov_b32_e32 v50, 0x7f800001
	s_xor_b32 exec_lo, exec_lo, s73
	s_cbranch_execnz .LBB6_15745
.LBB6_15446:                            ;   in Loop: Header=BB6_15150 Depth=3
	s_or_b32 exec_lo, exec_lo, s73
	s_and_saveexec_b32 s73, s17
	s_cbranch_execz .LBB6_15448
.LBB6_15447:                            ;   in Loop: Header=BB6_15150 Depth=3
	v_bfe_u32 v50, v37, 24, 2
	v_bfe_u32 v53, v37, 26, 5
	v_ffbh_u32_e32 v51, v50
	v_cmp_eq_u32_e32 vcc_lo, 0, v53
	v_min_u32_e32 v51, 32, v51
	v_subrev_nc_u32_e32 v52, 29, v51
	v_sub_nc_u32_e32 v51, 30, v51
	v_lshlrev_b32_sdwa v52, v52, v37 dst_sel:DWORD dst_unused:UNUSED_PAD src0_sel:DWORD src1_sel:BYTE_3
	v_cndmask_b32_e32 v51, v53, v51, vcc_lo
	v_and_b32_e32 v37, 0x80000000, v37
	v_and_b32_e32 v52, 3, v52
	v_lshl_add_u32 v51, v51, 23, 0x37800000
	v_cndmask_b32_e32 v50, v50, v52, vcc_lo
	v_lshlrev_b32_e32 v50, 21, v50
	v_or3_b32 v50, v37, v51, v50
.LBB6_15448:                            ;   in Loop: Header=BB6_15150 Depth=3
	s_or_b32 exec_lo, exec_lo, s73
	v_cmp_gt_i16_sdwa s73, v8, v116 src0_sel:BYTE_3 src1_sel:DWORD
	s_mov_b32 s17, 0
	s_and_saveexec_b32 s74, s73
	s_xor_b32 s73, exec_lo, s74
	s_cbranch_execz .LBB6_15746
; %bb.15449:                            ;   in Loop: Header=BB6_15150 Depth=3
	v_cmp_eq_u16_sdwa s75, v8, v117 src0_sel:BYTE_3 src1_sel:DWORD
	s_mov_b32 s17, -1
	s_and_saveexec_b32 s74, s75
; %bb.15450:                            ;   in Loop: Header=BB6_15150 Depth=3
	s_xor_b32 s17, exec_lo, -1
; %bb.15451:                            ;   in Loop: Header=BB6_15150 Depth=3
	s_or_b32 exec_lo, exec_lo, s74
	s_and_b32 s17, s17, exec_lo
	s_or_saveexec_b32 s73, s73
	v_mov_b32_e32 v37, 0x7f800001
	s_xor_b32 exec_lo, exec_lo, s73
	s_cbranch_execnz .LBB6_15747
.LBB6_15452:                            ;   in Loop: Header=BB6_15150 Depth=3
	s_or_b32 exec_lo, exec_lo, s73
	s_and_saveexec_b32 s73, s17
	s_cbranch_execz .LBB6_15454
.LBB6_15453:                            ;   in Loop: Header=BB6_15150 Depth=3
	v_mov_b32_e32 v37, 3
	v_bfe_u32 v53, v8, 26, 5
	v_and_b32_sdwa v37, v8, v37 dst_sel:DWORD dst_unused:UNUSED_PAD src0_sel:BYTE_3 src1_sel:DWORD
	v_cmp_eq_u32_e32 vcc_lo, 0, v53
	v_ffbh_u32_e32 v51, v37
	v_min_u32_e32 v51, 32, v51
	v_subrev_nc_u32_e32 v52, 29, v51
	v_sub_nc_u32_e32 v51, 30, v51
	v_lshlrev_b32_sdwa v52, v52, v8 dst_sel:DWORD dst_unused:UNUSED_PAD src0_sel:DWORD src1_sel:BYTE_3
	v_cndmask_b32_e32 v51, v53, v51, vcc_lo
	v_and_b32_e32 v8, 0x80000000, v8
	v_and_b32_e32 v52, 3, v52
	v_lshl_add_u32 v51, v51, 23, 0x37800000
	v_cndmask_b32_e32 v37, v37, v52, vcc_lo
	v_lshlrev_b32_e32 v37, 21, v37
	v_or3_b32 v37, v8, v51, v37
.LBB6_15454:                            ;   in Loop: Header=BB6_15150 Depth=3
	s_or_b32 exec_lo, exec_lo, s73
	v_add_f32_e32 v37, v50, v37
	v_and_b32_e32 v8, 0x7f800000, v37
	v_cmp_ne_u32_e32 vcc_lo, 0x7f800000, v8
	v_mov_b32_e32 v8, 0x8000
	s_and_saveexec_b32 s73, vcc_lo
	s_cbranch_execz .LBB6_15462
; %bb.15455:                            ;   in Loop: Header=BB6_15150 Depth=3
	v_mov_b32_e32 v8, 0
	s_mov_b32 s74, exec_lo
	v_cmpx_ne_u32_e32 0, v37
	s_cbranch_execz .LBB6_15461
; %bb.15456:                            ;   in Loop: Header=BB6_15150 Depth=3
	v_bfe_u32 v8, v37, 23, 8
	v_and_b32_e32 v50, 0x7fffff, v37
	v_sub_nc_u32_e32 v51, 0x70, v8
	v_cmp_gt_u32_e32 vcc_lo, 0x71, v8
	v_or_b32_e32 v52, 0x800000, v50
	v_cndmask_b32_e32 v51, 0, v51, vcc_lo
	v_cmp_eq_u32_e32 vcc_lo, 0, v8
	v_add_nc_u32_e32 v8, 0xffffff91, v8
	v_cndmask_b32_e64 v51, v51, 0x6f, vcc_lo
	v_cndmask_b32_e32 v50, v52, v50, vcc_lo
	v_cndmask_b32_e64 v8, v8, 0xffffff92, vcc_lo
	v_lshl_add_u32 v52, 0x200000, v51, -1
	v_lshrrev_b32_e32 v53, v51, v50
	v_lshlrev_b32_e64 v55, v51, 0x100000
	v_add_nc_u32_e32 v51, v51, v8
	v_and_b32_e32 v50, v52, v50
	v_bfe_u32 v54, v53, 21, 1
	v_cmp_eq_u32_e64 s17, v50, v55
	v_add_nc_u32_e32 v52, -1, v54
	v_cndmask_b32_e64 v50, 0, v52, s17
	v_lshrrev_b32_e32 v52, 23, v53
	s_mov_b32 s17, exec_lo
	v_add_nc_u32_e32 v50, v50, v53
	v_xor_b32_e32 v52, 1, v52
	v_and_b32_e32 v8, 0x1fffff, v50
	v_add_nc_u32_e32 v50, v8, v53
                                        ; implicit-def: $vgpr8
	v_cmpx_ne_u32_e64 v51, v52
	s_xor_b32 s17, exec_lo, s17
; %bb.15457:                            ;   in Loop: Header=BB6_15150 Depth=3
	v_cmp_lt_u32_e32 vcc_lo, 0xffffff, v50
	v_sub_nc_u32_e32 v8, v51, v52
	v_cndmask_b32_e64 v51, 0, 1, vcc_lo
	v_add_co_ci_u32_e64 v8, null, 0, v8, vcc_lo
	v_lshrrev_b32_e32 v50, v51, v50
; %bb.15458:                            ;   in Loop: Header=BB6_15150 Depth=3
	s_andn2_saveexec_b32 s17, s17
; %bb.15459:                            ;   in Loop: Header=BB6_15150 Depth=3
	v_bfe_u32 v8, v50, 23, 1
; %bb.15460:                            ;   in Loop: Header=BB6_15150 Depth=3
	s_or_b32 exec_lo, exec_lo, s17
	v_lshrrev_b32_e32 v50, 21, v50
	v_min_i32_e32 v51, 31, v8
	v_cmp_gt_i32_e32 vcc_lo, 32, v8
	v_and_b32_sdwa v37, v37, v117 dst_sel:DWORD dst_unused:UNUSED_PAD src0_sel:BYTE_3 src1_sel:DWORD
	v_lshlrev_b32_e32 v51, 2, v51
	v_cndmask_b32_e32 v50, 3, v50, vcc_lo
	v_and_b32_e32 v51, 0xfc, v51
	v_and_b32_e32 v52, 3, v50
	v_or_b32_e32 v8, v8, v50
	v_or3_b32 v37, v37, v51, v52
	v_cmp_ne_u32_e32 vcc_lo, 0, v8
	v_lshlrev_b32_e32 v37, 8, v37
	v_cndmask_b32_e32 v8, 0, v37, vcc_lo
.LBB6_15461:                            ;   in Loop: Header=BB6_15150 Depth=3
	s_or_b32 exec_lo, exec_lo, s74
.LBB6_15462:                            ;   in Loop: Header=BB6_15150 Depth=3
	s_or_b32 exec_lo, exec_lo, s73
	v_or_b32_e32 v37, v36, v30
	s_mov_b32 s17, 0
	v_cmp_gt_i16_sdwa s73, v37, v116 src0_sel:BYTE_0 src1_sel:DWORD
	s_and_saveexec_b32 s74, s73
	s_xor_b32 s73, exec_lo, s74
	s_cbranch_execz .LBB6_15748
; %bb.15463:                            ;   in Loop: Header=BB6_15150 Depth=3
	v_cmp_eq_u16_sdwa s75, v37, v117 src0_sel:BYTE_0 src1_sel:DWORD
	s_mov_b32 s17, -1
	s_and_saveexec_b32 s74, s75
; %bb.15464:                            ;   in Loop: Header=BB6_15150 Depth=3
	s_xor_b32 s17, exec_lo, -1
; %bb.15465:                            ;   in Loop: Header=BB6_15150 Depth=3
	s_or_b32 exec_lo, exec_lo, s74
	s_and_b32 s17, s17, exec_lo
	s_or_saveexec_b32 s73, s73
	v_mov_b32_e32 v30, 0x7f800001
	s_xor_b32 exec_lo, exec_lo, s73
	s_cbranch_execnz .LBB6_15749
.LBB6_15466:                            ;   in Loop: Header=BB6_15150 Depth=3
	s_or_b32 exec_lo, exec_lo, s73
	s_and_saveexec_b32 s73, s17
	s_cbranch_execz .LBB6_15468
.LBB6_15467:                            ;   in Loop: Header=BB6_15150 Depth=3
	v_and_b32_e32 v30, 3, v37
	v_bfe_u32 v51, v37, 2, 5
	v_lshlrev_b32_e32 v52, 24, v37
	v_ffbh_u32_e32 v36, v30
	v_cmp_eq_u32_e32 vcc_lo, 0, v51
	v_min_u32_e32 v36, 32, v36
	v_subrev_nc_u32_e32 v50, 29, v36
	v_sub_nc_u32_e32 v36, 30, v36
	v_lshlrev_b32_e32 v50, v50, v37
	v_cndmask_b32_e32 v36, v51, v36, vcc_lo
	v_and_b32_e32 v50, 3, v50
	v_lshl_add_u32 v36, v36, 23, 0x37800000
	v_cndmask_b32_e32 v30, v30, v50, vcc_lo
	v_and_b32_e32 v50, 0x80000000, v52
	v_lshlrev_b32_e32 v30, 21, v30
	v_or3_b32 v30, v50, v36, v30
.LBB6_15468:                            ;   in Loop: Header=BB6_15150 Depth=3
	s_or_b32 exec_lo, exec_lo, s73
	v_cmp_gt_i16_sdwa s73, v9, v116 src0_sel:BYTE_0 src1_sel:DWORD
	s_mov_b32 s17, 0
	s_and_saveexec_b32 s74, s73
	s_xor_b32 s73, exec_lo, s74
	s_cbranch_execz .LBB6_15750
; %bb.15469:                            ;   in Loop: Header=BB6_15150 Depth=3
	v_cmp_eq_u16_sdwa s75, v9, v117 src0_sel:BYTE_0 src1_sel:DWORD
	s_mov_b32 s17, -1
	s_and_saveexec_b32 s74, s75
; %bb.15470:                            ;   in Loop: Header=BB6_15150 Depth=3
	s_xor_b32 s17, exec_lo, -1
; %bb.15471:                            ;   in Loop: Header=BB6_15150 Depth=3
	s_or_b32 exec_lo, exec_lo, s74
	s_and_b32 s17, s17, exec_lo
	s_or_saveexec_b32 s73, s73
	v_mov_b32_e32 v36, 0x7f800001
	s_xor_b32 exec_lo, exec_lo, s73
	s_cbranch_execnz .LBB6_15751
.LBB6_15472:                            ;   in Loop: Header=BB6_15150 Depth=3
	s_or_b32 exec_lo, exec_lo, s73
	s_and_saveexec_b32 s73, s17
	s_cbranch_execz .LBB6_15474
.LBB6_15473:                            ;   in Loop: Header=BB6_15150 Depth=3
	v_and_b32_e32 v36, 3, v9
	v_bfe_u32 v52, v9, 2, 5
	v_lshlrev_b32_e32 v53, 24, v9
	v_ffbh_u32_e32 v50, v36
	v_cmp_eq_u32_e32 vcc_lo, 0, v52
	v_min_u32_e32 v50, 32, v50
	v_subrev_nc_u32_e32 v51, 29, v50
	v_sub_nc_u32_e32 v50, 30, v50
	v_lshlrev_b32_e32 v51, v51, v9
	v_cndmask_b32_e32 v50, v52, v50, vcc_lo
	v_and_b32_e32 v51, 3, v51
	v_lshl_add_u32 v50, v50, 23, 0x37800000
	v_cndmask_b32_e32 v36, v36, v51, vcc_lo
	v_and_b32_e32 v51, 0x80000000, v53
	v_lshlrev_b32_e32 v36, 21, v36
	v_or3_b32 v36, v51, v50, v36
.LBB6_15474:                            ;   in Loop: Header=BB6_15150 Depth=3
	s_or_b32 exec_lo, exec_lo, s73
	v_add_f32_e32 v36, v30, v36
	v_and_b32_e32 v30, 0x7f800000, v36
	v_cmp_ne_u32_e32 vcc_lo, 0x7f800000, v30
	v_mov_b32_e32 v30, 0x80
	s_and_saveexec_b32 s73, vcc_lo
	s_cbranch_execz .LBB6_15482
; %bb.15475:                            ;   in Loop: Header=BB6_15150 Depth=3
	v_mov_b32_e32 v30, 0
	s_mov_b32 s74, exec_lo
	v_cmpx_ne_u32_e32 0, v36
	s_cbranch_execz .LBB6_15481
; %bb.15476:                            ;   in Loop: Header=BB6_15150 Depth=3
	v_bfe_u32 v30, v36, 23, 8
	v_and_b32_e32 v50, 0x7fffff, v36
	v_sub_nc_u32_e32 v51, 0x70, v30
	v_cmp_gt_u32_e32 vcc_lo, 0x71, v30
	v_or_b32_e32 v52, 0x800000, v50
	v_cndmask_b32_e32 v51, 0, v51, vcc_lo
	v_cmp_eq_u32_e32 vcc_lo, 0, v30
	v_add_nc_u32_e32 v30, 0xffffff91, v30
	v_cndmask_b32_e64 v51, v51, 0x6f, vcc_lo
	v_cndmask_b32_e32 v50, v52, v50, vcc_lo
	v_cndmask_b32_e64 v30, v30, 0xffffff92, vcc_lo
	v_lshl_add_u32 v52, 0x200000, v51, -1
	v_lshrrev_b32_e32 v53, v51, v50
	v_lshlrev_b32_e64 v55, v51, 0x100000
	v_add_nc_u32_e32 v51, v51, v30
	v_and_b32_e32 v50, v52, v50
	v_bfe_u32 v54, v53, 21, 1
	v_cmp_eq_u32_e64 s17, v50, v55
	v_add_nc_u32_e32 v52, -1, v54
	v_cndmask_b32_e64 v50, 0, v52, s17
	v_lshrrev_b32_e32 v52, 23, v53
	s_mov_b32 s17, exec_lo
	v_add_nc_u32_e32 v50, v50, v53
	v_xor_b32_e32 v52, 1, v52
	v_and_b32_e32 v30, 0x1fffff, v50
	v_add_nc_u32_e32 v50, v30, v53
                                        ; implicit-def: $vgpr30
	v_cmpx_ne_u32_e64 v51, v52
	s_xor_b32 s17, exec_lo, s17
; %bb.15477:                            ;   in Loop: Header=BB6_15150 Depth=3
	v_cmp_lt_u32_e32 vcc_lo, 0xffffff, v50
	v_sub_nc_u32_e32 v30, v51, v52
	v_cndmask_b32_e64 v51, 0, 1, vcc_lo
	v_add_co_ci_u32_e64 v30, null, 0, v30, vcc_lo
	v_lshrrev_b32_e32 v50, v51, v50
; %bb.15478:                            ;   in Loop: Header=BB6_15150 Depth=3
	s_andn2_saveexec_b32 s17, s17
; %bb.15479:                            ;   in Loop: Header=BB6_15150 Depth=3
	v_bfe_u32 v30, v50, 23, 1
; %bb.15480:                            ;   in Loop: Header=BB6_15150 Depth=3
	s_or_b32 exec_lo, exec_lo, s17
	v_lshrrev_b32_e32 v50, 21, v50
	v_min_i32_e32 v51, 31, v30
	v_cmp_gt_i32_e32 vcc_lo, 32, v30
	v_and_b32_sdwa v36, v36, v117 dst_sel:DWORD dst_unused:UNUSED_PAD src0_sel:BYTE_3 src1_sel:DWORD
	v_lshlrev_b32_e32 v51, 2, v51
	v_cndmask_b32_e32 v50, 3, v50, vcc_lo
	v_and_b32_e32 v51, 0xfc, v51
	v_and_b32_e32 v52, 3, v50
	v_or_b32_e32 v30, v30, v50
	v_or3_b32 v36, v51, v36, v52
	v_cmp_ne_u32_e32 vcc_lo, 0, v30
	v_cndmask_b32_e32 v30, 0, v36, vcc_lo
.LBB6_15481:                            ;   in Loop: Header=BB6_15150 Depth=3
	s_or_b32 exec_lo, exec_lo, s74
.LBB6_15482:                            ;   in Loop: Header=BB6_15150 Depth=3
	s_or_b32 exec_lo, exec_lo, s73
	v_cmp_gt_i16_sdwa s73, v37, v116 src0_sel:BYTE_1 src1_sel:DWORD
	s_mov_b32 s17, 0
	s_and_saveexec_b32 s74, s73
	s_xor_b32 s73, exec_lo, s74
	s_cbranch_execz .LBB6_15752
; %bb.15483:                            ;   in Loop: Header=BB6_15150 Depth=3
	v_cmp_eq_u16_sdwa s75, v37, v117 src0_sel:BYTE_1 src1_sel:DWORD
	s_mov_b32 s17, -1
	s_and_saveexec_b32 s74, s75
; %bb.15484:                            ;   in Loop: Header=BB6_15150 Depth=3
	s_xor_b32 s17, exec_lo, -1
; %bb.15485:                            ;   in Loop: Header=BB6_15150 Depth=3
	s_or_b32 exec_lo, exec_lo, s74
	s_and_b32 s17, s17, exec_lo
	s_or_saveexec_b32 s73, s73
	v_mov_b32_e32 v36, 0x7f800001
	s_xor_b32 exec_lo, exec_lo, s73
	s_cbranch_execnz .LBB6_15753
.LBB6_15486:                            ;   in Loop: Header=BB6_15150 Depth=3
	s_or_b32 exec_lo, exec_lo, s73
	s_and_saveexec_b32 s73, s17
	s_cbranch_execz .LBB6_15488
.LBB6_15487:                            ;   in Loop: Header=BB6_15150 Depth=3
	v_and_b32_sdwa v36, v118, v37 dst_sel:DWORD dst_unused:UNUSED_PAD src0_sel:DWORD src1_sel:BYTE_1
	v_and_b32_e32 v50, 3, v36
	v_bfe_u32 v53, v36, 2, 5
	v_ffbh_u32_e32 v51, v50
	v_cmp_eq_u32_e32 vcc_lo, 0, v53
	v_min_u32_e32 v51, 32, v51
	v_subrev_nc_u32_e32 v52, 29, v51
	v_sub_nc_u32_e32 v51, 30, v51
	v_lshlrev_b32_e32 v36, v52, v36
	v_lshlrev_b32_sdwa v52, v119, v37 dst_sel:DWORD dst_unused:UNUSED_PAD src0_sel:DWORD src1_sel:BYTE_1
	v_cndmask_b32_e32 v51, v53, v51, vcc_lo
	v_and_b32_e32 v36, 3, v36
	v_lshl_add_u32 v51, v51, 23, 0x37800000
	v_cndmask_b32_e32 v36, v50, v36, vcc_lo
	v_and_b32_e32 v50, 0x80000000, v52
	v_lshlrev_b32_e32 v36, 21, v36
	v_or3_b32 v36, v50, v51, v36
.LBB6_15488:                            ;   in Loop: Header=BB6_15150 Depth=3
	s_or_b32 exec_lo, exec_lo, s73
	v_cmp_gt_i16_sdwa s73, v9, v116 src0_sel:BYTE_1 src1_sel:DWORD
	s_mov_b32 s17, 0
	s_and_saveexec_b32 s74, s73
	s_xor_b32 s73, exec_lo, s74
	s_cbranch_execz .LBB6_15754
; %bb.15489:                            ;   in Loop: Header=BB6_15150 Depth=3
	v_cmp_eq_u16_sdwa s75, v9, v117 src0_sel:BYTE_1 src1_sel:DWORD
	s_mov_b32 s17, -1
	s_and_saveexec_b32 s74, s75
; %bb.15490:                            ;   in Loop: Header=BB6_15150 Depth=3
	s_xor_b32 s17, exec_lo, -1
; %bb.15491:                            ;   in Loop: Header=BB6_15150 Depth=3
	s_or_b32 exec_lo, exec_lo, s74
	s_and_b32 s17, s17, exec_lo
	s_or_saveexec_b32 s73, s73
	v_mov_b32_e32 v50, 0x7f800001
	s_xor_b32 exec_lo, exec_lo, s73
	s_cbranch_execnz .LBB6_15755
.LBB6_15492:                            ;   in Loop: Header=BB6_15150 Depth=3
	s_or_b32 exec_lo, exec_lo, s73
	s_and_saveexec_b32 s73, s17
	s_cbranch_execz .LBB6_15494
.LBB6_15493:                            ;   in Loop: Header=BB6_15150 Depth=3
	v_and_b32_sdwa v50, v118, v9 dst_sel:DWORD dst_unused:UNUSED_PAD src0_sel:DWORD src1_sel:BYTE_1
	v_and_b32_e32 v51, 3, v50
	v_bfe_u32 v54, v50, 2, 5
	v_ffbh_u32_e32 v52, v51
	v_cmp_eq_u32_e32 vcc_lo, 0, v54
	v_min_u32_e32 v52, 32, v52
	v_subrev_nc_u32_e32 v53, 29, v52
	v_sub_nc_u32_e32 v52, 30, v52
	v_lshlrev_b32_e32 v50, v53, v50
	v_lshlrev_b32_sdwa v53, v119, v9 dst_sel:DWORD dst_unused:UNUSED_PAD src0_sel:DWORD src1_sel:BYTE_1
	v_cndmask_b32_e32 v52, v54, v52, vcc_lo
	v_and_b32_e32 v50, 3, v50
	v_lshl_add_u32 v52, v52, 23, 0x37800000
	v_cndmask_b32_e32 v50, v51, v50, vcc_lo
	v_and_b32_e32 v51, 0x80000000, v53
	v_lshlrev_b32_e32 v50, 21, v50
	v_or3_b32 v50, v51, v52, v50
.LBB6_15494:                            ;   in Loop: Header=BB6_15150 Depth=3
	s_or_b32 exec_lo, exec_lo, s73
	v_add_f32_e32 v50, v36, v50
	v_and_b32_e32 v36, 0x7f800000, v50
	v_cmp_ne_u32_e32 vcc_lo, 0x7f800000, v36
	v_mov_b32_e32 v36, 0x8000
	s_and_saveexec_b32 s73, vcc_lo
	s_cbranch_execz .LBB6_15502
; %bb.15495:                            ;   in Loop: Header=BB6_15150 Depth=3
	v_mov_b32_e32 v36, 0
	s_mov_b32 s74, exec_lo
	v_cmpx_ne_u32_e32 0, v50
	s_cbranch_execz .LBB6_15501
; %bb.15496:                            ;   in Loop: Header=BB6_15150 Depth=3
	v_bfe_u32 v36, v50, 23, 8
	v_and_b32_e32 v51, 0x7fffff, v50
	v_sub_nc_u32_e32 v52, 0x70, v36
	v_cmp_gt_u32_e32 vcc_lo, 0x71, v36
	v_or_b32_e32 v53, 0x800000, v51
	v_cndmask_b32_e32 v52, 0, v52, vcc_lo
	v_cmp_eq_u32_e32 vcc_lo, 0, v36
	v_add_nc_u32_e32 v36, 0xffffff91, v36
	v_cndmask_b32_e64 v52, v52, 0x6f, vcc_lo
	v_cndmask_b32_e32 v51, v53, v51, vcc_lo
	v_cndmask_b32_e64 v36, v36, 0xffffff92, vcc_lo
	v_lshl_add_u32 v53, 0x200000, v52, -1
	v_lshrrev_b32_e32 v54, v52, v51
	v_lshlrev_b32_e64 v66, v52, 0x100000
	v_add_nc_u32_e32 v52, v52, v36
	v_and_b32_e32 v51, v53, v51
	v_bfe_u32 v55, v54, 21, 1
	v_cmp_eq_u32_e64 s17, v51, v66
	v_add_nc_u32_e32 v53, -1, v55
	v_cndmask_b32_e64 v51, 0, v53, s17
	v_lshrrev_b32_e32 v53, 23, v54
	s_mov_b32 s17, exec_lo
	v_add_nc_u32_e32 v51, v51, v54
	v_xor_b32_e32 v53, 1, v53
	v_and_b32_e32 v36, 0x1fffff, v51
	v_add_nc_u32_e32 v51, v36, v54
                                        ; implicit-def: $vgpr36
	v_cmpx_ne_u32_e64 v52, v53
	s_xor_b32 s17, exec_lo, s17
; %bb.15497:                            ;   in Loop: Header=BB6_15150 Depth=3
	v_cmp_lt_u32_e32 vcc_lo, 0xffffff, v51
	v_sub_nc_u32_e32 v36, v52, v53
	v_cndmask_b32_e64 v52, 0, 1, vcc_lo
	v_add_co_ci_u32_e64 v36, null, 0, v36, vcc_lo
	v_lshrrev_b32_e32 v51, v52, v51
; %bb.15498:                            ;   in Loop: Header=BB6_15150 Depth=3
	s_andn2_saveexec_b32 s17, s17
; %bb.15499:                            ;   in Loop: Header=BB6_15150 Depth=3
	v_bfe_u32 v36, v51, 23, 1
; %bb.15500:                            ;   in Loop: Header=BB6_15150 Depth=3
	s_or_b32 exec_lo, exec_lo, s17
	v_lshrrev_b32_e32 v51, 21, v51
	v_min_i32_e32 v52, 31, v36
	v_cmp_gt_i32_e32 vcc_lo, 32, v36
	v_and_b32_sdwa v50, v50, v117 dst_sel:DWORD dst_unused:UNUSED_PAD src0_sel:BYTE_3 src1_sel:DWORD
	v_lshlrev_b32_e32 v52, 2, v52
	v_cndmask_b32_e32 v51, 3, v51, vcc_lo
	v_and_b32_e32 v52, 0xfc, v52
	v_and_b32_e32 v53, 3, v51
	v_or_b32_e32 v36, v36, v51
	v_or3_b32 v50, v50, v52, v53
	v_cmp_ne_u32_e32 vcc_lo, 0, v36
	v_lshlrev_b32_e32 v50, 8, v50
	v_cndmask_b32_e32 v36, 0, v50, vcc_lo
.LBB6_15501:                            ;   in Loop: Header=BB6_15150 Depth=3
	s_or_b32 exec_lo, exec_lo, s74
.LBB6_15502:                            ;   in Loop: Header=BB6_15150 Depth=3
	s_or_b32 exec_lo, exec_lo, s73
	v_or_b32_e32 v31, v31, v28
	s_mov_b32 s17, 0
	v_cmp_gt_i16_sdwa s73, v31, v116 src0_sel:BYTE_0 src1_sel:DWORD
	s_and_saveexec_b32 s74, s73
	s_xor_b32 s73, exec_lo, s74
	s_cbranch_execz .LBB6_15756
; %bb.15503:                            ;   in Loop: Header=BB6_15150 Depth=3
	v_cmp_eq_u16_sdwa s75, v31, v117 src0_sel:BYTE_0 src1_sel:DWORD
	s_mov_b32 s17, -1
	s_and_saveexec_b32 s74, s75
; %bb.15504:                            ;   in Loop: Header=BB6_15150 Depth=3
	s_xor_b32 s17, exec_lo, -1
; %bb.15505:                            ;   in Loop: Header=BB6_15150 Depth=3
	s_or_b32 exec_lo, exec_lo, s74
	s_and_b32 s17, s17, exec_lo
	s_or_saveexec_b32 s73, s73
	v_mov_b32_e32 v28, 0x7f800001
	s_xor_b32 exec_lo, exec_lo, s73
	s_cbranch_execnz .LBB6_15757
.LBB6_15506:                            ;   in Loop: Header=BB6_15150 Depth=3
	s_or_b32 exec_lo, exec_lo, s73
	v_lshl_or_b32 v31, v31, 16, v37
	s_and_saveexec_b32 s73, s17
	s_cbranch_execz .LBB6_15508
.LBB6_15507:                            ;   in Loop: Header=BB6_15150 Depth=3
	v_bfe_u32 v28, v31, 16, 2
	v_bfe_u32 v51, v31, 18, 5
	v_lshlrev_b32_e32 v52, 8, v31
	v_ffbh_u32_e32 v37, v28
	v_cmp_eq_u32_e32 vcc_lo, 0, v51
	v_min_u32_e32 v37, 32, v37
	v_subrev_nc_u32_e32 v50, 29, v37
	v_sub_nc_u32_e32 v37, 30, v37
	v_lshlrev_b32_sdwa v50, v50, v31 dst_sel:DWORD dst_unused:UNUSED_PAD src0_sel:DWORD src1_sel:WORD_1
	v_cndmask_b32_e32 v37, v51, v37, vcc_lo
	v_and_b32_e32 v50, 3, v50
	v_lshl_add_u32 v37, v37, 23, 0x37800000
	v_cndmask_b32_e32 v28, v28, v50, vcc_lo
	v_and_b32_e32 v50, 0x80000000, v52
	v_lshlrev_b32_e32 v28, 21, v28
	v_or3_b32 v28, v50, v37, v28
.LBB6_15508:                            ;   in Loop: Header=BB6_15150 Depth=3
	s_or_b32 exec_lo, exec_lo, s73
	v_and_b32_sdwa v50, v9, v40 dst_sel:DWORD dst_unused:UNUSED_PAD src0_sel:WORD_1 src1_sel:DWORD
	s_mov_b32 s17, 0
	s_mov_b32 s73, exec_lo
	v_cmpx_lt_i16_e32 0x7f, v50
	s_xor_b32 s73, exec_lo, s73
	s_cbranch_execz .LBB6_15758
; %bb.15509:                            ;   in Loop: Header=BB6_15150 Depth=3
	s_mov_b32 s17, -1
	s_mov_b32 s74, exec_lo
	v_cmpx_eq_u16_e32 0x80, v50
; %bb.15510:                            ;   in Loop: Header=BB6_15150 Depth=3
	s_xor_b32 s17, exec_lo, -1
; %bb.15511:                            ;   in Loop: Header=BB6_15150 Depth=3
	s_or_b32 exec_lo, exec_lo, s74
	s_and_b32 s17, s17, exec_lo
                                        ; implicit-def: $vgpr50
	s_or_saveexec_b32 s73, s73
	v_mov_b32_e32 v37, 0x7f800001
	s_xor_b32 exec_lo, exec_lo, s73
	s_cbranch_execnz .LBB6_15759
.LBB6_15512:                            ;   in Loop: Header=BB6_15150 Depth=3
	s_or_b32 exec_lo, exec_lo, s73
	s_and_saveexec_b32 s73, s17
	s_cbranch_execz .LBB6_15514
.LBB6_15513:                            ;   in Loop: Header=BB6_15150 Depth=3
	v_mov_b32_e32 v37, 3
	v_bfe_u32 v52, v9, 18, 5
	v_lshlrev_b32_sdwa v53, v119, v9 dst_sel:DWORD dst_unused:UNUSED_PAD src0_sel:DWORD src1_sel:WORD_1
	v_and_b32_sdwa v37, v9, v37 dst_sel:DWORD dst_unused:UNUSED_PAD src0_sel:WORD_1 src1_sel:DWORD
	v_cmp_eq_u32_e32 vcc_lo, 0, v52
	v_ffbh_u32_e32 v50, v37
	v_min_u32_e32 v50, 32, v50
	v_subrev_nc_u32_e32 v51, 29, v50
	v_sub_nc_u32_e32 v50, 30, v50
	v_lshlrev_b32_sdwa v51, v51, v9 dst_sel:DWORD dst_unused:UNUSED_PAD src0_sel:DWORD src1_sel:WORD_1
	v_cndmask_b32_e32 v50, v52, v50, vcc_lo
	v_and_b32_e32 v51, 3, v51
	v_lshl_add_u32 v50, v50, 23, 0x37800000
	v_cndmask_b32_e32 v37, v37, v51, vcc_lo
	v_and_b32_e32 v51, 0x80000000, v53
	v_lshlrev_b32_e32 v37, 21, v37
	v_or3_b32 v37, v51, v50, v37
.LBB6_15514:                            ;   in Loop: Header=BB6_15150 Depth=3
	s_or_b32 exec_lo, exec_lo, s73
	v_add_f32_e32 v37, v28, v37
	v_and_b32_e32 v28, 0x7f800000, v37
	v_cmp_ne_u32_e32 vcc_lo, 0x7f800000, v28
	v_mov_b32_e32 v28, 0x80
	s_and_saveexec_b32 s73, vcc_lo
	s_cbranch_execz .LBB6_15522
; %bb.15515:                            ;   in Loop: Header=BB6_15150 Depth=3
	v_mov_b32_e32 v28, 0
	s_mov_b32 s74, exec_lo
	v_cmpx_ne_u32_e32 0, v37
	s_cbranch_execz .LBB6_15521
; %bb.15516:                            ;   in Loop: Header=BB6_15150 Depth=3
	v_bfe_u32 v28, v37, 23, 8
	v_and_b32_e32 v50, 0x7fffff, v37
	v_sub_nc_u32_e32 v51, 0x70, v28
	v_cmp_gt_u32_e32 vcc_lo, 0x71, v28
	v_or_b32_e32 v52, 0x800000, v50
	v_cndmask_b32_e32 v51, 0, v51, vcc_lo
	v_cmp_eq_u32_e32 vcc_lo, 0, v28
	v_add_nc_u32_e32 v28, 0xffffff91, v28
	v_cndmask_b32_e64 v51, v51, 0x6f, vcc_lo
	v_cndmask_b32_e32 v50, v52, v50, vcc_lo
	v_cndmask_b32_e64 v28, v28, 0xffffff92, vcc_lo
	v_lshl_add_u32 v52, 0x200000, v51, -1
	v_lshrrev_b32_e32 v53, v51, v50
	v_lshlrev_b32_e64 v55, v51, 0x100000
	v_add_nc_u32_e32 v51, v51, v28
	v_and_b32_e32 v50, v52, v50
	v_bfe_u32 v54, v53, 21, 1
	v_cmp_eq_u32_e64 s17, v50, v55
	v_add_nc_u32_e32 v52, -1, v54
	v_cndmask_b32_e64 v50, 0, v52, s17
	v_lshrrev_b32_e32 v52, 23, v53
	s_mov_b32 s17, exec_lo
	v_add_nc_u32_e32 v50, v50, v53
	v_xor_b32_e32 v52, 1, v52
	v_and_b32_e32 v28, 0x1fffff, v50
	v_add_nc_u32_e32 v50, v28, v53
                                        ; implicit-def: $vgpr28
	v_cmpx_ne_u32_e64 v51, v52
	s_xor_b32 s17, exec_lo, s17
; %bb.15517:                            ;   in Loop: Header=BB6_15150 Depth=3
	v_cmp_lt_u32_e32 vcc_lo, 0xffffff, v50
	v_sub_nc_u32_e32 v28, v51, v52
	v_cndmask_b32_e64 v51, 0, 1, vcc_lo
	v_add_co_ci_u32_e64 v28, null, 0, v28, vcc_lo
	v_lshrrev_b32_e32 v50, v51, v50
; %bb.15518:                            ;   in Loop: Header=BB6_15150 Depth=3
	s_andn2_saveexec_b32 s17, s17
; %bb.15519:                            ;   in Loop: Header=BB6_15150 Depth=3
	v_bfe_u32 v28, v50, 23, 1
; %bb.15520:                            ;   in Loop: Header=BB6_15150 Depth=3
	s_or_b32 exec_lo, exec_lo, s17
	v_lshrrev_b32_e32 v50, 21, v50
	v_min_i32_e32 v51, 31, v28
	v_cmp_gt_i32_e32 vcc_lo, 32, v28
	v_and_b32_sdwa v37, v37, v117 dst_sel:DWORD dst_unused:UNUSED_PAD src0_sel:BYTE_3 src1_sel:DWORD
	v_lshlrev_b32_e32 v51, 2, v51
	v_cndmask_b32_e32 v50, 3, v50, vcc_lo
	v_and_b32_e32 v51, 0xfc, v51
	v_and_b32_e32 v52, 3, v50
	v_or_b32_e32 v28, v28, v50
	v_or3_b32 v37, v51, v37, v52
	v_cmp_ne_u32_e32 vcc_lo, 0, v28
	v_cndmask_b32_e32 v28, 0, v37, vcc_lo
.LBB6_15521:                            ;   in Loop: Header=BB6_15150 Depth=3
	s_or_b32 exec_lo, exec_lo, s74
.LBB6_15522:                            ;   in Loop: Header=BB6_15150 Depth=3
	s_or_b32 exec_lo, exec_lo, s73
	v_cmp_gt_i16_sdwa s73, v31, v116 src0_sel:BYTE_3 src1_sel:DWORD
	s_mov_b32 s17, 0
	s_and_saveexec_b32 s74, s73
	s_xor_b32 s73, exec_lo, s74
	s_cbranch_execz .LBB6_15760
; %bb.15523:                            ;   in Loop: Header=BB6_15150 Depth=3
	v_cmp_eq_u16_sdwa s75, v31, v117 src0_sel:BYTE_3 src1_sel:DWORD
	s_mov_b32 s17, -1
	s_and_saveexec_b32 s74, s75
; %bb.15524:                            ;   in Loop: Header=BB6_15150 Depth=3
	s_xor_b32 s17, exec_lo, -1
; %bb.15525:                            ;   in Loop: Header=BB6_15150 Depth=3
	s_or_b32 exec_lo, exec_lo, s74
	s_and_b32 s17, s17, exec_lo
	s_or_saveexec_b32 s73, s73
	v_mov_b32_e32 v37, 0x7f800001
	s_xor_b32 exec_lo, exec_lo, s73
	s_cbranch_execnz .LBB6_15761
.LBB6_15526:                            ;   in Loop: Header=BB6_15150 Depth=3
	s_or_b32 exec_lo, exec_lo, s73
	s_and_saveexec_b32 s73, s17
	s_cbranch_execz .LBB6_15528
.LBB6_15527:                            ;   in Loop: Header=BB6_15150 Depth=3
	v_bfe_u32 v37, v31, 24, 2
	v_bfe_u32 v52, v31, 26, 5
	v_ffbh_u32_e32 v50, v37
	v_cmp_eq_u32_e32 vcc_lo, 0, v52
	v_min_u32_e32 v50, 32, v50
	v_subrev_nc_u32_e32 v51, 29, v50
	v_sub_nc_u32_e32 v50, 30, v50
	v_lshlrev_b32_sdwa v51, v51, v31 dst_sel:DWORD dst_unused:UNUSED_PAD src0_sel:DWORD src1_sel:BYTE_3
	v_cndmask_b32_e32 v50, v52, v50, vcc_lo
	v_and_b32_e32 v31, 0x80000000, v31
	v_and_b32_e32 v51, 3, v51
	v_lshl_add_u32 v50, v50, 23, 0x37800000
	v_cndmask_b32_e32 v37, v37, v51, vcc_lo
	v_lshlrev_b32_e32 v37, 21, v37
	v_or3_b32 v37, v31, v50, v37
.LBB6_15528:                            ;   in Loop: Header=BB6_15150 Depth=3
	s_or_b32 exec_lo, exec_lo, s73
	v_cmp_gt_i16_sdwa s73, v9, v116 src0_sel:BYTE_3 src1_sel:DWORD
	s_mov_b32 s17, 0
	s_and_saveexec_b32 s74, s73
	s_xor_b32 s73, exec_lo, s74
	s_cbranch_execz .LBB6_15762
; %bb.15529:                            ;   in Loop: Header=BB6_15150 Depth=3
	v_cmp_eq_u16_sdwa s75, v9, v117 src0_sel:BYTE_3 src1_sel:DWORD
	s_mov_b32 s17, -1
	s_and_saveexec_b32 s74, s75
; %bb.15530:                            ;   in Loop: Header=BB6_15150 Depth=3
	s_xor_b32 s17, exec_lo, -1
; %bb.15531:                            ;   in Loop: Header=BB6_15150 Depth=3
	s_or_b32 exec_lo, exec_lo, s74
	s_and_b32 s17, s17, exec_lo
	s_or_saveexec_b32 s73, s73
	v_mov_b32_e32 v31, 0x7f800001
	s_xor_b32 exec_lo, exec_lo, s73
	s_cbranch_execnz .LBB6_15763
.LBB6_15532:                            ;   in Loop: Header=BB6_15150 Depth=3
	s_or_b32 exec_lo, exec_lo, s73
	s_and_saveexec_b32 s73, s17
	s_cbranch_execz .LBB6_15534
.LBB6_15533:                            ;   in Loop: Header=BB6_15150 Depth=3
	v_mov_b32_e32 v31, 3
	v_bfe_u32 v52, v9, 26, 5
	v_and_b32_sdwa v31, v9, v31 dst_sel:DWORD dst_unused:UNUSED_PAD src0_sel:BYTE_3 src1_sel:DWORD
	v_cmp_eq_u32_e32 vcc_lo, 0, v52
	v_ffbh_u32_e32 v50, v31
	v_min_u32_e32 v50, 32, v50
	v_subrev_nc_u32_e32 v51, 29, v50
	v_sub_nc_u32_e32 v50, 30, v50
	v_lshlrev_b32_sdwa v51, v51, v9 dst_sel:DWORD dst_unused:UNUSED_PAD src0_sel:DWORD src1_sel:BYTE_3
	v_cndmask_b32_e32 v50, v52, v50, vcc_lo
	v_and_b32_e32 v9, 0x80000000, v9
	v_and_b32_e32 v51, 3, v51
	v_lshl_add_u32 v50, v50, 23, 0x37800000
	v_cndmask_b32_e32 v31, v31, v51, vcc_lo
	v_lshlrev_b32_e32 v31, 21, v31
	v_or3_b32 v31, v9, v50, v31
.LBB6_15534:                            ;   in Loop: Header=BB6_15150 Depth=3
	s_or_b32 exec_lo, exec_lo, s73
	v_add_f32_e32 v31, v37, v31
	v_and_b32_e32 v9, 0x7f800000, v31
	v_cmp_ne_u32_e32 vcc_lo, 0x7f800000, v9
	v_mov_b32_e32 v9, 0x8000
	s_and_saveexec_b32 s73, vcc_lo
	s_cbranch_execz .LBB6_15542
; %bb.15535:                            ;   in Loop: Header=BB6_15150 Depth=3
	v_mov_b32_e32 v9, 0
	s_mov_b32 s74, exec_lo
	v_cmpx_ne_u32_e32 0, v31
	s_cbranch_execz .LBB6_15541
; %bb.15536:                            ;   in Loop: Header=BB6_15150 Depth=3
	v_bfe_u32 v9, v31, 23, 8
	v_and_b32_e32 v37, 0x7fffff, v31
	v_sub_nc_u32_e32 v50, 0x70, v9
	v_cmp_gt_u32_e32 vcc_lo, 0x71, v9
	v_or_b32_e32 v51, 0x800000, v37
	v_cndmask_b32_e32 v50, 0, v50, vcc_lo
	v_cmp_eq_u32_e32 vcc_lo, 0, v9
	v_add_nc_u32_e32 v9, 0xffffff91, v9
	v_cndmask_b32_e64 v50, v50, 0x6f, vcc_lo
	v_cndmask_b32_e32 v37, v51, v37, vcc_lo
	v_cndmask_b32_e64 v9, v9, 0xffffff92, vcc_lo
	v_lshl_add_u32 v51, 0x200000, v50, -1
	v_lshrrev_b32_e32 v52, v50, v37
	v_lshlrev_b32_e64 v54, v50, 0x100000
	v_add_nc_u32_e32 v50, v50, v9
	v_and_b32_e32 v37, v51, v37
	v_bfe_u32 v53, v52, 21, 1
	v_cmp_eq_u32_e64 s17, v37, v54
	v_add_nc_u32_e32 v51, -1, v53
	v_cndmask_b32_e64 v37, 0, v51, s17
	v_lshrrev_b32_e32 v51, 23, v52
	s_mov_b32 s17, exec_lo
	v_add_nc_u32_e32 v37, v37, v52
	v_xor_b32_e32 v51, 1, v51
	v_and_b32_e32 v9, 0x1fffff, v37
	v_add_nc_u32_e32 v37, v9, v52
                                        ; implicit-def: $vgpr9
	v_cmpx_ne_u32_e64 v50, v51
	s_xor_b32 s17, exec_lo, s17
; %bb.15537:                            ;   in Loop: Header=BB6_15150 Depth=3
	v_cmp_lt_u32_e32 vcc_lo, 0xffffff, v37
	v_sub_nc_u32_e32 v9, v50, v51
	v_cndmask_b32_e64 v50, 0, 1, vcc_lo
	v_add_co_ci_u32_e64 v9, null, 0, v9, vcc_lo
	v_lshrrev_b32_e32 v37, v50, v37
; %bb.15538:                            ;   in Loop: Header=BB6_15150 Depth=3
	s_andn2_saveexec_b32 s17, s17
; %bb.15539:                            ;   in Loop: Header=BB6_15150 Depth=3
	v_bfe_u32 v9, v37, 23, 1
; %bb.15540:                            ;   in Loop: Header=BB6_15150 Depth=3
	s_or_b32 exec_lo, exec_lo, s17
	v_lshrrev_b32_e32 v37, 21, v37
	v_min_i32_e32 v50, 31, v9
	v_cmp_gt_i32_e32 vcc_lo, 32, v9
	v_and_b32_sdwa v31, v31, v117 dst_sel:DWORD dst_unused:UNUSED_PAD src0_sel:BYTE_3 src1_sel:DWORD
	v_lshlrev_b32_e32 v50, 2, v50
	v_cndmask_b32_e32 v37, 3, v37, vcc_lo
	v_and_b32_e32 v50, 0xfc, v50
	v_and_b32_e32 v51, 3, v37
	v_or_b32_e32 v9, v9, v37
	v_or3_b32 v31, v31, v50, v51
	v_cmp_ne_u32_e32 vcc_lo, 0, v9
	v_lshlrev_b32_e32 v31, 8, v31
	v_cndmask_b32_e32 v9, 0, v31, vcc_lo
.LBB6_15541:                            ;   in Loop: Header=BB6_15150 Depth=3
	s_or_b32 exec_lo, exec_lo, s74
.LBB6_15542:                            ;   in Loop: Header=BB6_15150 Depth=3
	s_or_b32 exec_lo, exec_lo, s73
	v_or_b32_e32 v31, v29, v25
	s_mov_b32 s17, 0
	v_cmp_gt_i16_sdwa s73, v31, v116 src0_sel:BYTE_0 src1_sel:DWORD
	s_and_saveexec_b32 s74, s73
	s_xor_b32 s73, exec_lo, s74
	s_cbranch_execz .LBB6_15764
; %bb.15543:                            ;   in Loop: Header=BB6_15150 Depth=3
	v_cmp_eq_u16_sdwa s75, v31, v117 src0_sel:BYTE_0 src1_sel:DWORD
	s_mov_b32 s17, -1
	s_and_saveexec_b32 s74, s75
; %bb.15544:                            ;   in Loop: Header=BB6_15150 Depth=3
	s_xor_b32 s17, exec_lo, -1
; %bb.15545:                            ;   in Loop: Header=BB6_15150 Depth=3
	s_or_b32 exec_lo, exec_lo, s74
	s_and_b32 s17, s17, exec_lo
	s_or_saveexec_b32 s73, s73
	v_mov_b32_e32 v25, 0x7f800001
	s_xor_b32 exec_lo, exec_lo, s73
	s_cbranch_execnz .LBB6_15765
.LBB6_15546:                            ;   in Loop: Header=BB6_15150 Depth=3
	s_or_b32 exec_lo, exec_lo, s73
	s_and_saveexec_b32 s73, s17
	s_cbranch_execz .LBB6_15548
.LBB6_15547:                            ;   in Loop: Header=BB6_15150 Depth=3
	v_and_b32_e32 v25, 3, v31
	v_bfe_u32 v50, v31, 2, 5
	v_lshlrev_b32_e32 v51, 24, v31
	v_ffbh_u32_e32 v29, v25
	v_cmp_eq_u32_e32 vcc_lo, 0, v50
	v_min_u32_e32 v29, 32, v29
	v_subrev_nc_u32_e32 v37, 29, v29
	v_sub_nc_u32_e32 v29, 30, v29
	v_lshlrev_b32_e32 v37, v37, v31
	v_cndmask_b32_e32 v29, v50, v29, vcc_lo
	v_and_b32_e32 v37, 3, v37
	v_lshl_add_u32 v29, v29, 23, 0x37800000
	v_cndmask_b32_e32 v25, v25, v37, vcc_lo
	v_and_b32_e32 v37, 0x80000000, v51
	v_lshlrev_b32_e32 v25, 21, v25
	v_or3_b32 v25, v37, v29, v25
.LBB6_15548:                            ;   in Loop: Header=BB6_15150 Depth=3
	s_or_b32 exec_lo, exec_lo, s73
	v_cmp_gt_i16_sdwa s73, v10, v116 src0_sel:BYTE_0 src1_sel:DWORD
	s_mov_b32 s17, 0
	s_and_saveexec_b32 s74, s73
	s_xor_b32 s73, exec_lo, s74
	s_cbranch_execz .LBB6_15766
; %bb.15549:                            ;   in Loop: Header=BB6_15150 Depth=3
	v_cmp_eq_u16_sdwa s75, v10, v117 src0_sel:BYTE_0 src1_sel:DWORD
	s_mov_b32 s17, -1
	s_and_saveexec_b32 s74, s75
; %bb.15550:                            ;   in Loop: Header=BB6_15150 Depth=3
	s_xor_b32 s17, exec_lo, -1
; %bb.15551:                            ;   in Loop: Header=BB6_15150 Depth=3
	s_or_b32 exec_lo, exec_lo, s74
	s_and_b32 s17, s17, exec_lo
	s_or_saveexec_b32 s73, s73
	v_mov_b32_e32 v29, 0x7f800001
	s_xor_b32 exec_lo, exec_lo, s73
	s_cbranch_execnz .LBB6_15767
.LBB6_15552:                            ;   in Loop: Header=BB6_15150 Depth=3
	s_or_b32 exec_lo, exec_lo, s73
	s_and_saveexec_b32 s73, s17
	s_cbranch_execz .LBB6_15554
.LBB6_15553:                            ;   in Loop: Header=BB6_15150 Depth=3
	v_and_b32_e32 v29, 3, v10
	v_bfe_u32 v51, v10, 2, 5
	v_lshlrev_b32_e32 v52, 24, v10
	v_ffbh_u32_e32 v37, v29
	v_cmp_eq_u32_e32 vcc_lo, 0, v51
	v_min_u32_e32 v37, 32, v37
	v_subrev_nc_u32_e32 v50, 29, v37
	v_sub_nc_u32_e32 v37, 30, v37
	v_lshlrev_b32_e32 v50, v50, v10
	v_cndmask_b32_e32 v37, v51, v37, vcc_lo
	v_and_b32_e32 v50, 3, v50
	v_lshl_add_u32 v37, v37, 23, 0x37800000
	v_cndmask_b32_e32 v29, v29, v50, vcc_lo
	v_and_b32_e32 v50, 0x80000000, v52
	v_lshlrev_b32_e32 v29, 21, v29
	v_or3_b32 v29, v50, v37, v29
.LBB6_15554:                            ;   in Loop: Header=BB6_15150 Depth=3
	s_or_b32 exec_lo, exec_lo, s73
	v_add_f32_e32 v29, v25, v29
	v_and_b32_e32 v25, 0x7f800000, v29
	v_cmp_ne_u32_e32 vcc_lo, 0x7f800000, v25
	v_mov_b32_e32 v25, 0x80
	s_and_saveexec_b32 s73, vcc_lo
	s_cbranch_execz .LBB6_15562
; %bb.15555:                            ;   in Loop: Header=BB6_15150 Depth=3
	v_mov_b32_e32 v25, 0
	s_mov_b32 s74, exec_lo
	v_cmpx_ne_u32_e32 0, v29
	s_cbranch_execz .LBB6_15561
; %bb.15556:                            ;   in Loop: Header=BB6_15150 Depth=3
	v_bfe_u32 v25, v29, 23, 8
	v_and_b32_e32 v37, 0x7fffff, v29
	v_sub_nc_u32_e32 v50, 0x70, v25
	v_cmp_gt_u32_e32 vcc_lo, 0x71, v25
	v_or_b32_e32 v51, 0x800000, v37
	v_cndmask_b32_e32 v50, 0, v50, vcc_lo
	v_cmp_eq_u32_e32 vcc_lo, 0, v25
	v_add_nc_u32_e32 v25, 0xffffff91, v25
	v_cndmask_b32_e64 v50, v50, 0x6f, vcc_lo
	v_cndmask_b32_e32 v37, v51, v37, vcc_lo
	v_cndmask_b32_e64 v25, v25, 0xffffff92, vcc_lo
	v_lshl_add_u32 v51, 0x200000, v50, -1
	v_lshrrev_b32_e32 v52, v50, v37
	v_lshlrev_b32_e64 v54, v50, 0x100000
	v_add_nc_u32_e32 v50, v50, v25
	v_and_b32_e32 v37, v51, v37
	v_bfe_u32 v53, v52, 21, 1
	v_cmp_eq_u32_e64 s17, v37, v54
	v_add_nc_u32_e32 v51, -1, v53
	v_cndmask_b32_e64 v37, 0, v51, s17
	v_lshrrev_b32_e32 v51, 23, v52
	s_mov_b32 s17, exec_lo
	v_add_nc_u32_e32 v37, v37, v52
	v_xor_b32_e32 v51, 1, v51
	v_and_b32_e32 v25, 0x1fffff, v37
	v_add_nc_u32_e32 v37, v25, v52
                                        ; implicit-def: $vgpr25
	v_cmpx_ne_u32_e64 v50, v51
	s_xor_b32 s17, exec_lo, s17
; %bb.15557:                            ;   in Loop: Header=BB6_15150 Depth=3
	v_cmp_lt_u32_e32 vcc_lo, 0xffffff, v37
	v_sub_nc_u32_e32 v25, v50, v51
	v_cndmask_b32_e64 v50, 0, 1, vcc_lo
	v_add_co_ci_u32_e64 v25, null, 0, v25, vcc_lo
	v_lshrrev_b32_e32 v37, v50, v37
; %bb.15558:                            ;   in Loop: Header=BB6_15150 Depth=3
	s_andn2_saveexec_b32 s17, s17
; %bb.15559:                            ;   in Loop: Header=BB6_15150 Depth=3
	v_bfe_u32 v25, v37, 23, 1
; %bb.15560:                            ;   in Loop: Header=BB6_15150 Depth=3
	s_or_b32 exec_lo, exec_lo, s17
	v_lshrrev_b32_e32 v37, 21, v37
	v_min_i32_e32 v50, 31, v25
	v_cmp_gt_i32_e32 vcc_lo, 32, v25
	v_and_b32_sdwa v29, v29, v117 dst_sel:DWORD dst_unused:UNUSED_PAD src0_sel:BYTE_3 src1_sel:DWORD
	v_lshlrev_b32_e32 v50, 2, v50
	v_cndmask_b32_e32 v37, 3, v37, vcc_lo
	v_and_b32_e32 v50, 0xfc, v50
	v_and_b32_e32 v51, 3, v37
	v_or_b32_e32 v25, v25, v37
	v_or3_b32 v29, v50, v29, v51
	v_cmp_ne_u32_e32 vcc_lo, 0, v25
	v_cndmask_b32_e32 v25, 0, v29, vcc_lo
.LBB6_15561:                            ;   in Loop: Header=BB6_15150 Depth=3
	s_or_b32 exec_lo, exec_lo, s74
.LBB6_15562:                            ;   in Loop: Header=BB6_15150 Depth=3
	s_or_b32 exec_lo, exec_lo, s73
	v_cmp_gt_i16_sdwa s73, v31, v116 src0_sel:BYTE_1 src1_sel:DWORD
	s_mov_b32 s17, 0
	s_and_saveexec_b32 s74, s73
	s_xor_b32 s73, exec_lo, s74
	s_cbranch_execz .LBB6_15768
; %bb.15563:                            ;   in Loop: Header=BB6_15150 Depth=3
	v_cmp_eq_u16_sdwa s75, v31, v117 src0_sel:BYTE_1 src1_sel:DWORD
	s_mov_b32 s17, -1
	s_and_saveexec_b32 s74, s75
; %bb.15564:                            ;   in Loop: Header=BB6_15150 Depth=3
	s_xor_b32 s17, exec_lo, -1
; %bb.15565:                            ;   in Loop: Header=BB6_15150 Depth=3
	s_or_b32 exec_lo, exec_lo, s74
	s_and_b32 s17, s17, exec_lo
	s_or_saveexec_b32 s73, s73
	v_mov_b32_e32 v29, 0x7f800001
	s_xor_b32 exec_lo, exec_lo, s73
	s_cbranch_execnz .LBB6_15769
.LBB6_15566:                            ;   in Loop: Header=BB6_15150 Depth=3
	s_or_b32 exec_lo, exec_lo, s73
	s_and_saveexec_b32 s73, s17
	s_cbranch_execz .LBB6_15568
.LBB6_15567:                            ;   in Loop: Header=BB6_15150 Depth=3
	v_and_b32_sdwa v29, v118, v31 dst_sel:DWORD dst_unused:UNUSED_PAD src0_sel:DWORD src1_sel:BYTE_1
	v_and_b32_e32 v37, 3, v29
	v_bfe_u32 v52, v29, 2, 5
	v_ffbh_u32_e32 v50, v37
	v_cmp_eq_u32_e32 vcc_lo, 0, v52
	v_min_u32_e32 v50, 32, v50
	v_subrev_nc_u32_e32 v51, 29, v50
	v_sub_nc_u32_e32 v50, 30, v50
	v_lshlrev_b32_e32 v29, v51, v29
	v_lshlrev_b32_sdwa v51, v119, v31 dst_sel:DWORD dst_unused:UNUSED_PAD src0_sel:DWORD src1_sel:BYTE_1
	v_cndmask_b32_e32 v50, v52, v50, vcc_lo
	v_and_b32_e32 v29, 3, v29
	v_lshl_add_u32 v50, v50, 23, 0x37800000
	v_cndmask_b32_e32 v29, v37, v29, vcc_lo
	v_and_b32_e32 v37, 0x80000000, v51
	v_lshlrev_b32_e32 v29, 21, v29
	v_or3_b32 v29, v37, v50, v29
.LBB6_15568:                            ;   in Loop: Header=BB6_15150 Depth=3
	s_or_b32 exec_lo, exec_lo, s73
	v_cmp_gt_i16_sdwa s73, v10, v116 src0_sel:BYTE_1 src1_sel:DWORD
	s_mov_b32 s17, 0
	s_and_saveexec_b32 s74, s73
	s_xor_b32 s73, exec_lo, s74
	s_cbranch_execz .LBB6_15770
; %bb.15569:                            ;   in Loop: Header=BB6_15150 Depth=3
	v_cmp_eq_u16_sdwa s75, v10, v117 src0_sel:BYTE_1 src1_sel:DWORD
	s_mov_b32 s17, -1
	s_and_saveexec_b32 s74, s75
; %bb.15570:                            ;   in Loop: Header=BB6_15150 Depth=3
	s_xor_b32 s17, exec_lo, -1
; %bb.15571:                            ;   in Loop: Header=BB6_15150 Depth=3
	s_or_b32 exec_lo, exec_lo, s74
	s_and_b32 s17, s17, exec_lo
	s_or_saveexec_b32 s73, s73
	v_mov_b32_e32 v37, 0x7f800001
	s_xor_b32 exec_lo, exec_lo, s73
	s_cbranch_execnz .LBB6_15771
.LBB6_15572:                            ;   in Loop: Header=BB6_15150 Depth=3
	s_or_b32 exec_lo, exec_lo, s73
	s_and_saveexec_b32 s73, s17
	s_cbranch_execz .LBB6_15574
.LBB6_15573:                            ;   in Loop: Header=BB6_15150 Depth=3
	v_and_b32_sdwa v37, v118, v10 dst_sel:DWORD dst_unused:UNUSED_PAD src0_sel:DWORD src1_sel:BYTE_1
	v_and_b32_e32 v50, 3, v37
	v_bfe_u32 v53, v37, 2, 5
	v_ffbh_u32_e32 v51, v50
	v_cmp_eq_u32_e32 vcc_lo, 0, v53
	v_min_u32_e32 v51, 32, v51
	v_subrev_nc_u32_e32 v52, 29, v51
	v_sub_nc_u32_e32 v51, 30, v51
	v_lshlrev_b32_e32 v37, v52, v37
	v_lshlrev_b32_sdwa v52, v119, v10 dst_sel:DWORD dst_unused:UNUSED_PAD src0_sel:DWORD src1_sel:BYTE_1
	v_cndmask_b32_e32 v51, v53, v51, vcc_lo
	v_and_b32_e32 v37, 3, v37
	v_lshl_add_u32 v51, v51, 23, 0x37800000
	v_cndmask_b32_e32 v37, v50, v37, vcc_lo
	v_and_b32_e32 v50, 0x80000000, v52
	v_lshlrev_b32_e32 v37, 21, v37
	v_or3_b32 v37, v50, v51, v37
.LBB6_15574:                            ;   in Loop: Header=BB6_15150 Depth=3
	s_or_b32 exec_lo, exec_lo, s73
	v_add_f32_e32 v37, v29, v37
	v_and_b32_e32 v29, 0x7f800000, v37
	v_cmp_ne_u32_e32 vcc_lo, 0x7f800000, v29
	v_mov_b32_e32 v29, 0x8000
	s_and_saveexec_b32 s73, vcc_lo
	s_cbranch_execz .LBB6_15582
; %bb.15575:                            ;   in Loop: Header=BB6_15150 Depth=3
	v_mov_b32_e32 v29, 0
	s_mov_b32 s74, exec_lo
	v_cmpx_ne_u32_e32 0, v37
	s_cbranch_execz .LBB6_15581
; %bb.15576:                            ;   in Loop: Header=BB6_15150 Depth=3
	v_bfe_u32 v29, v37, 23, 8
	v_and_b32_e32 v50, 0x7fffff, v37
	v_sub_nc_u32_e32 v51, 0x70, v29
	v_cmp_gt_u32_e32 vcc_lo, 0x71, v29
	v_or_b32_e32 v52, 0x800000, v50
	v_cndmask_b32_e32 v51, 0, v51, vcc_lo
	v_cmp_eq_u32_e32 vcc_lo, 0, v29
	v_add_nc_u32_e32 v29, 0xffffff91, v29
	v_cndmask_b32_e64 v51, v51, 0x6f, vcc_lo
	v_cndmask_b32_e32 v50, v52, v50, vcc_lo
	v_cndmask_b32_e64 v29, v29, 0xffffff92, vcc_lo
	v_lshl_add_u32 v52, 0x200000, v51, -1
	v_lshrrev_b32_e32 v53, v51, v50
	v_lshlrev_b32_e64 v55, v51, 0x100000
	v_add_nc_u32_e32 v51, v51, v29
	v_and_b32_e32 v50, v52, v50
	v_bfe_u32 v54, v53, 21, 1
	v_cmp_eq_u32_e64 s17, v50, v55
	v_add_nc_u32_e32 v52, -1, v54
	v_cndmask_b32_e64 v50, 0, v52, s17
	v_lshrrev_b32_e32 v52, 23, v53
	s_mov_b32 s17, exec_lo
	v_add_nc_u32_e32 v50, v50, v53
	v_xor_b32_e32 v52, 1, v52
	v_and_b32_e32 v29, 0x1fffff, v50
	v_add_nc_u32_e32 v50, v29, v53
                                        ; implicit-def: $vgpr29
	v_cmpx_ne_u32_e64 v51, v52
	s_xor_b32 s17, exec_lo, s17
; %bb.15577:                            ;   in Loop: Header=BB6_15150 Depth=3
	v_cmp_lt_u32_e32 vcc_lo, 0xffffff, v50
	v_sub_nc_u32_e32 v29, v51, v52
	v_cndmask_b32_e64 v51, 0, 1, vcc_lo
	v_add_co_ci_u32_e64 v29, null, 0, v29, vcc_lo
	v_lshrrev_b32_e32 v50, v51, v50
; %bb.15578:                            ;   in Loop: Header=BB6_15150 Depth=3
	s_andn2_saveexec_b32 s17, s17
; %bb.15579:                            ;   in Loop: Header=BB6_15150 Depth=3
	v_bfe_u32 v29, v50, 23, 1
; %bb.15580:                            ;   in Loop: Header=BB6_15150 Depth=3
	s_or_b32 exec_lo, exec_lo, s17
	v_lshrrev_b32_e32 v50, 21, v50
	v_min_i32_e32 v51, 31, v29
	v_cmp_gt_i32_e32 vcc_lo, 32, v29
	v_and_b32_sdwa v37, v37, v117 dst_sel:DWORD dst_unused:UNUSED_PAD src0_sel:BYTE_3 src1_sel:DWORD
	v_lshlrev_b32_e32 v51, 2, v51
	v_cndmask_b32_e32 v50, 3, v50, vcc_lo
	v_and_b32_e32 v51, 0xfc, v51
	v_and_b32_e32 v52, 3, v50
	v_or_b32_e32 v29, v29, v50
	v_or3_b32 v37, v37, v51, v52
	v_cmp_ne_u32_e32 vcc_lo, 0, v29
	v_lshlrev_b32_e32 v37, 8, v37
	v_cndmask_b32_e32 v29, 0, v37, vcc_lo
.LBB6_15581:                            ;   in Loop: Header=BB6_15150 Depth=3
	s_or_b32 exec_lo, exec_lo, s74
.LBB6_15582:                            ;   in Loop: Header=BB6_15150 Depth=3
	s_or_b32 exec_lo, exec_lo, s73
	v_or_b32_e32 v27, v27, v23
	s_mov_b32 s17, 0
	v_cmp_gt_i16_sdwa s73, v27, v116 src0_sel:BYTE_0 src1_sel:DWORD
	s_and_saveexec_b32 s74, s73
	s_xor_b32 s73, exec_lo, s74
	s_cbranch_execz .LBB6_15772
; %bb.15583:                            ;   in Loop: Header=BB6_15150 Depth=3
	v_cmp_eq_u16_sdwa s75, v27, v117 src0_sel:BYTE_0 src1_sel:DWORD
	s_mov_b32 s17, -1
	s_and_saveexec_b32 s74, s75
; %bb.15584:                            ;   in Loop: Header=BB6_15150 Depth=3
	s_xor_b32 s17, exec_lo, -1
; %bb.15585:                            ;   in Loop: Header=BB6_15150 Depth=3
	s_or_b32 exec_lo, exec_lo, s74
	s_and_b32 s17, s17, exec_lo
	s_or_saveexec_b32 s73, s73
	v_mov_b32_e32 v23, 0x7f800001
	s_xor_b32 exec_lo, exec_lo, s73
	s_cbranch_execnz .LBB6_15773
.LBB6_15586:                            ;   in Loop: Header=BB6_15150 Depth=3
	s_or_b32 exec_lo, exec_lo, s73
	v_lshl_or_b32 v27, v27, 16, v31
	s_and_saveexec_b32 s73, s17
	s_cbranch_execz .LBB6_15588
.LBB6_15587:                            ;   in Loop: Header=BB6_15150 Depth=3
	v_bfe_u32 v23, v27, 16, 2
	v_bfe_u32 v50, v27, 18, 5
	v_lshlrev_b32_e32 v51, 8, v27
	v_ffbh_u32_e32 v31, v23
	v_cmp_eq_u32_e32 vcc_lo, 0, v50
	v_min_u32_e32 v31, 32, v31
	v_subrev_nc_u32_e32 v37, 29, v31
	v_sub_nc_u32_e32 v31, 30, v31
	v_lshlrev_b32_sdwa v37, v37, v27 dst_sel:DWORD dst_unused:UNUSED_PAD src0_sel:DWORD src1_sel:WORD_1
	v_cndmask_b32_e32 v31, v50, v31, vcc_lo
	v_and_b32_e32 v37, 3, v37
	v_lshl_add_u32 v31, v31, 23, 0x37800000
	v_cndmask_b32_e32 v23, v23, v37, vcc_lo
	v_and_b32_e32 v37, 0x80000000, v51
	v_lshlrev_b32_e32 v23, 21, v23
	v_or3_b32 v23, v37, v31, v23
.LBB6_15588:                            ;   in Loop: Header=BB6_15150 Depth=3
	s_or_b32 exec_lo, exec_lo, s73
	v_and_b32_sdwa v37, v10, v40 dst_sel:DWORD dst_unused:UNUSED_PAD src0_sel:WORD_1 src1_sel:DWORD
	s_mov_b32 s17, 0
	s_mov_b32 s73, exec_lo
	v_cmpx_lt_i16_e32 0x7f, v37
	s_xor_b32 s73, exec_lo, s73
	s_cbranch_execz .LBB6_15774
; %bb.15589:                            ;   in Loop: Header=BB6_15150 Depth=3
	s_mov_b32 s17, -1
	s_mov_b32 s74, exec_lo
	v_cmpx_eq_u16_e32 0x80, v37
; %bb.15590:                            ;   in Loop: Header=BB6_15150 Depth=3
	s_xor_b32 s17, exec_lo, -1
; %bb.15591:                            ;   in Loop: Header=BB6_15150 Depth=3
	s_or_b32 exec_lo, exec_lo, s74
	s_and_b32 s17, s17, exec_lo
                                        ; implicit-def: $vgpr37
	s_or_saveexec_b32 s73, s73
	v_mov_b32_e32 v31, 0x7f800001
	s_xor_b32 exec_lo, exec_lo, s73
	s_cbranch_execnz .LBB6_15775
.LBB6_15592:                            ;   in Loop: Header=BB6_15150 Depth=3
	s_or_b32 exec_lo, exec_lo, s73
	s_and_saveexec_b32 s73, s17
	s_cbranch_execz .LBB6_15594
.LBB6_15593:                            ;   in Loop: Header=BB6_15150 Depth=3
	v_mov_b32_e32 v31, 3
	v_bfe_u32 v51, v10, 18, 5
	v_lshlrev_b32_sdwa v52, v119, v10 dst_sel:DWORD dst_unused:UNUSED_PAD src0_sel:DWORD src1_sel:WORD_1
	v_and_b32_sdwa v31, v10, v31 dst_sel:DWORD dst_unused:UNUSED_PAD src0_sel:WORD_1 src1_sel:DWORD
	v_cmp_eq_u32_e32 vcc_lo, 0, v51
	v_ffbh_u32_e32 v37, v31
	v_min_u32_e32 v37, 32, v37
	v_subrev_nc_u32_e32 v50, 29, v37
	v_sub_nc_u32_e32 v37, 30, v37
	v_lshlrev_b32_sdwa v50, v50, v10 dst_sel:DWORD dst_unused:UNUSED_PAD src0_sel:DWORD src1_sel:WORD_1
	v_cndmask_b32_e32 v37, v51, v37, vcc_lo
	v_and_b32_e32 v50, 3, v50
	v_lshl_add_u32 v37, v37, 23, 0x37800000
	v_cndmask_b32_e32 v31, v31, v50, vcc_lo
	v_and_b32_e32 v50, 0x80000000, v52
	v_lshlrev_b32_e32 v31, 21, v31
	v_or3_b32 v31, v50, v37, v31
.LBB6_15594:                            ;   in Loop: Header=BB6_15150 Depth=3
	s_or_b32 exec_lo, exec_lo, s73
	v_add_f32_e32 v31, v23, v31
	v_and_b32_e32 v23, 0x7f800000, v31
	v_cmp_ne_u32_e32 vcc_lo, 0x7f800000, v23
	v_mov_b32_e32 v23, 0x80
	s_and_saveexec_b32 s73, vcc_lo
	s_cbranch_execz .LBB6_15602
; %bb.15595:                            ;   in Loop: Header=BB6_15150 Depth=3
	v_mov_b32_e32 v23, 0
	s_mov_b32 s74, exec_lo
	v_cmpx_ne_u32_e32 0, v31
	s_cbranch_execz .LBB6_15601
; %bb.15596:                            ;   in Loop: Header=BB6_15150 Depth=3
	v_bfe_u32 v23, v31, 23, 8
	v_and_b32_e32 v37, 0x7fffff, v31
	v_sub_nc_u32_e32 v50, 0x70, v23
	v_cmp_gt_u32_e32 vcc_lo, 0x71, v23
	v_or_b32_e32 v51, 0x800000, v37
	v_cndmask_b32_e32 v50, 0, v50, vcc_lo
	v_cmp_eq_u32_e32 vcc_lo, 0, v23
	v_add_nc_u32_e32 v23, 0xffffff91, v23
	v_cndmask_b32_e64 v50, v50, 0x6f, vcc_lo
	v_cndmask_b32_e32 v37, v51, v37, vcc_lo
	v_cndmask_b32_e64 v23, v23, 0xffffff92, vcc_lo
	v_lshl_add_u32 v51, 0x200000, v50, -1
	v_lshrrev_b32_e32 v52, v50, v37
	v_lshlrev_b32_e64 v54, v50, 0x100000
	v_add_nc_u32_e32 v50, v50, v23
	v_and_b32_e32 v37, v51, v37
	v_bfe_u32 v53, v52, 21, 1
	v_cmp_eq_u32_e64 s17, v37, v54
	v_add_nc_u32_e32 v51, -1, v53
	v_cndmask_b32_e64 v37, 0, v51, s17
	v_lshrrev_b32_e32 v51, 23, v52
	s_mov_b32 s17, exec_lo
	v_add_nc_u32_e32 v37, v37, v52
	v_xor_b32_e32 v51, 1, v51
	v_and_b32_e32 v23, 0x1fffff, v37
	v_add_nc_u32_e32 v37, v23, v52
                                        ; implicit-def: $vgpr23
	v_cmpx_ne_u32_e64 v50, v51
	s_xor_b32 s17, exec_lo, s17
; %bb.15597:                            ;   in Loop: Header=BB6_15150 Depth=3
	v_cmp_lt_u32_e32 vcc_lo, 0xffffff, v37
	v_sub_nc_u32_e32 v23, v50, v51
	v_cndmask_b32_e64 v50, 0, 1, vcc_lo
	v_add_co_ci_u32_e64 v23, null, 0, v23, vcc_lo
	v_lshrrev_b32_e32 v37, v50, v37
; %bb.15598:                            ;   in Loop: Header=BB6_15150 Depth=3
	s_andn2_saveexec_b32 s17, s17
; %bb.15599:                            ;   in Loop: Header=BB6_15150 Depth=3
	v_bfe_u32 v23, v37, 23, 1
; %bb.15600:                            ;   in Loop: Header=BB6_15150 Depth=3
	s_or_b32 exec_lo, exec_lo, s17
	v_lshrrev_b32_e32 v37, 21, v37
	v_min_i32_e32 v50, 31, v23
	v_cmp_gt_i32_e32 vcc_lo, 32, v23
	v_and_b32_sdwa v31, v31, v117 dst_sel:DWORD dst_unused:UNUSED_PAD src0_sel:BYTE_3 src1_sel:DWORD
	v_lshlrev_b32_e32 v50, 2, v50
	v_cndmask_b32_e32 v37, 3, v37, vcc_lo
	v_and_b32_e32 v50, 0xfc, v50
	v_and_b32_e32 v51, 3, v37
	v_or_b32_e32 v23, v23, v37
	v_or3_b32 v31, v50, v31, v51
	v_cmp_ne_u32_e32 vcc_lo, 0, v23
	v_cndmask_b32_e32 v23, 0, v31, vcc_lo
.LBB6_15601:                            ;   in Loop: Header=BB6_15150 Depth=3
	s_or_b32 exec_lo, exec_lo, s74
.LBB6_15602:                            ;   in Loop: Header=BB6_15150 Depth=3
	s_or_b32 exec_lo, exec_lo, s73
	v_cmp_gt_i16_sdwa s73, v27, v116 src0_sel:BYTE_3 src1_sel:DWORD
	s_mov_b32 s17, 0
	s_and_saveexec_b32 s74, s73
	s_xor_b32 s73, exec_lo, s74
	s_cbranch_execz .LBB6_15776
; %bb.15603:                            ;   in Loop: Header=BB6_15150 Depth=3
	v_cmp_eq_u16_sdwa s75, v27, v117 src0_sel:BYTE_3 src1_sel:DWORD
	s_mov_b32 s17, -1
	s_and_saveexec_b32 s74, s75
; %bb.15604:                            ;   in Loop: Header=BB6_15150 Depth=3
	s_xor_b32 s17, exec_lo, -1
; %bb.15605:                            ;   in Loop: Header=BB6_15150 Depth=3
	s_or_b32 exec_lo, exec_lo, s74
	s_and_b32 s17, s17, exec_lo
	s_or_saveexec_b32 s73, s73
	v_mov_b32_e32 v31, 0x7f800001
	s_xor_b32 exec_lo, exec_lo, s73
	s_cbranch_execnz .LBB6_15777
.LBB6_15606:                            ;   in Loop: Header=BB6_15150 Depth=3
	s_or_b32 exec_lo, exec_lo, s73
	s_and_saveexec_b32 s73, s17
	s_cbranch_execz .LBB6_15608
.LBB6_15607:                            ;   in Loop: Header=BB6_15150 Depth=3
	v_bfe_u32 v31, v27, 24, 2
	v_bfe_u32 v51, v27, 26, 5
	v_ffbh_u32_e32 v37, v31
	v_cmp_eq_u32_e32 vcc_lo, 0, v51
	v_min_u32_e32 v37, 32, v37
	v_subrev_nc_u32_e32 v50, 29, v37
	v_sub_nc_u32_e32 v37, 30, v37
	v_lshlrev_b32_sdwa v50, v50, v27 dst_sel:DWORD dst_unused:UNUSED_PAD src0_sel:DWORD src1_sel:BYTE_3
	v_cndmask_b32_e32 v37, v51, v37, vcc_lo
	v_and_b32_e32 v27, 0x80000000, v27
	v_and_b32_e32 v50, 3, v50
	v_lshl_add_u32 v37, v37, 23, 0x37800000
	v_cndmask_b32_e32 v31, v31, v50, vcc_lo
	v_lshlrev_b32_e32 v31, 21, v31
	v_or3_b32 v31, v27, v37, v31
.LBB6_15608:                            ;   in Loop: Header=BB6_15150 Depth=3
	s_or_b32 exec_lo, exec_lo, s73
	v_cmp_gt_i16_sdwa s73, v10, v116 src0_sel:BYTE_3 src1_sel:DWORD
	s_mov_b32 s17, 0
	s_and_saveexec_b32 s74, s73
	s_xor_b32 s73, exec_lo, s74
	s_cbranch_execz .LBB6_15778
; %bb.15609:                            ;   in Loop: Header=BB6_15150 Depth=3
	v_cmp_eq_u16_sdwa s75, v10, v117 src0_sel:BYTE_3 src1_sel:DWORD
	s_mov_b32 s17, -1
	s_and_saveexec_b32 s74, s75
; %bb.15610:                            ;   in Loop: Header=BB6_15150 Depth=3
	s_xor_b32 s17, exec_lo, -1
; %bb.15611:                            ;   in Loop: Header=BB6_15150 Depth=3
	s_or_b32 exec_lo, exec_lo, s74
	s_and_b32 s17, s17, exec_lo
	s_or_saveexec_b32 s73, s73
	v_mov_b32_e32 v27, 0x7f800001
	s_xor_b32 exec_lo, exec_lo, s73
	s_cbranch_execnz .LBB6_15779
.LBB6_15612:                            ;   in Loop: Header=BB6_15150 Depth=3
	s_or_b32 exec_lo, exec_lo, s73
	s_and_saveexec_b32 s73, s17
	s_cbranch_execz .LBB6_15614
.LBB6_15613:                            ;   in Loop: Header=BB6_15150 Depth=3
	v_mov_b32_e32 v27, 3
	v_bfe_u32 v51, v10, 26, 5
	v_and_b32_sdwa v27, v10, v27 dst_sel:DWORD dst_unused:UNUSED_PAD src0_sel:BYTE_3 src1_sel:DWORD
	v_cmp_eq_u32_e32 vcc_lo, 0, v51
	v_ffbh_u32_e32 v37, v27
	v_min_u32_e32 v37, 32, v37
	v_subrev_nc_u32_e32 v50, 29, v37
	v_sub_nc_u32_e32 v37, 30, v37
	v_lshlrev_b32_sdwa v50, v50, v10 dst_sel:DWORD dst_unused:UNUSED_PAD src0_sel:DWORD src1_sel:BYTE_3
	v_cndmask_b32_e32 v37, v51, v37, vcc_lo
	v_and_b32_e32 v10, 0x80000000, v10
	v_and_b32_e32 v50, 3, v50
	v_lshl_add_u32 v37, v37, 23, 0x37800000
	v_cndmask_b32_e32 v27, v27, v50, vcc_lo
	v_lshlrev_b32_e32 v27, 21, v27
	v_or3_b32 v27, v10, v37, v27
.LBB6_15614:                            ;   in Loop: Header=BB6_15150 Depth=3
	s_or_b32 exec_lo, exec_lo, s73
	v_add_f32_e32 v27, v31, v27
	v_and_b32_e32 v10, 0x7f800000, v27
	v_cmp_ne_u32_e32 vcc_lo, 0x7f800000, v10
	v_mov_b32_e32 v10, 0x8000
	s_and_saveexec_b32 s73, vcc_lo
	s_cbranch_execz .LBB6_15622
; %bb.15615:                            ;   in Loop: Header=BB6_15150 Depth=3
	v_mov_b32_e32 v10, 0
	s_mov_b32 s74, exec_lo
	v_cmpx_ne_u32_e32 0, v27
	s_cbranch_execz .LBB6_15621
; %bb.15616:                            ;   in Loop: Header=BB6_15150 Depth=3
	v_bfe_u32 v10, v27, 23, 8
	v_and_b32_e32 v31, 0x7fffff, v27
	v_sub_nc_u32_e32 v37, 0x70, v10
	v_cmp_gt_u32_e32 vcc_lo, 0x71, v10
	v_or_b32_e32 v50, 0x800000, v31
	v_cndmask_b32_e32 v37, 0, v37, vcc_lo
	v_cmp_eq_u32_e32 vcc_lo, 0, v10
	v_add_nc_u32_e32 v10, 0xffffff91, v10
	v_cndmask_b32_e64 v37, v37, 0x6f, vcc_lo
	v_cndmask_b32_e32 v31, v50, v31, vcc_lo
	v_cndmask_b32_e64 v10, v10, 0xffffff92, vcc_lo
	v_lshl_add_u32 v50, 0x200000, v37, -1
	v_lshrrev_b32_e32 v51, v37, v31
	v_lshlrev_b32_e64 v53, v37, 0x100000
	v_add_nc_u32_e32 v37, v37, v10
	v_and_b32_e32 v31, v50, v31
	v_bfe_u32 v52, v51, 21, 1
	v_cmp_eq_u32_e64 s17, v31, v53
	v_add_nc_u32_e32 v50, -1, v52
	v_cndmask_b32_e64 v31, 0, v50, s17
	v_lshrrev_b32_e32 v50, 23, v51
	s_mov_b32 s17, exec_lo
	v_add_nc_u32_e32 v31, v31, v51
	v_xor_b32_e32 v50, 1, v50
	v_and_b32_e32 v10, 0x1fffff, v31
	v_add_nc_u32_e32 v31, v10, v51
                                        ; implicit-def: $vgpr10
	v_cmpx_ne_u32_e64 v37, v50
	s_xor_b32 s17, exec_lo, s17
; %bb.15617:                            ;   in Loop: Header=BB6_15150 Depth=3
	v_cmp_lt_u32_e32 vcc_lo, 0xffffff, v31
	v_sub_nc_u32_e32 v10, v37, v50
	v_cndmask_b32_e64 v37, 0, 1, vcc_lo
	v_add_co_ci_u32_e64 v10, null, 0, v10, vcc_lo
	v_lshrrev_b32_e32 v31, v37, v31
; %bb.15618:                            ;   in Loop: Header=BB6_15150 Depth=3
	s_andn2_saveexec_b32 s17, s17
; %bb.15619:                            ;   in Loop: Header=BB6_15150 Depth=3
	v_bfe_u32 v10, v31, 23, 1
; %bb.15620:                            ;   in Loop: Header=BB6_15150 Depth=3
	s_or_b32 exec_lo, exec_lo, s17
	v_lshrrev_b32_e32 v31, 21, v31
	v_min_i32_e32 v37, 31, v10
	v_cmp_gt_i32_e32 vcc_lo, 32, v10
	v_and_b32_sdwa v27, v27, v117 dst_sel:DWORD dst_unused:UNUSED_PAD src0_sel:BYTE_3 src1_sel:DWORD
	v_lshlrev_b32_e32 v37, 2, v37
	v_cndmask_b32_e32 v31, 3, v31, vcc_lo
	v_and_b32_e32 v37, 0xfc, v37
	v_and_b32_e32 v50, 3, v31
	v_or_b32_e32 v10, v10, v31
	v_or3_b32 v27, v27, v37, v50
	v_cmp_ne_u32_e32 vcc_lo, 0, v10
	v_lshlrev_b32_e32 v27, 8, v27
	v_cndmask_b32_e32 v10, 0, v27, vcc_lo
.LBB6_15621:                            ;   in Loop: Header=BB6_15150 Depth=3
	s_or_b32 exec_lo, exec_lo, s74
.LBB6_15622:                            ;   in Loop: Header=BB6_15150 Depth=3
	s_or_b32 exec_lo, exec_lo, s73
	v_or_b32_e32 v24, v24, v20
	s_mov_b32 s17, 0
	v_cmp_gt_i16_sdwa s73, v24, v116 src0_sel:BYTE_0 src1_sel:DWORD
	s_and_saveexec_b32 s74, s73
	s_xor_b32 s73, exec_lo, s74
	s_cbranch_execz .LBB6_15780
; %bb.15623:                            ;   in Loop: Header=BB6_15150 Depth=3
	v_cmp_eq_u16_sdwa s75, v24, v117 src0_sel:BYTE_0 src1_sel:DWORD
	s_mov_b32 s17, -1
	s_and_saveexec_b32 s74, s75
; %bb.15624:                            ;   in Loop: Header=BB6_15150 Depth=3
	s_xor_b32 s17, exec_lo, -1
; %bb.15625:                            ;   in Loop: Header=BB6_15150 Depth=3
	s_or_b32 exec_lo, exec_lo, s74
	s_and_b32 s17, s17, exec_lo
	s_or_saveexec_b32 s73, s73
	v_mov_b32_e32 v20, 0x7f800001
	s_xor_b32 exec_lo, exec_lo, s73
	s_cbranch_execnz .LBB6_15781
.LBB6_15626:                            ;   in Loop: Header=BB6_15150 Depth=3
	s_or_b32 exec_lo, exec_lo, s73
	s_and_saveexec_b32 s73, s17
	s_cbranch_execz .LBB6_15628
.LBB6_15627:                            ;   in Loop: Header=BB6_15150 Depth=3
	v_and_b32_e32 v20, 3, v24
	v_bfe_u32 v37, v24, 2, 5
	v_lshlrev_b32_e32 v50, 24, v24
	v_ffbh_u32_e32 v27, v20
	v_cmp_eq_u32_e32 vcc_lo, 0, v37
	v_min_u32_e32 v27, 32, v27
	v_subrev_nc_u32_e32 v31, 29, v27
	v_sub_nc_u32_e32 v27, 30, v27
	v_lshlrev_b32_e32 v31, v31, v24
	v_cndmask_b32_e32 v27, v37, v27, vcc_lo
	v_and_b32_e32 v31, 3, v31
	v_lshl_add_u32 v27, v27, 23, 0x37800000
	v_cndmask_b32_e32 v20, v20, v31, vcc_lo
	v_and_b32_e32 v31, 0x80000000, v50
	v_lshlrev_b32_e32 v20, 21, v20
	v_or3_b32 v20, v31, v27, v20
.LBB6_15628:                            ;   in Loop: Header=BB6_15150 Depth=3
	s_or_b32 exec_lo, exec_lo, s73
	v_cmp_gt_i16_sdwa s73, v11, v116 src0_sel:BYTE_0 src1_sel:DWORD
	s_mov_b32 s17, 0
	s_and_saveexec_b32 s74, s73
	s_xor_b32 s73, exec_lo, s74
	s_cbranch_execz .LBB6_15782
; %bb.15629:                            ;   in Loop: Header=BB6_15150 Depth=3
	v_cmp_eq_u16_sdwa s75, v11, v117 src0_sel:BYTE_0 src1_sel:DWORD
	s_mov_b32 s17, -1
	s_and_saveexec_b32 s74, s75
; %bb.15630:                            ;   in Loop: Header=BB6_15150 Depth=3
	s_xor_b32 s17, exec_lo, -1
; %bb.15631:                            ;   in Loop: Header=BB6_15150 Depth=3
	s_or_b32 exec_lo, exec_lo, s74
	s_and_b32 s17, s17, exec_lo
	s_or_saveexec_b32 s73, s73
	v_mov_b32_e32 v27, 0x7f800001
	s_xor_b32 exec_lo, exec_lo, s73
	s_cbranch_execnz .LBB6_15783
.LBB6_15632:                            ;   in Loop: Header=BB6_15150 Depth=3
	s_or_b32 exec_lo, exec_lo, s73
	s_and_saveexec_b32 s73, s17
	s_cbranch_execz .LBB6_15634
.LBB6_15633:                            ;   in Loop: Header=BB6_15150 Depth=3
	v_and_b32_e32 v27, 3, v11
	v_bfe_u32 v50, v11, 2, 5
	v_lshlrev_b32_e32 v51, 24, v11
	v_ffbh_u32_e32 v31, v27
	v_cmp_eq_u32_e32 vcc_lo, 0, v50
	v_min_u32_e32 v31, 32, v31
	v_subrev_nc_u32_e32 v37, 29, v31
	v_sub_nc_u32_e32 v31, 30, v31
	v_lshlrev_b32_e32 v37, v37, v11
	v_cndmask_b32_e32 v31, v50, v31, vcc_lo
	v_and_b32_e32 v37, 3, v37
	v_lshl_add_u32 v31, v31, 23, 0x37800000
	v_cndmask_b32_e32 v27, v27, v37, vcc_lo
	v_and_b32_e32 v37, 0x80000000, v51
	v_lshlrev_b32_e32 v27, 21, v27
	v_or3_b32 v27, v37, v31, v27
.LBB6_15634:                            ;   in Loop: Header=BB6_15150 Depth=3
	s_or_b32 exec_lo, exec_lo, s73
	v_add_f32_e32 v27, v20, v27
	v_and_b32_e32 v20, 0x7f800000, v27
	v_cmp_ne_u32_e32 vcc_lo, 0x7f800000, v20
	v_mov_b32_e32 v20, 0x80
	s_and_saveexec_b32 s73, vcc_lo
	s_cbranch_execz .LBB6_15642
; %bb.15635:                            ;   in Loop: Header=BB6_15150 Depth=3
	v_mov_b32_e32 v20, 0
	s_mov_b32 s74, exec_lo
	v_cmpx_ne_u32_e32 0, v27
	s_cbranch_execz .LBB6_15641
; %bb.15636:                            ;   in Loop: Header=BB6_15150 Depth=3
	v_bfe_u32 v20, v27, 23, 8
	v_and_b32_e32 v31, 0x7fffff, v27
	v_sub_nc_u32_e32 v37, 0x70, v20
	v_cmp_gt_u32_e32 vcc_lo, 0x71, v20
	v_or_b32_e32 v50, 0x800000, v31
	v_cndmask_b32_e32 v37, 0, v37, vcc_lo
	v_cmp_eq_u32_e32 vcc_lo, 0, v20
	v_add_nc_u32_e32 v20, 0xffffff91, v20
	v_cndmask_b32_e64 v37, v37, 0x6f, vcc_lo
	v_cndmask_b32_e32 v31, v50, v31, vcc_lo
	v_cndmask_b32_e64 v20, v20, 0xffffff92, vcc_lo
	v_lshl_add_u32 v50, 0x200000, v37, -1
	v_lshrrev_b32_e32 v51, v37, v31
	v_lshlrev_b32_e64 v53, v37, 0x100000
	v_add_nc_u32_e32 v37, v37, v20
	v_and_b32_e32 v31, v50, v31
	v_bfe_u32 v52, v51, 21, 1
	v_cmp_eq_u32_e64 s17, v31, v53
	v_add_nc_u32_e32 v50, -1, v52
	v_cndmask_b32_e64 v31, 0, v50, s17
	v_lshrrev_b32_e32 v50, 23, v51
	s_mov_b32 s17, exec_lo
	v_add_nc_u32_e32 v31, v31, v51
	v_xor_b32_e32 v50, 1, v50
	v_and_b32_e32 v20, 0x1fffff, v31
	v_add_nc_u32_e32 v31, v20, v51
                                        ; implicit-def: $vgpr20
	v_cmpx_ne_u32_e64 v37, v50
	s_xor_b32 s17, exec_lo, s17
; %bb.15637:                            ;   in Loop: Header=BB6_15150 Depth=3
	v_cmp_lt_u32_e32 vcc_lo, 0xffffff, v31
	v_sub_nc_u32_e32 v20, v37, v50
	v_cndmask_b32_e64 v37, 0, 1, vcc_lo
	v_add_co_ci_u32_e64 v20, null, 0, v20, vcc_lo
	v_lshrrev_b32_e32 v31, v37, v31
; %bb.15638:                            ;   in Loop: Header=BB6_15150 Depth=3
	s_andn2_saveexec_b32 s17, s17
; %bb.15639:                            ;   in Loop: Header=BB6_15150 Depth=3
	v_bfe_u32 v20, v31, 23, 1
; %bb.15640:                            ;   in Loop: Header=BB6_15150 Depth=3
	s_or_b32 exec_lo, exec_lo, s17
	v_lshrrev_b32_e32 v31, 21, v31
	v_min_i32_e32 v37, 31, v20
	v_cmp_gt_i32_e32 vcc_lo, 32, v20
	v_and_b32_sdwa v27, v27, v117 dst_sel:DWORD dst_unused:UNUSED_PAD src0_sel:BYTE_3 src1_sel:DWORD
	v_lshlrev_b32_e32 v37, 2, v37
	v_cndmask_b32_e32 v31, 3, v31, vcc_lo
	v_and_b32_e32 v37, 0xfc, v37
	v_and_b32_e32 v50, 3, v31
	v_or_b32_e32 v20, v20, v31
	v_or3_b32 v27, v37, v27, v50
	v_cmp_ne_u32_e32 vcc_lo, 0, v20
	v_cndmask_b32_e32 v20, 0, v27, vcc_lo
.LBB6_15641:                            ;   in Loop: Header=BB6_15150 Depth=3
	s_or_b32 exec_lo, exec_lo, s74
.LBB6_15642:                            ;   in Loop: Header=BB6_15150 Depth=3
	s_or_b32 exec_lo, exec_lo, s73
	v_cmp_gt_i16_sdwa s73, v24, v116 src0_sel:BYTE_1 src1_sel:DWORD
	s_mov_b32 s17, 0
	s_and_saveexec_b32 s74, s73
	s_xor_b32 s73, exec_lo, s74
	s_cbranch_execz .LBB6_15784
; %bb.15643:                            ;   in Loop: Header=BB6_15150 Depth=3
	v_cmp_eq_u16_sdwa s75, v24, v117 src0_sel:BYTE_1 src1_sel:DWORD
	s_mov_b32 s17, -1
	s_and_saveexec_b32 s74, s75
; %bb.15644:                            ;   in Loop: Header=BB6_15150 Depth=3
	s_xor_b32 s17, exec_lo, -1
; %bb.15645:                            ;   in Loop: Header=BB6_15150 Depth=3
	s_or_b32 exec_lo, exec_lo, s74
	s_and_b32 s17, s17, exec_lo
	s_or_saveexec_b32 s73, s73
	v_mov_b32_e32 v27, 0x7f800001
	s_xor_b32 exec_lo, exec_lo, s73
	s_cbranch_execnz .LBB6_15785
.LBB6_15646:                            ;   in Loop: Header=BB6_15150 Depth=3
	s_or_b32 exec_lo, exec_lo, s73
	s_and_saveexec_b32 s73, s17
	s_cbranch_execz .LBB6_15648
.LBB6_15647:                            ;   in Loop: Header=BB6_15150 Depth=3
	v_and_b32_sdwa v27, v118, v24 dst_sel:DWORD dst_unused:UNUSED_PAD src0_sel:DWORD src1_sel:BYTE_1
	v_and_b32_e32 v31, 3, v27
	v_bfe_u32 v51, v27, 2, 5
	v_ffbh_u32_e32 v37, v31
	v_cmp_eq_u32_e32 vcc_lo, 0, v51
	v_min_u32_e32 v37, 32, v37
	v_subrev_nc_u32_e32 v50, 29, v37
	v_sub_nc_u32_e32 v37, 30, v37
	v_lshlrev_b32_e32 v27, v50, v27
	v_lshlrev_b32_sdwa v50, v119, v24 dst_sel:DWORD dst_unused:UNUSED_PAD src0_sel:DWORD src1_sel:BYTE_1
	v_cndmask_b32_e32 v37, v51, v37, vcc_lo
	v_and_b32_e32 v27, 3, v27
	v_lshl_add_u32 v37, v37, 23, 0x37800000
	v_cndmask_b32_e32 v27, v31, v27, vcc_lo
	v_and_b32_e32 v31, 0x80000000, v50
	v_lshlrev_b32_e32 v27, 21, v27
	v_or3_b32 v27, v31, v37, v27
.LBB6_15648:                            ;   in Loop: Header=BB6_15150 Depth=3
	s_or_b32 exec_lo, exec_lo, s73
	v_cmp_gt_i16_sdwa s73, v11, v116 src0_sel:BYTE_1 src1_sel:DWORD
	s_mov_b32 s17, 0
	s_and_saveexec_b32 s74, s73
	s_xor_b32 s73, exec_lo, s74
	s_cbranch_execz .LBB6_15786
; %bb.15649:                            ;   in Loop: Header=BB6_15150 Depth=3
	v_cmp_eq_u16_sdwa s75, v11, v117 src0_sel:BYTE_1 src1_sel:DWORD
	s_mov_b32 s17, -1
	s_and_saveexec_b32 s74, s75
; %bb.15650:                            ;   in Loop: Header=BB6_15150 Depth=3
	s_xor_b32 s17, exec_lo, -1
; %bb.15651:                            ;   in Loop: Header=BB6_15150 Depth=3
	s_or_b32 exec_lo, exec_lo, s74
	s_and_b32 s17, s17, exec_lo
	s_or_saveexec_b32 s73, s73
	v_mov_b32_e32 v31, 0x7f800001
	s_xor_b32 exec_lo, exec_lo, s73
	s_cbranch_execnz .LBB6_15787
.LBB6_15652:                            ;   in Loop: Header=BB6_15150 Depth=3
	s_or_b32 exec_lo, exec_lo, s73
	s_and_saveexec_b32 s73, s17
	s_cbranch_execz .LBB6_15654
.LBB6_15653:                            ;   in Loop: Header=BB6_15150 Depth=3
	v_and_b32_sdwa v31, v118, v11 dst_sel:DWORD dst_unused:UNUSED_PAD src0_sel:DWORD src1_sel:BYTE_1
	v_and_b32_e32 v37, 3, v31
	v_bfe_u32 v52, v31, 2, 5
	v_ffbh_u32_e32 v50, v37
	v_cmp_eq_u32_e32 vcc_lo, 0, v52
	v_min_u32_e32 v50, 32, v50
	v_subrev_nc_u32_e32 v51, 29, v50
	v_sub_nc_u32_e32 v50, 30, v50
	v_lshlrev_b32_e32 v31, v51, v31
	v_lshlrev_b32_sdwa v51, v119, v11 dst_sel:DWORD dst_unused:UNUSED_PAD src0_sel:DWORD src1_sel:BYTE_1
	v_cndmask_b32_e32 v50, v52, v50, vcc_lo
	v_and_b32_e32 v31, 3, v31
	v_lshl_add_u32 v50, v50, 23, 0x37800000
	v_cndmask_b32_e32 v31, v37, v31, vcc_lo
	v_and_b32_e32 v37, 0x80000000, v51
	v_lshlrev_b32_e32 v31, 21, v31
	v_or3_b32 v31, v37, v50, v31
.LBB6_15654:                            ;   in Loop: Header=BB6_15150 Depth=3
	s_or_b32 exec_lo, exec_lo, s73
	v_add_f32_e32 v31, v27, v31
	v_and_b32_e32 v27, 0x7f800000, v31
	v_cmp_ne_u32_e32 vcc_lo, 0x7f800000, v27
	v_mov_b32_e32 v27, 0x8000
	s_and_saveexec_b32 s73, vcc_lo
	s_cbranch_execz .LBB6_15662
; %bb.15655:                            ;   in Loop: Header=BB6_15150 Depth=3
	v_mov_b32_e32 v27, 0
	s_mov_b32 s74, exec_lo
	v_cmpx_ne_u32_e32 0, v31
	s_cbranch_execz .LBB6_15661
; %bb.15656:                            ;   in Loop: Header=BB6_15150 Depth=3
	v_bfe_u32 v27, v31, 23, 8
	v_and_b32_e32 v37, 0x7fffff, v31
	v_sub_nc_u32_e32 v50, 0x70, v27
	v_cmp_gt_u32_e32 vcc_lo, 0x71, v27
	v_or_b32_e32 v51, 0x800000, v37
	v_cndmask_b32_e32 v50, 0, v50, vcc_lo
	v_cmp_eq_u32_e32 vcc_lo, 0, v27
	v_add_nc_u32_e32 v27, 0xffffff91, v27
	v_cndmask_b32_e64 v50, v50, 0x6f, vcc_lo
	v_cndmask_b32_e32 v37, v51, v37, vcc_lo
	v_cndmask_b32_e64 v27, v27, 0xffffff92, vcc_lo
	v_lshl_add_u32 v51, 0x200000, v50, -1
	v_lshrrev_b32_e32 v52, v50, v37
	v_lshlrev_b32_e64 v54, v50, 0x100000
	v_add_nc_u32_e32 v50, v50, v27
	v_and_b32_e32 v37, v51, v37
	v_bfe_u32 v53, v52, 21, 1
	v_cmp_eq_u32_e64 s17, v37, v54
	v_add_nc_u32_e32 v51, -1, v53
	v_cndmask_b32_e64 v37, 0, v51, s17
	v_lshrrev_b32_e32 v51, 23, v52
	s_mov_b32 s17, exec_lo
	v_add_nc_u32_e32 v37, v37, v52
	v_xor_b32_e32 v51, 1, v51
	v_and_b32_e32 v27, 0x1fffff, v37
	v_add_nc_u32_e32 v37, v27, v52
                                        ; implicit-def: $vgpr27
	v_cmpx_ne_u32_e64 v50, v51
	s_xor_b32 s17, exec_lo, s17
; %bb.15657:                            ;   in Loop: Header=BB6_15150 Depth=3
	v_cmp_lt_u32_e32 vcc_lo, 0xffffff, v37
	v_sub_nc_u32_e32 v27, v50, v51
	v_cndmask_b32_e64 v50, 0, 1, vcc_lo
	v_add_co_ci_u32_e64 v27, null, 0, v27, vcc_lo
	v_lshrrev_b32_e32 v37, v50, v37
; %bb.15658:                            ;   in Loop: Header=BB6_15150 Depth=3
	s_andn2_saveexec_b32 s17, s17
; %bb.15659:                            ;   in Loop: Header=BB6_15150 Depth=3
	v_bfe_u32 v27, v37, 23, 1
; %bb.15660:                            ;   in Loop: Header=BB6_15150 Depth=3
	s_or_b32 exec_lo, exec_lo, s17
	v_lshrrev_b32_e32 v37, 21, v37
	v_min_i32_e32 v50, 31, v27
	v_cmp_gt_i32_e32 vcc_lo, 32, v27
	v_and_b32_sdwa v31, v31, v117 dst_sel:DWORD dst_unused:UNUSED_PAD src0_sel:BYTE_3 src1_sel:DWORD
	v_lshlrev_b32_e32 v50, 2, v50
	v_cndmask_b32_e32 v37, 3, v37, vcc_lo
	v_and_b32_e32 v50, 0xfc, v50
	v_and_b32_e32 v51, 3, v37
	v_or_b32_e32 v27, v27, v37
	v_or3_b32 v31, v31, v50, v51
	v_cmp_ne_u32_e32 vcc_lo, 0, v27
	v_lshlrev_b32_e32 v31, 8, v31
	v_cndmask_b32_e32 v27, 0, v31, vcc_lo
.LBB6_15661:                            ;   in Loop: Header=BB6_15150 Depth=3
	s_or_b32 exec_lo, exec_lo, s74
.LBB6_15662:                            ;   in Loop: Header=BB6_15150 Depth=3
	s_or_b32 exec_lo, exec_lo, s73
	v_or_b32_e32 v22, v22, v19
	s_mov_b32 s17, 0
	v_cmp_gt_i16_sdwa s73, v22, v116 src0_sel:BYTE_0 src1_sel:DWORD
	s_and_saveexec_b32 s74, s73
	s_xor_b32 s73, exec_lo, s74
	s_cbranch_execz .LBB6_15788
; %bb.15663:                            ;   in Loop: Header=BB6_15150 Depth=3
	v_cmp_eq_u16_sdwa s75, v22, v117 src0_sel:BYTE_0 src1_sel:DWORD
	s_mov_b32 s17, -1
	s_and_saveexec_b32 s74, s75
; %bb.15664:                            ;   in Loop: Header=BB6_15150 Depth=3
	s_xor_b32 s17, exec_lo, -1
; %bb.15665:                            ;   in Loop: Header=BB6_15150 Depth=3
	s_or_b32 exec_lo, exec_lo, s74
	s_and_b32 s17, s17, exec_lo
	s_or_saveexec_b32 s73, s73
	v_mov_b32_e32 v19, 0x7f800001
	s_xor_b32 exec_lo, exec_lo, s73
	s_cbranch_execnz .LBB6_15789
.LBB6_15666:                            ;   in Loop: Header=BB6_15150 Depth=3
	s_or_b32 exec_lo, exec_lo, s73
	v_lshl_or_b32 v22, v22, 16, v24
	s_and_saveexec_b32 s73, s17
	s_cbranch_execz .LBB6_15668
.LBB6_15667:                            ;   in Loop: Header=BB6_15150 Depth=3
	v_bfe_u32 v19, v22, 16, 2
	v_bfe_u32 v37, v22, 18, 5
	v_lshlrev_b32_e32 v50, 8, v22
	v_ffbh_u32_e32 v24, v19
	v_cmp_eq_u32_e32 vcc_lo, 0, v37
	v_min_u32_e32 v24, 32, v24
	v_subrev_nc_u32_e32 v31, 29, v24
	v_sub_nc_u32_e32 v24, 30, v24
	v_lshlrev_b32_sdwa v31, v31, v22 dst_sel:DWORD dst_unused:UNUSED_PAD src0_sel:DWORD src1_sel:WORD_1
	v_cndmask_b32_e32 v24, v37, v24, vcc_lo
	v_and_b32_e32 v31, 3, v31
	v_lshl_add_u32 v24, v24, 23, 0x37800000
	v_cndmask_b32_e32 v19, v19, v31, vcc_lo
	v_and_b32_e32 v31, 0x80000000, v50
	v_lshlrev_b32_e32 v19, 21, v19
	v_or3_b32 v19, v31, v24, v19
.LBB6_15668:                            ;   in Loop: Header=BB6_15150 Depth=3
	s_or_b32 exec_lo, exec_lo, s73
	v_and_b32_sdwa v31, v11, v40 dst_sel:DWORD dst_unused:UNUSED_PAD src0_sel:WORD_1 src1_sel:DWORD
	s_mov_b32 s17, 0
	s_mov_b32 s73, exec_lo
	v_cmpx_lt_i16_e32 0x7f, v31
	s_xor_b32 s73, exec_lo, s73
	s_cbranch_execz .LBB6_15790
; %bb.15669:                            ;   in Loop: Header=BB6_15150 Depth=3
	s_mov_b32 s17, -1
	s_mov_b32 s74, exec_lo
	v_cmpx_eq_u16_e32 0x80, v31
; %bb.15670:                            ;   in Loop: Header=BB6_15150 Depth=3
	s_xor_b32 s17, exec_lo, -1
; %bb.15671:                            ;   in Loop: Header=BB6_15150 Depth=3
	s_or_b32 exec_lo, exec_lo, s74
	s_and_b32 s17, s17, exec_lo
                                        ; implicit-def: $vgpr31
	s_or_saveexec_b32 s73, s73
	v_mov_b32_e32 v24, 0x7f800001
	s_xor_b32 exec_lo, exec_lo, s73
	s_cbranch_execnz .LBB6_15791
.LBB6_15672:                            ;   in Loop: Header=BB6_15150 Depth=3
	s_or_b32 exec_lo, exec_lo, s73
	s_and_saveexec_b32 s73, s17
	s_cbranch_execz .LBB6_15674
.LBB6_15673:                            ;   in Loop: Header=BB6_15150 Depth=3
	v_mov_b32_e32 v24, 3
	v_bfe_u32 v50, v11, 18, 5
	v_lshlrev_b32_sdwa v51, v119, v11 dst_sel:DWORD dst_unused:UNUSED_PAD src0_sel:DWORD src1_sel:WORD_1
	v_and_b32_sdwa v24, v11, v24 dst_sel:DWORD dst_unused:UNUSED_PAD src0_sel:WORD_1 src1_sel:DWORD
	v_cmp_eq_u32_e32 vcc_lo, 0, v50
	v_ffbh_u32_e32 v31, v24
	v_min_u32_e32 v31, 32, v31
	v_subrev_nc_u32_e32 v37, 29, v31
	v_sub_nc_u32_e32 v31, 30, v31
	v_lshlrev_b32_sdwa v37, v37, v11 dst_sel:DWORD dst_unused:UNUSED_PAD src0_sel:DWORD src1_sel:WORD_1
	v_cndmask_b32_e32 v31, v50, v31, vcc_lo
	v_and_b32_e32 v37, 3, v37
	v_lshl_add_u32 v31, v31, 23, 0x37800000
	v_cndmask_b32_e32 v24, v24, v37, vcc_lo
	v_and_b32_e32 v37, 0x80000000, v51
	v_lshlrev_b32_e32 v24, 21, v24
	v_or3_b32 v24, v37, v31, v24
.LBB6_15674:                            ;   in Loop: Header=BB6_15150 Depth=3
	s_or_b32 exec_lo, exec_lo, s73
	v_add_f32_e32 v24, v19, v24
	v_and_b32_e32 v19, 0x7f800000, v24
	v_cmp_ne_u32_e32 vcc_lo, 0x7f800000, v19
	v_mov_b32_e32 v19, 0x80
	s_and_saveexec_b32 s73, vcc_lo
	s_cbranch_execz .LBB6_15682
; %bb.15675:                            ;   in Loop: Header=BB6_15150 Depth=3
	v_mov_b32_e32 v19, 0
	s_mov_b32 s74, exec_lo
	v_cmpx_ne_u32_e32 0, v24
	s_cbranch_execz .LBB6_15681
; %bb.15676:                            ;   in Loop: Header=BB6_15150 Depth=3
	v_bfe_u32 v19, v24, 23, 8
	v_and_b32_e32 v31, 0x7fffff, v24
	v_sub_nc_u32_e32 v37, 0x70, v19
	v_cmp_gt_u32_e32 vcc_lo, 0x71, v19
	v_or_b32_e32 v50, 0x800000, v31
	v_cndmask_b32_e32 v37, 0, v37, vcc_lo
	v_cmp_eq_u32_e32 vcc_lo, 0, v19
	v_add_nc_u32_e32 v19, 0xffffff91, v19
	v_cndmask_b32_e64 v37, v37, 0x6f, vcc_lo
	v_cndmask_b32_e32 v31, v50, v31, vcc_lo
	v_cndmask_b32_e64 v19, v19, 0xffffff92, vcc_lo
	v_lshl_add_u32 v50, 0x200000, v37, -1
	v_lshrrev_b32_e32 v51, v37, v31
	v_lshlrev_b32_e64 v53, v37, 0x100000
	v_add_nc_u32_e32 v37, v37, v19
	v_and_b32_e32 v31, v50, v31
	v_bfe_u32 v52, v51, 21, 1
	v_cmp_eq_u32_e64 s17, v31, v53
	v_add_nc_u32_e32 v50, -1, v52
	v_cndmask_b32_e64 v31, 0, v50, s17
	v_lshrrev_b32_e32 v50, 23, v51
	s_mov_b32 s17, exec_lo
	v_add_nc_u32_e32 v31, v31, v51
	v_xor_b32_e32 v50, 1, v50
	v_and_b32_e32 v19, 0x1fffff, v31
	v_add_nc_u32_e32 v31, v19, v51
                                        ; implicit-def: $vgpr19
	v_cmpx_ne_u32_e64 v37, v50
	s_xor_b32 s17, exec_lo, s17
; %bb.15677:                            ;   in Loop: Header=BB6_15150 Depth=3
	v_cmp_lt_u32_e32 vcc_lo, 0xffffff, v31
	v_sub_nc_u32_e32 v19, v37, v50
	v_cndmask_b32_e64 v37, 0, 1, vcc_lo
	v_add_co_ci_u32_e64 v19, null, 0, v19, vcc_lo
	v_lshrrev_b32_e32 v31, v37, v31
; %bb.15678:                            ;   in Loop: Header=BB6_15150 Depth=3
	s_andn2_saveexec_b32 s17, s17
; %bb.15679:                            ;   in Loop: Header=BB6_15150 Depth=3
	v_bfe_u32 v19, v31, 23, 1
; %bb.15680:                            ;   in Loop: Header=BB6_15150 Depth=3
	s_or_b32 exec_lo, exec_lo, s17
	v_lshrrev_b32_e32 v31, 21, v31
	v_min_i32_e32 v37, 31, v19
	v_cmp_gt_i32_e32 vcc_lo, 32, v19
	v_and_b32_sdwa v24, v24, v117 dst_sel:DWORD dst_unused:UNUSED_PAD src0_sel:BYTE_3 src1_sel:DWORD
	v_lshlrev_b32_e32 v37, 2, v37
	v_cndmask_b32_e32 v31, 3, v31, vcc_lo
	v_and_b32_e32 v37, 0xfc, v37
	v_and_b32_e32 v50, 3, v31
	v_or_b32_e32 v19, v19, v31
	v_or3_b32 v24, v37, v24, v50
	v_cmp_ne_u32_e32 vcc_lo, 0, v19
	v_cndmask_b32_e32 v19, 0, v24, vcc_lo
.LBB6_15681:                            ;   in Loop: Header=BB6_15150 Depth=3
	s_or_b32 exec_lo, exec_lo, s74
.LBB6_15682:                            ;   in Loop: Header=BB6_15150 Depth=3
	s_or_b32 exec_lo, exec_lo, s73
	v_cmp_gt_i16_sdwa s73, v22, v116 src0_sel:BYTE_3 src1_sel:DWORD
	s_mov_b32 s17, 0
	s_and_saveexec_b32 s74, s73
	s_xor_b32 s73, exec_lo, s74
	s_cbranch_execz .LBB6_15792
; %bb.15683:                            ;   in Loop: Header=BB6_15150 Depth=3
	v_cmp_eq_u16_sdwa s75, v22, v117 src0_sel:BYTE_3 src1_sel:DWORD
	s_mov_b32 s17, -1
	s_and_saveexec_b32 s74, s75
; %bb.15684:                            ;   in Loop: Header=BB6_15150 Depth=3
	s_xor_b32 s17, exec_lo, -1
; %bb.15685:                            ;   in Loop: Header=BB6_15150 Depth=3
	s_or_b32 exec_lo, exec_lo, s74
	s_and_b32 s17, s17, exec_lo
	s_or_saveexec_b32 s73, s73
	v_mov_b32_e32 v24, 0x7f800001
	s_xor_b32 exec_lo, exec_lo, s73
	s_cbranch_execnz .LBB6_15793
.LBB6_15686:                            ;   in Loop: Header=BB6_15150 Depth=3
	s_or_b32 exec_lo, exec_lo, s73
	s_and_saveexec_b32 s73, s17
	s_cbranch_execz .LBB6_15688
.LBB6_15687:                            ;   in Loop: Header=BB6_15150 Depth=3
	v_bfe_u32 v24, v22, 24, 2
	v_bfe_u32 v50, v22, 26, 5
	v_ffbh_u32_e32 v31, v24
	v_cmp_eq_u32_e32 vcc_lo, 0, v50
	v_min_u32_e32 v31, 32, v31
	v_subrev_nc_u32_e32 v37, 29, v31
	v_sub_nc_u32_e32 v31, 30, v31
	v_lshlrev_b32_sdwa v37, v37, v22 dst_sel:DWORD dst_unused:UNUSED_PAD src0_sel:DWORD src1_sel:BYTE_3
	v_cndmask_b32_e32 v31, v50, v31, vcc_lo
	v_and_b32_e32 v22, 0x80000000, v22
	v_and_b32_e32 v37, 3, v37
	v_lshl_add_u32 v31, v31, 23, 0x37800000
	v_cndmask_b32_e32 v24, v24, v37, vcc_lo
	v_lshlrev_b32_e32 v24, 21, v24
	v_or3_b32 v24, v22, v31, v24
.LBB6_15688:                            ;   in Loop: Header=BB6_15150 Depth=3
	s_or_b32 exec_lo, exec_lo, s73
	v_cmp_gt_i16_sdwa s73, v11, v116 src0_sel:BYTE_3 src1_sel:DWORD
	s_mov_b32 s17, 0
	s_and_saveexec_b32 s74, s73
	s_xor_b32 s73, exec_lo, s74
	s_cbranch_execz .LBB6_15794
; %bb.15689:                            ;   in Loop: Header=BB6_15150 Depth=3
	v_cmp_eq_u16_sdwa s75, v11, v117 src0_sel:BYTE_3 src1_sel:DWORD
	s_mov_b32 s17, -1
	s_and_saveexec_b32 s74, s75
; %bb.15690:                            ;   in Loop: Header=BB6_15150 Depth=3
	s_xor_b32 s17, exec_lo, -1
; %bb.15691:                            ;   in Loop: Header=BB6_15150 Depth=3
	s_or_b32 exec_lo, exec_lo, s74
	s_and_b32 s17, s17, exec_lo
	s_or_saveexec_b32 s73, s73
	v_mov_b32_e32 v22, 0x7f800001
	s_xor_b32 exec_lo, exec_lo, s73
	s_cbranch_execnz .LBB6_15795
.LBB6_15692:                            ;   in Loop: Header=BB6_15150 Depth=3
	s_or_b32 exec_lo, exec_lo, s73
	s_and_saveexec_b32 s73, s17
	s_cbranch_execz .LBB6_15694
.LBB6_15693:                            ;   in Loop: Header=BB6_15150 Depth=3
	v_mov_b32_e32 v22, 3
	v_bfe_u32 v50, v11, 26, 5
	v_and_b32_sdwa v22, v11, v22 dst_sel:DWORD dst_unused:UNUSED_PAD src0_sel:BYTE_3 src1_sel:DWORD
	v_cmp_eq_u32_e32 vcc_lo, 0, v50
	v_ffbh_u32_e32 v31, v22
	v_min_u32_e32 v31, 32, v31
	v_subrev_nc_u32_e32 v37, 29, v31
	v_sub_nc_u32_e32 v31, 30, v31
	v_lshlrev_b32_sdwa v37, v37, v11 dst_sel:DWORD dst_unused:UNUSED_PAD src0_sel:DWORD src1_sel:BYTE_3
	v_cndmask_b32_e32 v31, v50, v31, vcc_lo
	v_and_b32_e32 v11, 0x80000000, v11
	v_and_b32_e32 v37, 3, v37
	v_lshl_add_u32 v31, v31, 23, 0x37800000
	v_cndmask_b32_e32 v22, v22, v37, vcc_lo
	v_lshlrev_b32_e32 v22, 21, v22
	v_or3_b32 v22, v11, v31, v22
.LBB6_15694:                            ;   in Loop: Header=BB6_15150 Depth=3
	s_or_b32 exec_lo, exec_lo, s73
	v_add_f32_e32 v11, v24, v22
	v_and_b32_e32 v22, 0x7f800000, v11
	v_cmp_ne_u32_e32 vcc_lo, 0x7f800000, v22
	v_mov_b32_e32 v22, 0x8000
	s_and_saveexec_b32 s73, vcc_lo
	s_cbranch_execz .LBB6_15149
; %bb.15695:                            ;   in Loop: Header=BB6_15150 Depth=3
	v_mov_b32_e32 v22, 0
	s_mov_b32 s74, exec_lo
	v_cmpx_ne_u32_e32 0, v11
	s_cbranch_execz .LBB6_15148
; %bb.15696:                            ;   in Loop: Header=BB6_15150 Depth=3
	v_bfe_u32 v22, v11, 23, 8
	v_and_b32_e32 v24, 0x7fffff, v11
	v_sub_nc_u32_e32 v31, 0x70, v22
	v_cmp_gt_u32_e32 vcc_lo, 0x71, v22
	v_or_b32_e32 v37, 0x800000, v24
	v_cndmask_b32_e32 v31, 0, v31, vcc_lo
	v_cmp_eq_u32_e32 vcc_lo, 0, v22
	v_add_nc_u32_e32 v22, 0xffffff91, v22
	v_cndmask_b32_e64 v31, v31, 0x6f, vcc_lo
	v_cndmask_b32_e32 v24, v37, v24, vcc_lo
	v_cndmask_b32_e64 v22, v22, 0xffffff92, vcc_lo
	v_lshl_add_u32 v37, 0x200000, v31, -1
	v_lshrrev_b32_e32 v50, v31, v24
	v_lshlrev_b32_e64 v52, v31, 0x100000
	v_add_nc_u32_e32 v31, v31, v22
	v_and_b32_e32 v24, v37, v24
	v_bfe_u32 v51, v50, 21, 1
	v_cmp_eq_u32_e64 s17, v24, v52
	v_add_nc_u32_e32 v37, -1, v51
	v_cndmask_b32_e64 v24, 0, v37, s17
	v_lshrrev_b32_e32 v37, 23, v50
	s_mov_b32 s17, exec_lo
	v_add_nc_u32_e32 v24, v24, v50
	v_xor_b32_e32 v37, 1, v37
	v_and_b32_e32 v22, 0x1fffff, v24
	v_add_nc_u32_e32 v24, v22, v50
                                        ; implicit-def: $vgpr22
	v_cmpx_ne_u32_e64 v31, v37
	s_xor_b32 s17, exec_lo, s17
; %bb.15697:                            ;   in Loop: Header=BB6_15150 Depth=3
	v_cmp_lt_u32_e32 vcc_lo, 0xffffff, v24
	v_sub_nc_u32_e32 v22, v31, v37
	v_cndmask_b32_e64 v31, 0, 1, vcc_lo
	v_add_co_ci_u32_e64 v22, null, 0, v22, vcc_lo
	v_lshrrev_b32_e32 v24, v31, v24
; %bb.15698:                            ;   in Loop: Header=BB6_15150 Depth=3
	s_andn2_saveexec_b32 s17, s17
	s_cbranch_execz .LBB6_15147
; %bb.15699:                            ;   in Loop: Header=BB6_15150 Depth=3
	v_bfe_u32 v22, v24, 23, 1
	s_branch .LBB6_15147
.LBB6_15700:                            ;   in Loop: Header=BB6_15150 Depth=3
	s_or_saveexec_b32 s74, s74
	v_mov_b32_e32 v18, 0x7f800001
	s_xor_b32 exec_lo, exec_lo, s74
	s_cbranch_execz .LBB6_15162
.LBB6_15701:                            ;   in Loop: Header=BB6_15150 Depth=3
	v_cmp_ne_u16_sdwa s75, v8, v2 src0_sel:BYTE_0 src1_sel:DWORD
	v_mov_b32_e32 v18, 0
	s_andn2_b32 s17, s17, exec_lo
	s_and_b32 s75, s75, exec_lo
	s_or_b32 s17, s17, s75
	s_or_b32 exec_lo, exec_lo, s74
	s_and_saveexec_b32 s74, s17
	s_cbranch_execnz .LBB6_15163
	s_branch .LBB6_15164
.LBB6_15702:                            ;   in Loop: Header=BB6_15150 Depth=3
	s_or_saveexec_b32 s74, s74
	v_mov_b32_e32 v19, 0x7f800001
	s_xor_b32 exec_lo, exec_lo, s74
	s_cbranch_execz .LBB6_15176
.LBB6_15703:                            ;   in Loop: Header=BB6_15150 Depth=3
	v_cmp_ne_u16_sdwa s75, v8, v2 src0_sel:BYTE_1 src1_sel:DWORD
	v_mov_b32_e32 v19, 0
	s_andn2_b32 s17, s17, exec_lo
	s_and_b32 s75, s75, exec_lo
	s_or_b32 s17, s17, s75
	s_or_b32 exec_lo, exec_lo, s74
	s_and_saveexec_b32 s74, s17
	s_cbranch_execnz .LBB6_15177
	s_branch .LBB6_15178
.LBB6_15704:                            ;   in Loop: Header=BB6_15150 Depth=3
	s_or_saveexec_b32 s74, s74
	v_mov_b32_e32 v19, 0x7f800001
	s_xor_b32 exec_lo, exec_lo, s74
	s_cbranch_execz .LBB6_15190
.LBB6_15705:                            ;   in Loop: Header=BB6_15150 Depth=3
	v_cmp_ne_u16_e32 vcc_lo, 0, v20
	v_mov_b32_e32 v19, 0
	s_andn2_b32 s17, s17, exec_lo
	s_and_b32 s75, vcc_lo, exec_lo
	s_or_b32 s17, s17, s75
	s_or_b32 exec_lo, exec_lo, s74
	s_and_saveexec_b32 s74, s17
	s_cbranch_execnz .LBB6_15191
	s_branch .LBB6_15192
.LBB6_15706:                            ;   in Loop: Header=BB6_15150 Depth=3
	s_or_saveexec_b32 s74, s74
	v_mov_b32_e32 v19, 0x7f800001
	s_xor_b32 exec_lo, exec_lo, s74
	s_cbranch_execz .LBB6_15204
.LBB6_15707:                            ;   in Loop: Header=BB6_15150 Depth=3
	v_cmp_ne_u16_sdwa s75, v8, v2 src0_sel:BYTE_3 src1_sel:DWORD
	v_mov_b32_e32 v19, 0
	s_andn2_b32 s17, s17, exec_lo
	s_and_b32 s75, s75, exec_lo
	s_or_b32 s17, s17, s75
	s_or_b32 exec_lo, exec_lo, s74
	s_and_saveexec_b32 s74, s17
	s_cbranch_execnz .LBB6_15205
	s_branch .LBB6_15206
.LBB6_15708:                            ;   in Loop: Header=BB6_15150 Depth=3
	s_or_saveexec_b32 s74, s74
	v_mov_b32_e32 v8, 0x7f800001
	s_xor_b32 exec_lo, exec_lo, s74
	s_cbranch_execz .LBB6_15218
.LBB6_15709:                            ;   in Loop: Header=BB6_15150 Depth=3
	v_cmp_ne_u16_sdwa s75, v9, v2 src0_sel:BYTE_0 src1_sel:DWORD
	v_mov_b32_e32 v8, 0
	s_andn2_b32 s17, s17, exec_lo
	s_and_b32 s75, s75, exec_lo
	s_or_b32 s17, s17, s75
	s_or_b32 exec_lo, exec_lo, s74
	s_and_saveexec_b32 s74, s17
	s_cbranch_execnz .LBB6_15219
	s_branch .LBB6_15220
.LBB6_15710:                            ;   in Loop: Header=BB6_15150 Depth=3
	s_or_saveexec_b32 s74, s74
	v_mov_b32_e32 v8, 0x7f800001
	s_xor_b32 exec_lo, exec_lo, s74
	s_cbranch_execz .LBB6_15232
.LBB6_15711:                            ;   in Loop: Header=BB6_15150 Depth=3
	v_cmp_ne_u16_sdwa s75, v9, v2 src0_sel:BYTE_1 src1_sel:DWORD
	v_mov_b32_e32 v8, 0
	s_andn2_b32 s17, s17, exec_lo
	s_and_b32 s75, s75, exec_lo
	s_or_b32 s17, s17, s75
	s_or_b32 exec_lo, exec_lo, s74
	s_and_saveexec_b32 s74, s17
	s_cbranch_execnz .LBB6_15233
	s_branch .LBB6_15234
.LBB6_15712:                            ;   in Loop: Header=BB6_15150 Depth=3
	s_or_saveexec_b32 s74, s74
	v_mov_b32_e32 v8, 0x7f800001
	s_xor_b32 exec_lo, exec_lo, s74
	s_cbranch_execz .LBB6_15246
.LBB6_15713:                            ;   in Loop: Header=BB6_15150 Depth=3
	v_cmp_ne_u16_e32 vcc_lo, 0, v19
	v_mov_b32_e32 v8, 0
	s_andn2_b32 s17, s17, exec_lo
	s_and_b32 s75, vcc_lo, exec_lo
	s_or_b32 s17, s17, s75
	s_or_b32 exec_lo, exec_lo, s74
	s_and_saveexec_b32 s74, s17
	s_cbranch_execnz .LBB6_15247
	s_branch .LBB6_15248
.LBB6_15714:                            ;   in Loop: Header=BB6_15150 Depth=3
	s_or_saveexec_b32 s74, s74
	v_mov_b32_e32 v8, 0x7f800001
	s_xor_b32 exec_lo, exec_lo, s74
	s_cbranch_execz .LBB6_15260
.LBB6_15715:                            ;   in Loop: Header=BB6_15150 Depth=3
	v_cmp_ne_u16_sdwa s75, v9, v2 src0_sel:BYTE_3 src1_sel:DWORD
	v_mov_b32_e32 v8, 0
	s_andn2_b32 s17, s17, exec_lo
	s_and_b32 s75, s75, exec_lo
	s_or_b32 s17, s17, s75
	s_or_b32 exec_lo, exec_lo, s74
	s_and_saveexec_b32 s74, s17
	s_cbranch_execnz .LBB6_15261
	s_branch .LBB6_15262
.LBB6_15716:                            ;   in Loop: Header=BB6_15150 Depth=3
	s_or_saveexec_b32 s74, s74
	v_mov_b32_e32 v8, 0x7f800001
	s_xor_b32 exec_lo, exec_lo, s74
	s_cbranch_execz .LBB6_15274
.LBB6_15717:                            ;   in Loop: Header=BB6_15150 Depth=3
	v_cmp_ne_u16_sdwa s75, v10, v2 src0_sel:BYTE_0 src1_sel:DWORD
	v_mov_b32_e32 v8, 0
	s_andn2_b32 s17, s17, exec_lo
	s_and_b32 s75, s75, exec_lo
	s_or_b32 s17, s17, s75
	s_or_b32 exec_lo, exec_lo, s74
	s_and_saveexec_b32 s74, s17
	s_cbranch_execnz .LBB6_15275
	s_branch .LBB6_15276
.LBB6_15718:                            ;   in Loop: Header=BB6_15150 Depth=3
	s_or_saveexec_b32 s74, s74
	v_mov_b32_e32 v8, 0x7f800001
	s_xor_b32 exec_lo, exec_lo, s74
	s_cbranch_execz .LBB6_15288
.LBB6_15719:                            ;   in Loop: Header=BB6_15150 Depth=3
	v_cmp_ne_u16_sdwa s75, v10, v2 src0_sel:BYTE_1 src1_sel:DWORD
	v_mov_b32_e32 v8, 0
	s_andn2_b32 s17, s17, exec_lo
	s_and_b32 s75, s75, exec_lo
	s_or_b32 s17, s17, s75
	s_or_b32 exec_lo, exec_lo, s74
	s_and_saveexec_b32 s74, s17
	s_cbranch_execnz .LBB6_15289
	s_branch .LBB6_15290
.LBB6_15720:                            ;   in Loop: Header=BB6_15150 Depth=3
	s_or_saveexec_b32 s74, s74
	v_mov_b32_e32 v8, 0x7f800001
	s_xor_b32 exec_lo, exec_lo, s74
	s_cbranch_execz .LBB6_15302
.LBB6_15721:                            ;   in Loop: Header=BB6_15150 Depth=3
	v_cmp_ne_u16_e32 vcc_lo, 0, v9
	v_mov_b32_e32 v8, 0
	s_andn2_b32 s17, s17, exec_lo
	s_and_b32 s75, vcc_lo, exec_lo
	s_or_b32 s17, s17, s75
	s_or_b32 exec_lo, exec_lo, s74
	s_and_saveexec_b32 s74, s17
	s_cbranch_execnz .LBB6_15303
	s_branch .LBB6_15304
.LBB6_15722:                            ;   in Loop: Header=BB6_15150 Depth=3
	s_or_saveexec_b32 s74, s74
	v_mov_b32_e32 v8, 0x7f800001
	s_xor_b32 exec_lo, exec_lo, s74
	s_cbranch_execz .LBB6_15316
.LBB6_15723:                            ;   in Loop: Header=BB6_15150 Depth=3
	v_cmp_ne_u16_sdwa s75, v10, v2 src0_sel:BYTE_3 src1_sel:DWORD
	v_mov_b32_e32 v8, 0
	s_andn2_b32 s17, s17, exec_lo
	s_and_b32 s75, s75, exec_lo
	s_or_b32 s17, s17, s75
	s_or_b32 exec_lo, exec_lo, s74
	s_and_saveexec_b32 s74, s17
	s_cbranch_execnz .LBB6_15317
	s_branch .LBB6_15318
.LBB6_15724:                            ;   in Loop: Header=BB6_15150 Depth=3
	s_or_saveexec_b32 s74, s74
	v_mov_b32_e32 v8, 0x7f800001
	s_xor_b32 exec_lo, exec_lo, s74
	s_cbranch_execz .LBB6_15330
.LBB6_15725:                            ;   in Loop: Header=BB6_15150 Depth=3
	v_cmp_ne_u16_sdwa s75, v11, v2 src0_sel:BYTE_0 src1_sel:DWORD
	v_mov_b32_e32 v8, 0
	s_andn2_b32 s17, s17, exec_lo
	s_and_b32 s75, s75, exec_lo
	s_or_b32 s17, s17, s75
	s_or_b32 exec_lo, exec_lo, s74
	s_and_saveexec_b32 s74, s17
	s_cbranch_execnz .LBB6_15331
	s_branch .LBB6_15332
.LBB6_15726:                            ;   in Loop: Header=BB6_15150 Depth=3
	s_or_saveexec_b32 s74, s74
	v_mov_b32_e32 v8, 0x7f800001
	s_xor_b32 exec_lo, exec_lo, s74
	s_cbranch_execz .LBB6_15344
.LBB6_15727:                            ;   in Loop: Header=BB6_15150 Depth=3
	v_cmp_ne_u16_sdwa s75, v11, v2 src0_sel:BYTE_1 src1_sel:DWORD
	v_mov_b32_e32 v8, 0
	s_andn2_b32 s17, s17, exec_lo
	s_and_b32 s75, s75, exec_lo
	s_or_b32 s17, s17, s75
	s_or_b32 exec_lo, exec_lo, s74
	s_and_saveexec_b32 s74, s17
	s_cbranch_execnz .LBB6_15345
	s_branch .LBB6_15346
.LBB6_15728:                            ;   in Loop: Header=BB6_15150 Depth=3
	s_or_saveexec_b32 s74, s74
	v_mov_b32_e32 v8, 0x7f800001
	s_xor_b32 exec_lo, exec_lo, s74
	s_cbranch_execz .LBB6_15358
.LBB6_15729:                            ;   in Loop: Header=BB6_15150 Depth=3
	v_cmp_ne_u16_e32 vcc_lo, 0, v9
	v_mov_b32_e32 v8, 0
	s_andn2_b32 s17, s17, exec_lo
	s_and_b32 s75, vcc_lo, exec_lo
	s_or_b32 s17, s17, s75
	s_or_b32 exec_lo, exec_lo, s74
	s_and_saveexec_b32 s74, s17
	s_cbranch_execnz .LBB6_15359
	s_branch .LBB6_15360
.LBB6_15730:                            ;   in Loop: Header=BB6_15150 Depth=3
	s_or_saveexec_b32 s74, s74
	v_mov_b32_e32 v8, 0x7f800001
	s_xor_b32 exec_lo, exec_lo, s74
	s_cbranch_execz .LBB6_15372
.LBB6_15731:                            ;   in Loop: Header=BB6_15150 Depth=3
	v_cmp_ne_u16_sdwa s75, v11, v2 src0_sel:BYTE_3 src1_sel:DWORD
	v_mov_b32_e32 v8, 0
	s_andn2_b32 s17, s17, exec_lo
	s_and_b32 s75, s75, exec_lo
	s_or_b32 s17, s17, s75
	s_or_b32 exec_lo, exec_lo, s74
	s_and_saveexec_b32 s74, s17
	s_cbranch_execnz .LBB6_15373
	s_branch .LBB6_15374
.LBB6_15732:                            ;   in Loop: Header=BB6_15150 Depth=3
	s_or_saveexec_b32 s73, s73
	v_mov_b32_e32 v18, 0x7f800001
	s_xor_b32 exec_lo, exec_lo, s73
	s_cbranch_execz .LBB6_15386
.LBB6_15733:                            ;   in Loop: Header=BB6_15150 Depth=3
	v_cmp_ne_u16_sdwa s74, v50, v2 src0_sel:BYTE_0 src1_sel:DWORD
	v_mov_b32_e32 v18, 0
	s_andn2_b32 s17, s17, exec_lo
	s_and_b32 s74, s74, exec_lo
	s_or_b32 s17, s17, s74
	s_or_b32 exec_lo, exec_lo, s73
	s_and_saveexec_b32 s73, s17
	s_cbranch_execnz .LBB6_15387
	s_branch .LBB6_15388
.LBB6_15734:                            ;   in Loop: Header=BB6_15150 Depth=3
	s_or_saveexec_b32 s73, s73
	v_mov_b32_e32 v21, 0x7f800001
	s_xor_b32 exec_lo, exec_lo, s73
	s_cbranch_execz .LBB6_15392
.LBB6_15735:                            ;   in Loop: Header=BB6_15150 Depth=3
	v_cmp_ne_u16_sdwa s74, v8, v2 src0_sel:BYTE_0 src1_sel:DWORD
	v_mov_b32_e32 v21, 0
	s_andn2_b32 s17, s17, exec_lo
	s_and_b32 s74, s74, exec_lo
	s_or_b32 s17, s17, s74
	s_or_b32 exec_lo, exec_lo, s73
	s_and_saveexec_b32 s73, s17
	s_cbranch_execnz .LBB6_15393
	s_branch .LBB6_15394
.LBB6_15736:                            ;   in Loop: Header=BB6_15150 Depth=3
	s_or_saveexec_b32 s73, s73
	v_mov_b32_e32 v21, 0x7f800001
	s_xor_b32 exec_lo, exec_lo, s73
	s_cbranch_execz .LBB6_15406
.LBB6_15737:                            ;   in Loop: Header=BB6_15150 Depth=3
	v_cmp_ne_u16_sdwa s74, v50, v2 src0_sel:BYTE_1 src1_sel:DWORD
	v_mov_b32_e32 v21, 0
	s_andn2_b32 s17, s17, exec_lo
	s_and_b32 s74, s74, exec_lo
	s_or_b32 s17, s17, s74
	s_or_b32 exec_lo, exec_lo, s73
	s_and_saveexec_b32 s73, s17
	s_cbranch_execnz .LBB6_15407
	s_branch .LBB6_15408
.LBB6_15738:                            ;   in Loop: Header=BB6_15150 Depth=3
	s_or_saveexec_b32 s73, s73
	v_mov_b32_e32 v51, 0x7f800001
	s_xor_b32 exec_lo, exec_lo, s73
	s_cbranch_execz .LBB6_15412
.LBB6_15739:                            ;   in Loop: Header=BB6_15150 Depth=3
	v_cmp_ne_u16_sdwa s74, v8, v2 src0_sel:BYTE_1 src1_sel:DWORD
	v_mov_b32_e32 v51, 0
	s_andn2_b32 s17, s17, exec_lo
	s_and_b32 s74, s74, exec_lo
	s_or_b32 s17, s17, s74
	s_or_b32 exec_lo, exec_lo, s73
	s_and_saveexec_b32 s73, s17
	s_cbranch_execnz .LBB6_15413
	s_branch .LBB6_15414
.LBB6_15740:                            ;   in Loop: Header=BB6_15150 Depth=3
	s_or_saveexec_b32 s73, s73
	v_mov_b32_e32 v26, 0x7f800001
	s_xor_b32 exec_lo, exec_lo, s73
	s_cbranch_execz .LBB6_15426
.LBB6_15741:                            ;   in Loop: Header=BB6_15150 Depth=3
	v_cmp_ne_u16_sdwa s74, v37, v2 src0_sel:BYTE_0 src1_sel:DWORD
	v_mov_b32_e32 v26, 0
	s_andn2_b32 s17, s17, exec_lo
	s_and_b32 s74, s74, exec_lo
	s_or_b32 s17, s17, s74
	s_or_b32 exec_lo, exec_lo, s73
	v_lshl_or_b32 v37, v37, 16, v50
	s_and_saveexec_b32 s73, s17
	s_cbranch_execnz .LBB6_15427
	s_branch .LBB6_15428
.LBB6_15742:                            ;   in Loop: Header=BB6_15150 Depth=3
	s_or_saveexec_b32 s73, s73
	v_mov_b32_e32 v50, 0x7f800001
	s_xor_b32 exec_lo, exec_lo, s73
	s_cbranch_execz .LBB6_15432
.LBB6_15743:                            ;   in Loop: Header=BB6_15150 Depth=3
	v_cmp_ne_u16_e32 vcc_lo, 0, v51
	v_mov_b32_e32 v50, 0
	s_andn2_b32 s17, s17, exec_lo
	s_and_b32 s74, vcc_lo, exec_lo
	s_or_b32 s17, s17, s74
	s_or_b32 exec_lo, exec_lo, s73
	s_and_saveexec_b32 s73, s17
	s_cbranch_execnz .LBB6_15433
	s_branch .LBB6_15434
.LBB6_15744:                            ;   in Loop: Header=BB6_15150 Depth=3
	s_or_saveexec_b32 s73, s73
	v_mov_b32_e32 v50, 0x7f800001
	s_xor_b32 exec_lo, exec_lo, s73
	s_cbranch_execz .LBB6_15446
.LBB6_15745:                            ;   in Loop: Header=BB6_15150 Depth=3
	v_cmp_ne_u16_sdwa s74, v37, v2 src0_sel:BYTE_3 src1_sel:DWORD
	v_mov_b32_e32 v50, 0
	s_andn2_b32 s17, s17, exec_lo
	s_and_b32 s74, s74, exec_lo
	s_or_b32 s17, s17, s74
	s_or_b32 exec_lo, exec_lo, s73
	s_and_saveexec_b32 s73, s17
	s_cbranch_execnz .LBB6_15447
	s_branch .LBB6_15448
.LBB6_15746:                            ;   in Loop: Header=BB6_15150 Depth=3
	s_or_saveexec_b32 s73, s73
	v_mov_b32_e32 v37, 0x7f800001
	s_xor_b32 exec_lo, exec_lo, s73
	s_cbranch_execz .LBB6_15452
.LBB6_15747:                            ;   in Loop: Header=BB6_15150 Depth=3
	v_cmp_ne_u16_sdwa s74, v8, v2 src0_sel:BYTE_3 src1_sel:DWORD
	v_mov_b32_e32 v37, 0
	s_andn2_b32 s17, s17, exec_lo
	s_and_b32 s74, s74, exec_lo
	s_or_b32 s17, s17, s74
	s_or_b32 exec_lo, exec_lo, s73
	s_and_saveexec_b32 s73, s17
	s_cbranch_execnz .LBB6_15453
	s_branch .LBB6_15454
.LBB6_15748:                            ;   in Loop: Header=BB6_15150 Depth=3
	s_or_saveexec_b32 s73, s73
	v_mov_b32_e32 v30, 0x7f800001
	s_xor_b32 exec_lo, exec_lo, s73
	s_cbranch_execz .LBB6_15466
.LBB6_15749:                            ;   in Loop: Header=BB6_15150 Depth=3
	v_cmp_ne_u16_sdwa s74, v37, v2 src0_sel:BYTE_0 src1_sel:DWORD
	v_mov_b32_e32 v30, 0
	s_andn2_b32 s17, s17, exec_lo
	s_and_b32 s74, s74, exec_lo
	s_or_b32 s17, s17, s74
	s_or_b32 exec_lo, exec_lo, s73
	s_and_saveexec_b32 s73, s17
	s_cbranch_execnz .LBB6_15467
	s_branch .LBB6_15468
.LBB6_15750:                            ;   in Loop: Header=BB6_15150 Depth=3
	s_or_saveexec_b32 s73, s73
	v_mov_b32_e32 v36, 0x7f800001
	s_xor_b32 exec_lo, exec_lo, s73
	s_cbranch_execz .LBB6_15472
.LBB6_15751:                            ;   in Loop: Header=BB6_15150 Depth=3
	v_cmp_ne_u16_sdwa s74, v9, v2 src0_sel:BYTE_0 src1_sel:DWORD
	v_mov_b32_e32 v36, 0
	s_andn2_b32 s17, s17, exec_lo
	s_and_b32 s74, s74, exec_lo
	s_or_b32 s17, s17, s74
	s_or_b32 exec_lo, exec_lo, s73
	s_and_saveexec_b32 s73, s17
	s_cbranch_execnz .LBB6_15473
	s_branch .LBB6_15474
.LBB6_15752:                            ;   in Loop: Header=BB6_15150 Depth=3
	s_or_saveexec_b32 s73, s73
	v_mov_b32_e32 v36, 0x7f800001
	s_xor_b32 exec_lo, exec_lo, s73
	s_cbranch_execz .LBB6_15486
.LBB6_15753:                            ;   in Loop: Header=BB6_15150 Depth=3
	v_cmp_ne_u16_sdwa s74, v37, v2 src0_sel:BYTE_1 src1_sel:DWORD
	v_mov_b32_e32 v36, 0
	s_andn2_b32 s17, s17, exec_lo
	s_and_b32 s74, s74, exec_lo
	s_or_b32 s17, s17, s74
	s_or_b32 exec_lo, exec_lo, s73
	s_and_saveexec_b32 s73, s17
	s_cbranch_execnz .LBB6_15487
	s_branch .LBB6_15488
.LBB6_15754:                            ;   in Loop: Header=BB6_15150 Depth=3
	s_or_saveexec_b32 s73, s73
	v_mov_b32_e32 v50, 0x7f800001
	s_xor_b32 exec_lo, exec_lo, s73
	s_cbranch_execz .LBB6_15492
.LBB6_15755:                            ;   in Loop: Header=BB6_15150 Depth=3
	v_cmp_ne_u16_sdwa s74, v9, v2 src0_sel:BYTE_1 src1_sel:DWORD
	v_mov_b32_e32 v50, 0
	s_andn2_b32 s17, s17, exec_lo
	s_and_b32 s74, s74, exec_lo
	s_or_b32 s17, s17, s74
	s_or_b32 exec_lo, exec_lo, s73
	s_and_saveexec_b32 s73, s17
	s_cbranch_execnz .LBB6_15493
	s_branch .LBB6_15494
.LBB6_15756:                            ;   in Loop: Header=BB6_15150 Depth=3
	s_or_saveexec_b32 s73, s73
	v_mov_b32_e32 v28, 0x7f800001
	s_xor_b32 exec_lo, exec_lo, s73
	s_cbranch_execz .LBB6_15506
.LBB6_15757:                            ;   in Loop: Header=BB6_15150 Depth=3
	v_cmp_ne_u16_sdwa s74, v31, v2 src0_sel:BYTE_0 src1_sel:DWORD
	v_mov_b32_e32 v28, 0
	s_andn2_b32 s17, s17, exec_lo
	s_and_b32 s74, s74, exec_lo
	s_or_b32 s17, s17, s74
	s_or_b32 exec_lo, exec_lo, s73
	v_lshl_or_b32 v31, v31, 16, v37
	s_and_saveexec_b32 s73, s17
	s_cbranch_execnz .LBB6_15507
	s_branch .LBB6_15508
.LBB6_15758:                            ;   in Loop: Header=BB6_15150 Depth=3
	s_or_saveexec_b32 s73, s73
	v_mov_b32_e32 v37, 0x7f800001
	s_xor_b32 exec_lo, exec_lo, s73
	s_cbranch_execz .LBB6_15512
.LBB6_15759:                            ;   in Loop: Header=BB6_15150 Depth=3
	v_cmp_ne_u16_e32 vcc_lo, 0, v50
	v_mov_b32_e32 v37, 0
	s_andn2_b32 s17, s17, exec_lo
	s_and_b32 s74, vcc_lo, exec_lo
	s_or_b32 s17, s17, s74
	s_or_b32 exec_lo, exec_lo, s73
	s_and_saveexec_b32 s73, s17
	s_cbranch_execnz .LBB6_15513
	s_branch .LBB6_15514
.LBB6_15760:                            ;   in Loop: Header=BB6_15150 Depth=3
	s_or_saveexec_b32 s73, s73
	v_mov_b32_e32 v37, 0x7f800001
	s_xor_b32 exec_lo, exec_lo, s73
	s_cbranch_execz .LBB6_15526
.LBB6_15761:                            ;   in Loop: Header=BB6_15150 Depth=3
	v_cmp_ne_u16_sdwa s74, v31, v2 src0_sel:BYTE_3 src1_sel:DWORD
	v_mov_b32_e32 v37, 0
	s_andn2_b32 s17, s17, exec_lo
	s_and_b32 s74, s74, exec_lo
	s_or_b32 s17, s17, s74
	s_or_b32 exec_lo, exec_lo, s73
	s_and_saveexec_b32 s73, s17
	s_cbranch_execnz .LBB6_15527
	s_branch .LBB6_15528
.LBB6_15762:                            ;   in Loop: Header=BB6_15150 Depth=3
	s_or_saveexec_b32 s73, s73
	v_mov_b32_e32 v31, 0x7f800001
	s_xor_b32 exec_lo, exec_lo, s73
	s_cbranch_execz .LBB6_15532
.LBB6_15763:                            ;   in Loop: Header=BB6_15150 Depth=3
	v_cmp_ne_u16_sdwa s74, v9, v2 src0_sel:BYTE_3 src1_sel:DWORD
	v_mov_b32_e32 v31, 0
	s_andn2_b32 s17, s17, exec_lo
	s_and_b32 s74, s74, exec_lo
	s_or_b32 s17, s17, s74
	s_or_b32 exec_lo, exec_lo, s73
	s_and_saveexec_b32 s73, s17
	s_cbranch_execnz .LBB6_15533
	s_branch .LBB6_15534
.LBB6_15764:                            ;   in Loop: Header=BB6_15150 Depth=3
	s_or_saveexec_b32 s73, s73
	v_mov_b32_e32 v25, 0x7f800001
	s_xor_b32 exec_lo, exec_lo, s73
	s_cbranch_execz .LBB6_15546
.LBB6_15765:                            ;   in Loop: Header=BB6_15150 Depth=3
	v_cmp_ne_u16_sdwa s74, v31, v2 src0_sel:BYTE_0 src1_sel:DWORD
	v_mov_b32_e32 v25, 0
	s_andn2_b32 s17, s17, exec_lo
	s_and_b32 s74, s74, exec_lo
	s_or_b32 s17, s17, s74
	s_or_b32 exec_lo, exec_lo, s73
	s_and_saveexec_b32 s73, s17
	s_cbranch_execnz .LBB6_15547
	s_branch .LBB6_15548
.LBB6_15766:                            ;   in Loop: Header=BB6_15150 Depth=3
	s_or_saveexec_b32 s73, s73
	v_mov_b32_e32 v29, 0x7f800001
	s_xor_b32 exec_lo, exec_lo, s73
	s_cbranch_execz .LBB6_15552
.LBB6_15767:                            ;   in Loop: Header=BB6_15150 Depth=3
	v_cmp_ne_u16_sdwa s74, v10, v2 src0_sel:BYTE_0 src1_sel:DWORD
	v_mov_b32_e32 v29, 0
	s_andn2_b32 s17, s17, exec_lo
	s_and_b32 s74, s74, exec_lo
	s_or_b32 s17, s17, s74
	s_or_b32 exec_lo, exec_lo, s73
	s_and_saveexec_b32 s73, s17
	s_cbranch_execnz .LBB6_15553
	s_branch .LBB6_15554
.LBB6_15768:                            ;   in Loop: Header=BB6_15150 Depth=3
	s_or_saveexec_b32 s73, s73
	v_mov_b32_e32 v29, 0x7f800001
	s_xor_b32 exec_lo, exec_lo, s73
	s_cbranch_execz .LBB6_15566
.LBB6_15769:                            ;   in Loop: Header=BB6_15150 Depth=3
	v_cmp_ne_u16_sdwa s74, v31, v2 src0_sel:BYTE_1 src1_sel:DWORD
	v_mov_b32_e32 v29, 0
	s_andn2_b32 s17, s17, exec_lo
	s_and_b32 s74, s74, exec_lo
	s_or_b32 s17, s17, s74
	s_or_b32 exec_lo, exec_lo, s73
	s_and_saveexec_b32 s73, s17
	s_cbranch_execnz .LBB6_15567
	s_branch .LBB6_15568
.LBB6_15770:                            ;   in Loop: Header=BB6_15150 Depth=3
	s_or_saveexec_b32 s73, s73
	v_mov_b32_e32 v37, 0x7f800001
	s_xor_b32 exec_lo, exec_lo, s73
	s_cbranch_execz .LBB6_15572
.LBB6_15771:                            ;   in Loop: Header=BB6_15150 Depth=3
	v_cmp_ne_u16_sdwa s74, v10, v2 src0_sel:BYTE_1 src1_sel:DWORD
	v_mov_b32_e32 v37, 0
	s_andn2_b32 s17, s17, exec_lo
	s_and_b32 s74, s74, exec_lo
	s_or_b32 s17, s17, s74
	s_or_b32 exec_lo, exec_lo, s73
	s_and_saveexec_b32 s73, s17
	s_cbranch_execnz .LBB6_15573
	s_branch .LBB6_15574
.LBB6_15772:                            ;   in Loop: Header=BB6_15150 Depth=3
	s_or_saveexec_b32 s73, s73
	v_mov_b32_e32 v23, 0x7f800001
	s_xor_b32 exec_lo, exec_lo, s73
	s_cbranch_execz .LBB6_15586
.LBB6_15773:                            ;   in Loop: Header=BB6_15150 Depth=3
	v_cmp_ne_u16_sdwa s74, v27, v2 src0_sel:BYTE_0 src1_sel:DWORD
	v_mov_b32_e32 v23, 0
	s_andn2_b32 s17, s17, exec_lo
	s_and_b32 s74, s74, exec_lo
	s_or_b32 s17, s17, s74
	s_or_b32 exec_lo, exec_lo, s73
	v_lshl_or_b32 v27, v27, 16, v31
	s_and_saveexec_b32 s73, s17
	s_cbranch_execnz .LBB6_15587
	s_branch .LBB6_15588
.LBB6_15774:                            ;   in Loop: Header=BB6_15150 Depth=3
	s_or_saveexec_b32 s73, s73
	v_mov_b32_e32 v31, 0x7f800001
	s_xor_b32 exec_lo, exec_lo, s73
	s_cbranch_execz .LBB6_15592
.LBB6_15775:                            ;   in Loop: Header=BB6_15150 Depth=3
	v_cmp_ne_u16_e32 vcc_lo, 0, v37
	v_mov_b32_e32 v31, 0
	s_andn2_b32 s17, s17, exec_lo
	s_and_b32 s74, vcc_lo, exec_lo
	s_or_b32 s17, s17, s74
	s_or_b32 exec_lo, exec_lo, s73
	s_and_saveexec_b32 s73, s17
	s_cbranch_execnz .LBB6_15593
	s_branch .LBB6_15594
.LBB6_15776:                            ;   in Loop: Header=BB6_15150 Depth=3
	s_or_saveexec_b32 s73, s73
	v_mov_b32_e32 v31, 0x7f800001
	s_xor_b32 exec_lo, exec_lo, s73
	s_cbranch_execz .LBB6_15606
.LBB6_15777:                            ;   in Loop: Header=BB6_15150 Depth=3
	v_cmp_ne_u16_sdwa s74, v27, v2 src0_sel:BYTE_3 src1_sel:DWORD
	v_mov_b32_e32 v31, 0
	s_andn2_b32 s17, s17, exec_lo
	s_and_b32 s74, s74, exec_lo
	s_or_b32 s17, s17, s74
	s_or_b32 exec_lo, exec_lo, s73
	s_and_saveexec_b32 s73, s17
	s_cbranch_execnz .LBB6_15607
	s_branch .LBB6_15608
.LBB6_15778:                            ;   in Loop: Header=BB6_15150 Depth=3
	s_or_saveexec_b32 s73, s73
	v_mov_b32_e32 v27, 0x7f800001
	s_xor_b32 exec_lo, exec_lo, s73
	s_cbranch_execz .LBB6_15612
.LBB6_15779:                            ;   in Loop: Header=BB6_15150 Depth=3
	v_cmp_ne_u16_sdwa s74, v10, v2 src0_sel:BYTE_3 src1_sel:DWORD
	v_mov_b32_e32 v27, 0
	s_andn2_b32 s17, s17, exec_lo
	s_and_b32 s74, s74, exec_lo
	s_or_b32 s17, s17, s74
	s_or_b32 exec_lo, exec_lo, s73
	s_and_saveexec_b32 s73, s17
	s_cbranch_execnz .LBB6_15613
	s_branch .LBB6_15614
.LBB6_15780:                            ;   in Loop: Header=BB6_15150 Depth=3
	s_or_saveexec_b32 s73, s73
	v_mov_b32_e32 v20, 0x7f800001
	s_xor_b32 exec_lo, exec_lo, s73
	s_cbranch_execz .LBB6_15626
.LBB6_15781:                            ;   in Loop: Header=BB6_15150 Depth=3
	v_cmp_ne_u16_sdwa s74, v24, v2 src0_sel:BYTE_0 src1_sel:DWORD
	v_mov_b32_e32 v20, 0
	s_andn2_b32 s17, s17, exec_lo
	s_and_b32 s74, s74, exec_lo
	s_or_b32 s17, s17, s74
	s_or_b32 exec_lo, exec_lo, s73
	s_and_saveexec_b32 s73, s17
	s_cbranch_execnz .LBB6_15627
	s_branch .LBB6_15628
.LBB6_15782:                            ;   in Loop: Header=BB6_15150 Depth=3
	s_or_saveexec_b32 s73, s73
	v_mov_b32_e32 v27, 0x7f800001
	s_xor_b32 exec_lo, exec_lo, s73
	s_cbranch_execz .LBB6_15632
.LBB6_15783:                            ;   in Loop: Header=BB6_15150 Depth=3
	v_cmp_ne_u16_sdwa s74, v11, v2 src0_sel:BYTE_0 src1_sel:DWORD
	v_mov_b32_e32 v27, 0
	s_andn2_b32 s17, s17, exec_lo
	s_and_b32 s74, s74, exec_lo
	s_or_b32 s17, s17, s74
	s_or_b32 exec_lo, exec_lo, s73
	s_and_saveexec_b32 s73, s17
	s_cbranch_execnz .LBB6_15633
	s_branch .LBB6_15634
.LBB6_15784:                            ;   in Loop: Header=BB6_15150 Depth=3
	s_or_saveexec_b32 s73, s73
	v_mov_b32_e32 v27, 0x7f800001
	s_xor_b32 exec_lo, exec_lo, s73
	s_cbranch_execz .LBB6_15646
.LBB6_15785:                            ;   in Loop: Header=BB6_15150 Depth=3
	v_cmp_ne_u16_sdwa s74, v24, v2 src0_sel:BYTE_1 src1_sel:DWORD
	v_mov_b32_e32 v27, 0
	s_andn2_b32 s17, s17, exec_lo
	s_and_b32 s74, s74, exec_lo
	s_or_b32 s17, s17, s74
	s_or_b32 exec_lo, exec_lo, s73
	s_and_saveexec_b32 s73, s17
	s_cbranch_execnz .LBB6_15647
	s_branch .LBB6_15648
.LBB6_15786:                            ;   in Loop: Header=BB6_15150 Depth=3
	s_or_saveexec_b32 s73, s73
	v_mov_b32_e32 v31, 0x7f800001
	s_xor_b32 exec_lo, exec_lo, s73
	s_cbranch_execz .LBB6_15652
.LBB6_15787:                            ;   in Loop: Header=BB6_15150 Depth=3
	v_cmp_ne_u16_sdwa s74, v11, v2 src0_sel:BYTE_1 src1_sel:DWORD
	v_mov_b32_e32 v31, 0
	s_andn2_b32 s17, s17, exec_lo
	s_and_b32 s74, s74, exec_lo
	s_or_b32 s17, s17, s74
	s_or_b32 exec_lo, exec_lo, s73
	s_and_saveexec_b32 s73, s17
	s_cbranch_execnz .LBB6_15653
	s_branch .LBB6_15654
.LBB6_15788:                            ;   in Loop: Header=BB6_15150 Depth=3
	s_or_saveexec_b32 s73, s73
	v_mov_b32_e32 v19, 0x7f800001
	s_xor_b32 exec_lo, exec_lo, s73
	s_cbranch_execz .LBB6_15666
.LBB6_15789:                            ;   in Loop: Header=BB6_15150 Depth=3
	v_cmp_ne_u16_sdwa s74, v22, v2 src0_sel:BYTE_0 src1_sel:DWORD
	v_mov_b32_e32 v19, 0
	s_andn2_b32 s17, s17, exec_lo
	s_and_b32 s74, s74, exec_lo
	s_or_b32 s17, s17, s74
	s_or_b32 exec_lo, exec_lo, s73
	v_lshl_or_b32 v22, v22, 16, v24
	s_and_saveexec_b32 s73, s17
	s_cbranch_execnz .LBB6_15667
	s_branch .LBB6_15668
.LBB6_15790:                            ;   in Loop: Header=BB6_15150 Depth=3
	s_or_saveexec_b32 s73, s73
	v_mov_b32_e32 v24, 0x7f800001
	s_xor_b32 exec_lo, exec_lo, s73
	s_cbranch_execz .LBB6_15672
.LBB6_15791:                            ;   in Loop: Header=BB6_15150 Depth=3
	v_cmp_ne_u16_e32 vcc_lo, 0, v31
	v_mov_b32_e32 v24, 0
	s_andn2_b32 s17, s17, exec_lo
	s_and_b32 s74, vcc_lo, exec_lo
	s_or_b32 s17, s17, s74
	s_or_b32 exec_lo, exec_lo, s73
	s_and_saveexec_b32 s73, s17
	s_cbranch_execnz .LBB6_15673
	s_branch .LBB6_15674
.LBB6_15792:                            ;   in Loop: Header=BB6_15150 Depth=3
	s_or_saveexec_b32 s73, s73
	v_mov_b32_e32 v24, 0x7f800001
	s_xor_b32 exec_lo, exec_lo, s73
	s_cbranch_execz .LBB6_15686
.LBB6_15793:                            ;   in Loop: Header=BB6_15150 Depth=3
	v_cmp_ne_u16_sdwa s74, v22, v2 src0_sel:BYTE_3 src1_sel:DWORD
	v_mov_b32_e32 v24, 0
	s_andn2_b32 s17, s17, exec_lo
	s_and_b32 s74, s74, exec_lo
	s_or_b32 s17, s17, s74
	s_or_b32 exec_lo, exec_lo, s73
	s_and_saveexec_b32 s73, s17
	s_cbranch_execnz .LBB6_15687
	s_branch .LBB6_15688
.LBB6_15794:                            ;   in Loop: Header=BB6_15150 Depth=3
	s_or_saveexec_b32 s73, s73
	v_mov_b32_e32 v22, 0x7f800001
	s_xor_b32 exec_lo, exec_lo, s73
	s_cbranch_execz .LBB6_15692
.LBB6_15795:                            ;   in Loop: Header=BB6_15150 Depth=3
	v_cmp_ne_u16_sdwa s74, v11, v2 src0_sel:BYTE_3 src1_sel:DWORD
	v_mov_b32_e32 v22, 0
	s_andn2_b32 s17, s17, exec_lo
	s_and_b32 s74, s74, exec_lo
	s_or_b32 s17, s17, s74
	s_or_b32 exec_lo, exec_lo, s73
	s_and_saveexec_b32 s73, s17
	s_cbranch_execnz .LBB6_15693
	s_branch .LBB6_15694
.LBB6_15796:                            ;   in Loop: Header=BB6_7909 Depth=2
	s_or_b32 exec_lo, exec_lo, s22
.LBB6_15797:                            ;   in Loop: Header=BB6_7909 Depth=2
	s_or_b32 exec_lo, exec_lo, s19
	buffer_load_dword v7, off, s[0:3], s33 offset:260 ; 4-byte Folded Reload
	v_cmp_lt_i32_e32 vcc_lo, 0, v6
	v_cndmask_b32_e32 v9, 0, v103, vcc_lo
	v_sub_nc_u32_e32 v6, v9, v6
	v_lshl_add_u32 v4, v6, 5, v4
	s_waitcnt vmcnt(0)
	v_and_b32_e32 v7, 15, v7
	v_sub_nc_u32_e32 v8, v1, v7
	v_cndmask_b32_e64 v1, v1, v7, s16
	v_cndmask_b32_e64 v7, 0, v8, s16
	v_cmp_ne_u32_e32 vcc_lo, 0, v1
	v_add3_u32 v0, v0, v5, v7
	s_and_b32 s16, vcc_lo, exec_lo
.LBB6_15798:                            ;   in Loop: Header=BB6_7909 Depth=2
	s_or_b32 exec_lo, exec_lo, s18
	s_and_saveexec_b32 s17, s16
	s_cbranch_execz .LBB6_17143
.LBB6_15799:                            ;   in Loop: Header=BB6_7909 Depth=2
	s_waitcnt vmcnt(0)
	v_ashrrev_i32_e32 v5, 31, v4
	v_ashrrev_i32_e32 v6, 31, v1
	s_mov_b32 s18, exec_lo
	v_lshrrev_b32_e32 v5, 27, v5
	v_lshrrev_b32_e32 v7, 22, v6
	v_add_nc_u32_e32 v6, v4, v5
	v_add_nc_u32_e32 v7, v1, v7
	v_ashrrev_i32_e32 v5, 5, v6
	v_ashrrev_i32_e32 v17, 10, v7
	v_sub_nc_u32_e32 v16, v17, v5
	v_cmpx_lt_i32_e32 0, v16
	s_cbranch_execz .LBB6_17091
; %bb.15800:                            ;   in Loop: Header=BB6_7909 Depth=2
	v_and_b32_e32 v8, 0xffffffe0, v6
	v_lshlrev_b32_e32 v9, 10, v5
	s_trap 2
	ds_read_b64 v[6:7], v0
	s_mov_b32 s19, 0
	v_sub_nc_u32_e32 v8, v4, v8
	v_add3_u32 v12, v0, v8, v9
	s_clause 0x1
	buffer_load_dword v8, off, s[0:3], s33 offset:264
	buffer_load_dword v9, off, s[0:3], s33 offset:268
	v_ashrrev_i32_e32 v13, 31, v12
	s_waitcnt vmcnt(1)
	v_add_co_u32 v14, vcc_lo, 0x3e0, v8
	s_waitcnt vmcnt(0)
	v_add_co_ci_u32_e64 v15, null, 0, v9, vcc_lo
	v_add_co_u32 v8, vcc_lo, v12, v69
	v_add_co_ci_u32_e64 v9, null, v13, v70, vcc_lo
	s_waitcnt lgkmcnt(0)
	v_add_co_u32 v10, vcc_lo, v6, v12
	v_add_co_ci_u32_e64 v11, null, v7, v13, vcc_lo
	v_add_co_u32 v12, vcc_lo, v14, v12
	v_add_co_ci_u32_e64 v13, null, v15, v13, vcc_lo
	s_branch .LBB6_15804
.LBB6_15801:                            ;   in Loop: Header=BB6_15804 Depth=3
	s_or_b32 exec_lo, exec_lo, s16
	v_lshrrev_b32_e32 v19, 21, v19
	v_cmp_gt_i32_e32 vcc_lo, 32, v6
	v_min_i32_e32 v23, 31, v6
	v_and_b32_sdwa v7, v7, v117 dst_sel:DWORD dst_unused:UNUSED_PAD src0_sel:BYTE_3 src1_sel:DWORD
	v_cndmask_b32_e32 v19, 3, v19, vcc_lo
	v_lshlrev_b32_e32 v23, 2, v23
	v_and_b32_e32 v26, 3, v19
	v_or_b32_e32 v6, v6, v19
	v_or3_b32 v7, v23, v7, v26
	v_cmp_ne_u32_e32 vcc_lo, 0, v6
	v_cndmask_b32_e32 v6, 0, v7, vcc_lo
.LBB6_15802:                            ;   in Loop: Header=BB6_15804 Depth=3
	s_or_b32 exec_lo, exec_lo, s23
.LBB6_15803:                            ;   in Loop: Header=BB6_15804 Depth=3
	s_or_b32 exec_lo, exec_lo, s22
	v_add_co_u32 v112, vcc_lo, 0xfffffc20, v12
	v_add_co_ci_u32_e64 v113, null, -1, v13, vcc_lo
	v_sub_nc_u32_e32 v16, v16, v103
	flat_store_byte v[112:113], v18 glc slc
	v_add_co_u32 v18, vcc_lo, 0xfffffc40, v12
	v_add_co_ci_u32_e64 v19, null, -1, v13, vcc_lo
	v_add_co_u32 v112, vcc_lo, 0xfffffc60, v12
	v_add_co_ci_u32_e64 v113, null, -1, v13, vcc_lo
	v_add_co_u32 v41, vcc_lo, 0xfffffc80, v12
	v_add_co_ci_u32_e64 v42, null, -1, v13, vcc_lo
	v_add_co_u32 v43, vcc_lo, 0xfffffca0, v12
	v_add_co_ci_u32_e64 v44, null, -1, v13, vcc_lo
	v_add_co_u32 v56, vcc_lo, 0xfffffcc0, v12
	v_add_co_ci_u32_e64 v57, null, -1, v13, vcc_lo
	flat_store_byte v[18:19], v22 glc slc
	flat_store_byte v[112:113], v27 glc slc
	flat_store_byte v[41:42], v31 glc slc
	flat_store_byte v[43:44], v52 glc slc
	flat_store_byte v[56:57], v66 glc slc
	v_add_co_u32 v18, vcc_lo, 0xfffffce0, v12
	v_add_co_ci_u32_e64 v19, null, -1, v13, vcc_lo
	v_add_co_u32 v22, vcc_lo, 0xfffffd00, v12
	v_add_co_ci_u32_e64 v23, null, -1, v13, vcc_lo
	v_add_co_u32 v26, vcc_lo, 0xfffffd20, v12
	v_add_co_ci_u32_e64 v27, null, -1, v13, vcc_lo
	v_add_co_u32 v30, vcc_lo, 0xfffffd40, v12
	v_add_co_ci_u32_e64 v31, null, -1, v13, vcc_lo
	v_add_co_u32 v112, vcc_lo, 0xfffffd60, v12
	v_add_co_ci_u32_e64 v113, null, -1, v13, vcc_lo
	flat_store_byte v[18:19], v80 glc slc
	flat_store_byte v[22:23], v84 glc slc
	flat_store_byte v[26:27], v96 glc slc
	flat_store_byte v[30:31], v101 glc slc
	;; [unrolled: 15-line block ×5, first 2 shown]
	flat_store_byte v[50:51], v25 glc slc
	v_add_co_u32 v18, vcc_lo, 0xffffff60, v12
	v_add_co_ci_u32_e64 v19, null, -1, v13, vcc_lo
	v_add_co_u32 v22, vcc_lo, 0xffffff80, v12
	v_add_co_ci_u32_e64 v23, null, -1, v13, vcc_lo
	v_add_co_u32 v25, vcc_lo, 0xffffffa0, v12
	v_add_co_ci_u32_e64 v26, null, -1, v13, vcc_lo
	v_add_co_u32 v27, vcc_lo, 0xffffffc0, v12
	v_add_co_ci_u32_e64 v28, null, -1, v13, vcc_lo
	v_add_co_u32 v29, vcc_lo, 0xffffffe0, v12
	v_add_co_ci_u32_e64 v30, null, -1, v13, vcc_lo
	v_add_co_u32 v8, vcc_lo, v8, v46
	v_add_co_ci_u32_e64 v9, null, 0, v9, vcc_lo
	v_add_co_u32 v10, vcc_lo, v10, v46
	flat_store_byte v[18:19], v24 glc slc
	flat_store_byte v[22:23], v21 glc slc
	flat_store_byte v[25:26], v20 glc slc
	flat_store_byte v[27:28], v15 glc slc
	flat_store_byte v[29:30], v14 glc slc
	flat_store_byte v[12:13], v6 glc slc
	v_add_co_ci_u32_e64 v11, null, 0, v11, vcc_lo
	v_cmp_gt_i32_e32 vcc_lo, 1, v16
	v_add_co_u32 v12, s16, v12, v46
	v_add_co_ci_u32_e64 v13, null, 0, v13, s16
	s_or_b32 s19, vcc_lo, s19
	s_andn2_b32 exec_lo, exec_lo, s19
	s_cbranch_execz .LBB6_17090
.LBB6_15804:                            ;   Parent Loop BB6_47 Depth=1
                                        ;     Parent Loop BB6_7909 Depth=2
                                        ; =>    This Inner Loop Header: Depth=3
	s_trap 2
	ds_read_b64 v[14:15], v0
	s_waitcnt lgkmcnt(0)
	v_readfirstlane_b32 s16, v14
	s_and_b32 s22, s16, 0xff
	s_cmpk_lt_i32 s22, 0x80
	s_cbranch_scc1 .LBB6_15808
; %bb.15805:                            ;   in Loop: Header=BB6_15804 Depth=3
	s_and_b32 s23, 0xffff, s22
	s_cmpk_eq_i32 s23, 0x80
	s_mov_b32 s23, -1
	s_cbranch_scc0 .LBB6_15807
; %bb.15806:                            ;   in Loop: Header=BB6_15804 Depth=3
	s_mov_b32 s23, 0
.LBB6_15807:                            ;   in Loop: Header=BB6_15804 Depth=3
	s_mov_b32 s72, 0x7f800001
	s_branch .LBB6_15810
.LBB6_15808:                            ;   in Loop: Header=BB6_15804 Depth=3
	s_mov_b32 s23, 0
	s_mov_b32 s72, 0x7f800001
	s_cbranch_execz .LBB6_15810
; %bb.15809:                            ;   in Loop: Header=BB6_15804 Depth=3
	s_and_b32 s22, 0xffff, s22
	s_mov_b32 s72, 0
	s_cmp_lg_u32 s22, 0
	s_cselect_b32 s23, -1, 0
.LBB6_15810:                            ;   in Loop: Header=BB6_15804 Depth=3
	v_mov_b32_e32 v6, s72
	s_andn2_b32 vcc_lo, exec_lo, s23
	s_cbranch_vccnz .LBB6_15812
; %bb.15811:                            ;   in Loop: Header=BB6_15804 Depth=3
	s_and_b32 s22, s16, 3
	s_bfe_u32 s72, s16, 0x50002
	s_flbit_i32_b32 s23, s22
	v_lshlrev_b32_e32 v6, 24, v14
	s_min_u32 s23, s23, 32
	s_sub_i32 s73, s23, 29
	s_sub_i32 s23, 30, s23
	s_lshl_b32 s16, s16, s73
	v_and_b32_e32 v6, 0x80000000, v6
	s_and_b32 s16, s16, 3
	s_cmp_eq_u32 s72, 0
	s_cselect_b32 s23, s23, s72
	s_cselect_b32 s16, s16, s22
	s_lshl_b32 s22, s23, 23
	s_lshl_b32 s16, s16, 21
	s_add_i32 s22, s22, 0x37800000
	v_or_b32_e32 v6, s22, v6
	v_or_b32_e32 v6, s16, v6
.LBB6_15812:                            ;   in Loop: Header=BB6_15804 Depth=3
	flat_load_ubyte v7, v[8:9] slc
	s_mov_b32 s16, 0
	s_mov_b32 s22, exec_lo
	s_waitcnt vmcnt(0) lgkmcnt(0)
	v_cmpx_lt_i16_e32 0x7f, v7
	s_xor_b32 s22, exec_lo, s22
	s_cbranch_execz .LBB6_16898
; %bb.15813:                            ;   in Loop: Header=BB6_15804 Depth=3
	s_mov_b32 s16, -1
	s_mov_b32 s23, exec_lo
	v_cmpx_eq_u16_e32 0x80, v7
; %bb.15814:                            ;   in Loop: Header=BB6_15804 Depth=3
	s_xor_b32 s16, exec_lo, -1
; %bb.15815:                            ;   in Loop: Header=BB6_15804 Depth=3
	s_or_b32 exec_lo, exec_lo, s23
	s_and_b32 s16, s16, exec_lo
	s_or_saveexec_b32 s22, s22
	v_mov_b32_e32 v14, 0x7f800001
	s_xor_b32 exec_lo, exec_lo, s22
	s_cbranch_execnz .LBB6_16899
.LBB6_15816:                            ;   in Loop: Header=BB6_15804 Depth=3
	s_or_b32 exec_lo, exec_lo, s22
	s_and_saveexec_b32 s22, s16
	s_cbranch_execz .LBB6_15818
.LBB6_15817:                            ;   in Loop: Header=BB6_15804 Depth=3
	v_and_b32_e32 v14, 0xffff, v7
	v_lshlrev_b32_e32 v7, 24, v7
	v_and_b32_e32 v15, 3, v14
	v_bfe_u32 v20, v14, 2, 5
	v_and_b32_e32 v7, 0x80000000, v7
	v_ffbh_u32_e32 v18, v15
	v_cmp_eq_u32_e32 vcc_lo, 0, v20
	v_min_u32_e32 v18, 32, v18
	v_subrev_nc_u32_e32 v19, 29, v18
	v_sub_nc_u32_e32 v18, 30, v18
	v_lshlrev_b32_e32 v14, v19, v14
	v_cndmask_b32_e32 v18, v20, v18, vcc_lo
	v_and_b32_e32 v14, 3, v14
	v_cndmask_b32_e32 v14, v15, v14, vcc_lo
	v_lshl_add_u32 v15, v18, 23, 0x37800000
	v_lshlrev_b32_e32 v14, 21, v14
	v_or3_b32 v14, v7, v15, v14
.LBB6_15818:                            ;   in Loop: Header=BB6_15804 Depth=3
	s_or_b32 exec_lo, exec_lo, s22
	v_mul_f32_e32 v7, v6, v14
	v_mov_b32_e32 v18, 0x80
	s_mov_b32 s22, exec_lo
	v_and_b32_e32 v14, 0x7f800000, v7
	v_cmpx_ne_u32_e32 0x7f800000, v14
	s_cbranch_execz .LBB6_15826
; %bb.15819:                            ;   in Loop: Header=BB6_15804 Depth=3
	v_mov_b32_e32 v18, 0
	s_mov_b32 s23, exec_lo
	v_cmpx_ne_u32_e32 0, v7
	s_cbranch_execz .LBB6_15825
; %bb.15820:                            ;   in Loop: Header=BB6_15804 Depth=3
	v_bfe_u32 v14, v7, 23, 8
	v_and_b32_e32 v15, 0x7fffff, v7
	v_sub_nc_u32_e32 v18, 0x70, v14
	v_cmp_gt_u32_e32 vcc_lo, 0x71, v14
	v_or_b32_e32 v19, 0x800000, v15
	v_cndmask_b32_e32 v18, 0, v18, vcc_lo
	v_cmp_eq_u32_e32 vcc_lo, 0, v14
	v_add_nc_u32_e32 v14, 0xffffff91, v14
	v_cndmask_b32_e64 v18, v18, 0x6f, vcc_lo
	v_cndmask_b32_e32 v15, v19, v15, vcc_lo
	v_cndmask_b32_e64 v14, v14, 0xffffff92, vcc_lo
	v_lshl_add_u32 v19, 0x200000, v18, -1
	v_lshrrev_b32_e32 v20, v18, v15
	v_lshlrev_b32_e64 v22, v18, 0x100000
	v_add_nc_u32_e32 v18, v18, v14
	v_and_b32_e32 v15, v19, v15
	v_bfe_u32 v21, v20, 21, 1
	v_cmp_eq_u32_e64 s16, v15, v22
	v_add_nc_u32_e32 v19, -1, v21
	v_cndmask_b32_e64 v15, 0, v19, s16
	v_lshrrev_b32_e32 v19, 23, v20
	s_mov_b32 s16, exec_lo
	v_add_nc_u32_e32 v15, v15, v20
	v_xor_b32_e32 v19, 1, v19
	v_and_b32_e32 v14, 0x1fffff, v15
	v_add_nc_u32_e32 v15, v14, v20
                                        ; implicit-def: $vgpr14
	v_cmpx_ne_u32_e64 v18, v19
	s_xor_b32 s16, exec_lo, s16
; %bb.15821:                            ;   in Loop: Header=BB6_15804 Depth=3
	v_cmp_lt_u32_e32 vcc_lo, 0xffffff, v15
	v_sub_nc_u32_e32 v14, v18, v19
	v_cndmask_b32_e64 v18, 0, 1, vcc_lo
	v_add_co_ci_u32_e64 v14, null, 0, v14, vcc_lo
	v_lshrrev_b32_e32 v15, v18, v15
; %bb.15822:                            ;   in Loop: Header=BB6_15804 Depth=3
	s_andn2_saveexec_b32 s16, s16
; %bb.15823:                            ;   in Loop: Header=BB6_15804 Depth=3
	v_bfe_u32 v14, v15, 23, 1
; %bb.15824:                            ;   in Loop: Header=BB6_15804 Depth=3
	s_or_b32 exec_lo, exec_lo, s16
	v_lshrrev_b32_e32 v15, 21, v15
	v_cmp_gt_i32_e32 vcc_lo, 32, v14
	v_min_i32_e32 v18, 31, v14
	v_and_b32_sdwa v7, v7, v117 dst_sel:DWORD dst_unused:UNUSED_PAD src0_sel:BYTE_3 src1_sel:DWORD
	v_cndmask_b32_e32 v15, 3, v15, vcc_lo
	v_lshlrev_b32_e32 v18, 2, v18
	v_and_b32_e32 v19, 3, v15
	v_or_b32_e32 v14, v14, v15
	v_or3_b32 v7, v18, v7, v19
	v_cmp_ne_u32_e32 vcc_lo, 0, v14
	v_cndmask_b32_e32 v18, 0, v7, vcc_lo
.LBB6_15825:                            ;   in Loop: Header=BB6_15804 Depth=3
	s_or_b32 exec_lo, exec_lo, s23
.LBB6_15826:                            ;   in Loop: Header=BB6_15804 Depth=3
	s_or_b32 exec_lo, exec_lo, s22
	flat_load_ubyte v7, v[8:9] offset:32 slc
	s_mov_b32 s16, 0
	s_mov_b32 s22, exec_lo
	s_waitcnt vmcnt(0) lgkmcnt(0)
	v_cmpx_lt_i16_e32 0x7f, v7
	s_xor_b32 s22, exec_lo, s22
	s_cbranch_execz .LBB6_16900
; %bb.15827:                            ;   in Loop: Header=BB6_15804 Depth=3
	s_mov_b32 s16, -1
	s_mov_b32 s23, exec_lo
	v_cmpx_eq_u16_e32 0x80, v7
; %bb.15828:                            ;   in Loop: Header=BB6_15804 Depth=3
	s_xor_b32 s16, exec_lo, -1
; %bb.15829:                            ;   in Loop: Header=BB6_15804 Depth=3
	s_or_b32 exec_lo, exec_lo, s23
	s_and_b32 s16, s16, exec_lo
	s_or_saveexec_b32 s22, s22
	v_mov_b32_e32 v14, 0x7f800001
	s_xor_b32 exec_lo, exec_lo, s22
	s_cbranch_execnz .LBB6_16901
.LBB6_15830:                            ;   in Loop: Header=BB6_15804 Depth=3
	s_or_b32 exec_lo, exec_lo, s22
	s_and_saveexec_b32 s22, s16
	s_cbranch_execz .LBB6_15832
.LBB6_15831:                            ;   in Loop: Header=BB6_15804 Depth=3
	v_and_b32_e32 v14, 0xffff, v7
	v_lshlrev_b32_e32 v7, 24, v7
	v_and_b32_e32 v15, 3, v14
	v_bfe_u32 v21, v14, 2, 5
	v_and_b32_e32 v7, 0x80000000, v7
	v_ffbh_u32_e32 v19, v15
	v_cmp_eq_u32_e32 vcc_lo, 0, v21
	v_min_u32_e32 v19, 32, v19
	v_subrev_nc_u32_e32 v20, 29, v19
	v_sub_nc_u32_e32 v19, 30, v19
	v_lshlrev_b32_e32 v14, v20, v14
	v_cndmask_b32_e32 v19, v21, v19, vcc_lo
	v_and_b32_e32 v14, 3, v14
	v_cndmask_b32_e32 v14, v15, v14, vcc_lo
	v_lshl_add_u32 v15, v19, 23, 0x37800000
	v_lshlrev_b32_e32 v14, 21, v14
	v_or3_b32 v14, v7, v15, v14
.LBB6_15832:                            ;   in Loop: Header=BB6_15804 Depth=3
	s_or_b32 exec_lo, exec_lo, s22
	v_mul_f32_e32 v7, v6, v14
	v_mov_b32_e32 v22, 0x80
	s_mov_b32 s22, exec_lo
	v_and_b32_e32 v14, 0x7f800000, v7
	v_cmpx_ne_u32_e32 0x7f800000, v14
	s_cbranch_execz .LBB6_15840
; %bb.15833:                            ;   in Loop: Header=BB6_15804 Depth=3
	v_mov_b32_e32 v22, 0
	s_mov_b32 s23, exec_lo
	v_cmpx_ne_u32_e32 0, v7
	s_cbranch_execz .LBB6_15839
; %bb.15834:                            ;   in Loop: Header=BB6_15804 Depth=3
	v_bfe_u32 v14, v7, 23, 8
	v_and_b32_e32 v15, 0x7fffff, v7
	v_sub_nc_u32_e32 v19, 0x70, v14
	v_cmp_gt_u32_e32 vcc_lo, 0x71, v14
	v_or_b32_e32 v20, 0x800000, v15
	v_cndmask_b32_e32 v19, 0, v19, vcc_lo
	v_cmp_eq_u32_e32 vcc_lo, 0, v14
	v_add_nc_u32_e32 v14, 0xffffff91, v14
	v_cndmask_b32_e64 v19, v19, 0x6f, vcc_lo
	v_cndmask_b32_e32 v15, v20, v15, vcc_lo
	v_cndmask_b32_e64 v14, v14, 0xffffff92, vcc_lo
	v_lshl_add_u32 v20, 0x200000, v19, -1
	v_lshrrev_b32_e32 v21, v19, v15
	v_lshlrev_b32_e64 v23, v19, 0x100000
	v_add_nc_u32_e32 v19, v19, v14
	v_and_b32_e32 v15, v20, v15
	v_bfe_u32 v22, v21, 21, 1
	v_cmp_eq_u32_e64 s16, v15, v23
	v_add_nc_u32_e32 v20, -1, v22
	v_cndmask_b32_e64 v15, 0, v20, s16
	v_lshrrev_b32_e32 v20, 23, v21
	s_mov_b32 s16, exec_lo
	v_add_nc_u32_e32 v15, v15, v21
	v_xor_b32_e32 v20, 1, v20
	v_and_b32_e32 v14, 0x1fffff, v15
	v_add_nc_u32_e32 v15, v14, v21
                                        ; implicit-def: $vgpr14
	v_cmpx_ne_u32_e64 v19, v20
	s_xor_b32 s16, exec_lo, s16
; %bb.15835:                            ;   in Loop: Header=BB6_15804 Depth=3
	v_cmp_lt_u32_e32 vcc_lo, 0xffffff, v15
	v_sub_nc_u32_e32 v14, v19, v20
	v_cndmask_b32_e64 v19, 0, 1, vcc_lo
	v_add_co_ci_u32_e64 v14, null, 0, v14, vcc_lo
	v_lshrrev_b32_e32 v15, v19, v15
; %bb.15836:                            ;   in Loop: Header=BB6_15804 Depth=3
	s_andn2_saveexec_b32 s16, s16
; %bb.15837:                            ;   in Loop: Header=BB6_15804 Depth=3
	v_bfe_u32 v14, v15, 23, 1
; %bb.15838:                            ;   in Loop: Header=BB6_15804 Depth=3
	s_or_b32 exec_lo, exec_lo, s16
	v_lshrrev_b32_e32 v15, 21, v15
	v_cmp_gt_i32_e32 vcc_lo, 32, v14
	v_min_i32_e32 v19, 31, v14
	v_and_b32_sdwa v7, v7, v117 dst_sel:DWORD dst_unused:UNUSED_PAD src0_sel:BYTE_3 src1_sel:DWORD
	v_cndmask_b32_e32 v15, 3, v15, vcc_lo
	v_lshlrev_b32_e32 v19, 2, v19
	v_and_b32_e32 v20, 3, v15
	v_or_b32_e32 v14, v14, v15
	v_or3_b32 v7, v19, v7, v20
	v_cmp_ne_u32_e32 vcc_lo, 0, v14
	v_cndmask_b32_e32 v22, 0, v7, vcc_lo
.LBB6_15839:                            ;   in Loop: Header=BB6_15804 Depth=3
	s_or_b32 exec_lo, exec_lo, s23
.LBB6_15840:                            ;   in Loop: Header=BB6_15804 Depth=3
	s_or_b32 exec_lo, exec_lo, s22
	flat_load_ubyte v7, v[8:9] offset:64 slc
	s_mov_b32 s16, 0
	s_mov_b32 s22, exec_lo
	s_waitcnt vmcnt(0) lgkmcnt(0)
	v_cmpx_lt_i16_e32 0x7f, v7
	s_xor_b32 s22, exec_lo, s22
	s_cbranch_execz .LBB6_16902
; %bb.15841:                            ;   in Loop: Header=BB6_15804 Depth=3
	s_mov_b32 s16, -1
	s_mov_b32 s23, exec_lo
	v_cmpx_eq_u16_e32 0x80, v7
; %bb.15842:                            ;   in Loop: Header=BB6_15804 Depth=3
	s_xor_b32 s16, exec_lo, -1
; %bb.15843:                            ;   in Loop: Header=BB6_15804 Depth=3
	s_or_b32 exec_lo, exec_lo, s23
	s_and_b32 s16, s16, exec_lo
	s_or_saveexec_b32 s22, s22
	v_mov_b32_e32 v14, 0x7f800001
	s_xor_b32 exec_lo, exec_lo, s22
	s_cbranch_execnz .LBB6_16903
.LBB6_15844:                            ;   in Loop: Header=BB6_15804 Depth=3
	s_or_b32 exec_lo, exec_lo, s22
	s_and_saveexec_b32 s22, s16
	s_cbranch_execz .LBB6_15846
.LBB6_15845:                            ;   in Loop: Header=BB6_15804 Depth=3
	v_and_b32_e32 v14, 0xffff, v7
	v_lshlrev_b32_e32 v7, 24, v7
	v_and_b32_e32 v15, 3, v14
	v_bfe_u32 v21, v14, 2, 5
	v_and_b32_e32 v7, 0x80000000, v7
	v_ffbh_u32_e32 v19, v15
	v_cmp_eq_u32_e32 vcc_lo, 0, v21
	v_min_u32_e32 v19, 32, v19
	v_subrev_nc_u32_e32 v20, 29, v19
	v_sub_nc_u32_e32 v19, 30, v19
	v_lshlrev_b32_e32 v14, v20, v14
	v_cndmask_b32_e32 v19, v21, v19, vcc_lo
	v_and_b32_e32 v14, 3, v14
	v_cndmask_b32_e32 v14, v15, v14, vcc_lo
	v_lshl_add_u32 v15, v19, 23, 0x37800000
	v_lshlrev_b32_e32 v14, 21, v14
	v_or3_b32 v14, v7, v15, v14
.LBB6_15846:                            ;   in Loop: Header=BB6_15804 Depth=3
	s_or_b32 exec_lo, exec_lo, s22
	v_mul_f32_e32 v7, v6, v14
	v_mov_b32_e32 v27, 0x80
	s_mov_b32 s22, exec_lo
	v_and_b32_e32 v14, 0x7f800000, v7
	v_cmpx_ne_u32_e32 0x7f800000, v14
	s_cbranch_execz .LBB6_15854
; %bb.15847:                            ;   in Loop: Header=BB6_15804 Depth=3
	v_mov_b32_e32 v27, 0
	s_mov_b32 s23, exec_lo
	v_cmpx_ne_u32_e32 0, v7
	s_cbranch_execz .LBB6_15853
; %bb.15848:                            ;   in Loop: Header=BB6_15804 Depth=3
	v_bfe_u32 v14, v7, 23, 8
	v_and_b32_e32 v15, 0x7fffff, v7
	v_sub_nc_u32_e32 v19, 0x70, v14
	v_cmp_gt_u32_e32 vcc_lo, 0x71, v14
	v_or_b32_e32 v20, 0x800000, v15
	v_cndmask_b32_e32 v19, 0, v19, vcc_lo
	v_cmp_eq_u32_e32 vcc_lo, 0, v14
	v_add_nc_u32_e32 v14, 0xffffff91, v14
	v_cndmask_b32_e64 v19, v19, 0x6f, vcc_lo
	v_cndmask_b32_e32 v15, v20, v15, vcc_lo
	v_cndmask_b32_e64 v14, v14, 0xffffff92, vcc_lo
	v_lshl_add_u32 v20, 0x200000, v19, -1
	v_lshrrev_b32_e32 v21, v19, v15
	v_lshlrev_b32_e64 v24, v19, 0x100000
	v_add_nc_u32_e32 v19, v19, v14
	v_and_b32_e32 v15, v20, v15
	v_bfe_u32 v23, v21, 21, 1
	v_cmp_eq_u32_e64 s16, v15, v24
	v_add_nc_u32_e32 v20, -1, v23
	v_cndmask_b32_e64 v15, 0, v20, s16
	v_lshrrev_b32_e32 v20, 23, v21
	s_mov_b32 s16, exec_lo
	v_add_nc_u32_e32 v15, v15, v21
	v_xor_b32_e32 v20, 1, v20
	v_and_b32_e32 v14, 0x1fffff, v15
	v_add_nc_u32_e32 v15, v14, v21
                                        ; implicit-def: $vgpr14
	v_cmpx_ne_u32_e64 v19, v20
	s_xor_b32 s16, exec_lo, s16
; %bb.15849:                            ;   in Loop: Header=BB6_15804 Depth=3
	v_cmp_lt_u32_e32 vcc_lo, 0xffffff, v15
	v_sub_nc_u32_e32 v14, v19, v20
	v_cndmask_b32_e64 v19, 0, 1, vcc_lo
	v_add_co_ci_u32_e64 v14, null, 0, v14, vcc_lo
	v_lshrrev_b32_e32 v15, v19, v15
; %bb.15850:                            ;   in Loop: Header=BB6_15804 Depth=3
	s_andn2_saveexec_b32 s16, s16
; %bb.15851:                            ;   in Loop: Header=BB6_15804 Depth=3
	v_bfe_u32 v14, v15, 23, 1
; %bb.15852:                            ;   in Loop: Header=BB6_15804 Depth=3
	s_or_b32 exec_lo, exec_lo, s16
	v_lshrrev_b32_e32 v15, 21, v15
	v_cmp_gt_i32_e32 vcc_lo, 32, v14
	v_min_i32_e32 v19, 31, v14
	v_and_b32_sdwa v7, v7, v117 dst_sel:DWORD dst_unused:UNUSED_PAD src0_sel:BYTE_3 src1_sel:DWORD
	v_cndmask_b32_e32 v15, 3, v15, vcc_lo
	v_lshlrev_b32_e32 v19, 2, v19
	v_and_b32_e32 v20, 3, v15
	v_or_b32_e32 v14, v14, v15
	v_or3_b32 v7, v19, v7, v20
	v_cmp_ne_u32_e32 vcc_lo, 0, v14
	v_cndmask_b32_e32 v27, 0, v7, vcc_lo
.LBB6_15853:                            ;   in Loop: Header=BB6_15804 Depth=3
	s_or_b32 exec_lo, exec_lo, s23
.LBB6_15854:                            ;   in Loop: Header=BB6_15804 Depth=3
	s_or_b32 exec_lo, exec_lo, s22
	flat_load_ubyte v7, v[8:9] offset:96 slc
	s_mov_b32 s16, 0
	s_mov_b32 s22, exec_lo
	s_waitcnt vmcnt(0) lgkmcnt(0)
	v_cmpx_lt_i16_e32 0x7f, v7
	s_xor_b32 s22, exec_lo, s22
	s_cbranch_execz .LBB6_16904
; %bb.15855:                            ;   in Loop: Header=BB6_15804 Depth=3
	s_mov_b32 s16, -1
	s_mov_b32 s23, exec_lo
	v_cmpx_eq_u16_e32 0x80, v7
; %bb.15856:                            ;   in Loop: Header=BB6_15804 Depth=3
	s_xor_b32 s16, exec_lo, -1
; %bb.15857:                            ;   in Loop: Header=BB6_15804 Depth=3
	s_or_b32 exec_lo, exec_lo, s23
	s_and_b32 s16, s16, exec_lo
	s_or_saveexec_b32 s22, s22
	v_mov_b32_e32 v14, 0x7f800001
	s_xor_b32 exec_lo, exec_lo, s22
	s_cbranch_execnz .LBB6_16905
.LBB6_15858:                            ;   in Loop: Header=BB6_15804 Depth=3
	s_or_b32 exec_lo, exec_lo, s22
	s_and_saveexec_b32 s22, s16
	s_cbranch_execz .LBB6_15860
.LBB6_15859:                            ;   in Loop: Header=BB6_15804 Depth=3
	v_and_b32_e32 v14, 0xffff, v7
	v_lshlrev_b32_e32 v7, 24, v7
	v_and_b32_e32 v15, 3, v14
	v_bfe_u32 v21, v14, 2, 5
	v_and_b32_e32 v7, 0x80000000, v7
	v_ffbh_u32_e32 v19, v15
	v_cmp_eq_u32_e32 vcc_lo, 0, v21
	v_min_u32_e32 v19, 32, v19
	v_subrev_nc_u32_e32 v20, 29, v19
	v_sub_nc_u32_e32 v19, 30, v19
	v_lshlrev_b32_e32 v14, v20, v14
	v_cndmask_b32_e32 v19, v21, v19, vcc_lo
	v_and_b32_e32 v14, 3, v14
	v_cndmask_b32_e32 v14, v15, v14, vcc_lo
	v_lshl_add_u32 v15, v19, 23, 0x37800000
	v_lshlrev_b32_e32 v14, 21, v14
	v_or3_b32 v14, v7, v15, v14
.LBB6_15860:                            ;   in Loop: Header=BB6_15804 Depth=3
	s_or_b32 exec_lo, exec_lo, s22
	v_mul_f32_e32 v7, v6, v14
	v_mov_b32_e32 v31, 0x80
	s_mov_b32 s22, exec_lo
	v_and_b32_e32 v14, 0x7f800000, v7
	v_cmpx_ne_u32_e32 0x7f800000, v14
	s_cbranch_execz .LBB6_15868
; %bb.15861:                            ;   in Loop: Header=BB6_15804 Depth=3
	v_mov_b32_e32 v31, 0
	s_mov_b32 s23, exec_lo
	v_cmpx_ne_u32_e32 0, v7
	s_cbranch_execz .LBB6_15867
; %bb.15862:                            ;   in Loop: Header=BB6_15804 Depth=3
	v_bfe_u32 v14, v7, 23, 8
	v_and_b32_e32 v15, 0x7fffff, v7
	v_sub_nc_u32_e32 v19, 0x70, v14
	v_cmp_gt_u32_e32 vcc_lo, 0x71, v14
	v_or_b32_e32 v20, 0x800000, v15
	v_cndmask_b32_e32 v19, 0, v19, vcc_lo
	v_cmp_eq_u32_e32 vcc_lo, 0, v14
	v_add_nc_u32_e32 v14, 0xffffff91, v14
	v_cndmask_b32_e64 v19, v19, 0x6f, vcc_lo
	v_cndmask_b32_e32 v15, v20, v15, vcc_lo
	v_cndmask_b32_e64 v14, v14, 0xffffff92, vcc_lo
	v_lshl_add_u32 v20, 0x200000, v19, -1
	v_lshrrev_b32_e32 v21, v19, v15
	v_lshlrev_b32_e64 v24, v19, 0x100000
	v_add_nc_u32_e32 v19, v19, v14
	v_and_b32_e32 v15, v20, v15
	v_bfe_u32 v23, v21, 21, 1
	v_cmp_eq_u32_e64 s16, v15, v24
	v_add_nc_u32_e32 v20, -1, v23
	v_cndmask_b32_e64 v15, 0, v20, s16
	v_lshrrev_b32_e32 v20, 23, v21
	s_mov_b32 s16, exec_lo
	v_add_nc_u32_e32 v15, v15, v21
	v_xor_b32_e32 v20, 1, v20
	v_and_b32_e32 v14, 0x1fffff, v15
	v_add_nc_u32_e32 v15, v14, v21
                                        ; implicit-def: $vgpr14
	v_cmpx_ne_u32_e64 v19, v20
	s_xor_b32 s16, exec_lo, s16
; %bb.15863:                            ;   in Loop: Header=BB6_15804 Depth=3
	v_cmp_lt_u32_e32 vcc_lo, 0xffffff, v15
	v_sub_nc_u32_e32 v14, v19, v20
	v_cndmask_b32_e64 v19, 0, 1, vcc_lo
	v_add_co_ci_u32_e64 v14, null, 0, v14, vcc_lo
	v_lshrrev_b32_e32 v15, v19, v15
; %bb.15864:                            ;   in Loop: Header=BB6_15804 Depth=3
	s_andn2_saveexec_b32 s16, s16
; %bb.15865:                            ;   in Loop: Header=BB6_15804 Depth=3
	v_bfe_u32 v14, v15, 23, 1
; %bb.15866:                            ;   in Loop: Header=BB6_15804 Depth=3
	s_or_b32 exec_lo, exec_lo, s16
	v_lshrrev_b32_e32 v15, 21, v15
	v_cmp_gt_i32_e32 vcc_lo, 32, v14
	v_min_i32_e32 v19, 31, v14
	v_and_b32_sdwa v7, v7, v117 dst_sel:DWORD dst_unused:UNUSED_PAD src0_sel:BYTE_3 src1_sel:DWORD
	v_cndmask_b32_e32 v15, 3, v15, vcc_lo
	v_lshlrev_b32_e32 v19, 2, v19
	v_and_b32_e32 v20, 3, v15
	v_or_b32_e32 v14, v14, v15
	v_or3_b32 v7, v19, v7, v20
	v_cmp_ne_u32_e32 vcc_lo, 0, v14
	v_cndmask_b32_e32 v31, 0, v7, vcc_lo
.LBB6_15867:                            ;   in Loop: Header=BB6_15804 Depth=3
	s_or_b32 exec_lo, exec_lo, s23
.LBB6_15868:                            ;   in Loop: Header=BB6_15804 Depth=3
	s_or_b32 exec_lo, exec_lo, s22
	flat_load_ubyte v7, v[8:9] offset:128 slc
	s_mov_b32 s16, 0
	s_mov_b32 s22, exec_lo
	s_waitcnt vmcnt(0) lgkmcnt(0)
	v_cmpx_lt_i16_e32 0x7f, v7
	s_xor_b32 s22, exec_lo, s22
	s_cbranch_execz .LBB6_16906
; %bb.15869:                            ;   in Loop: Header=BB6_15804 Depth=3
	s_mov_b32 s16, -1
	s_mov_b32 s23, exec_lo
	v_cmpx_eq_u16_e32 0x80, v7
; %bb.15870:                            ;   in Loop: Header=BB6_15804 Depth=3
	s_xor_b32 s16, exec_lo, -1
; %bb.15871:                            ;   in Loop: Header=BB6_15804 Depth=3
	s_or_b32 exec_lo, exec_lo, s23
	s_and_b32 s16, s16, exec_lo
	s_or_saveexec_b32 s22, s22
	v_mov_b32_e32 v14, 0x7f800001
	s_xor_b32 exec_lo, exec_lo, s22
	s_cbranch_execnz .LBB6_16907
.LBB6_15872:                            ;   in Loop: Header=BB6_15804 Depth=3
	s_or_b32 exec_lo, exec_lo, s22
	s_and_saveexec_b32 s22, s16
	s_cbranch_execz .LBB6_15874
.LBB6_15873:                            ;   in Loop: Header=BB6_15804 Depth=3
	v_and_b32_e32 v14, 0xffff, v7
	v_lshlrev_b32_e32 v7, 24, v7
	v_and_b32_e32 v15, 3, v14
	v_bfe_u32 v21, v14, 2, 5
	v_and_b32_e32 v7, 0x80000000, v7
	v_ffbh_u32_e32 v19, v15
	v_cmp_eq_u32_e32 vcc_lo, 0, v21
	v_min_u32_e32 v19, 32, v19
	v_subrev_nc_u32_e32 v20, 29, v19
	v_sub_nc_u32_e32 v19, 30, v19
	v_lshlrev_b32_e32 v14, v20, v14
	v_cndmask_b32_e32 v19, v21, v19, vcc_lo
	v_and_b32_e32 v14, 3, v14
	v_cndmask_b32_e32 v14, v15, v14, vcc_lo
	v_lshl_add_u32 v15, v19, 23, 0x37800000
	v_lshlrev_b32_e32 v14, 21, v14
	v_or3_b32 v14, v7, v15, v14
.LBB6_15874:                            ;   in Loop: Header=BB6_15804 Depth=3
	s_or_b32 exec_lo, exec_lo, s22
	v_mul_f32_e32 v7, v6, v14
	v_mov_b32_e32 v52, 0x80
	s_mov_b32 s22, exec_lo
	v_and_b32_e32 v14, 0x7f800000, v7
	v_cmpx_ne_u32_e32 0x7f800000, v14
	s_cbranch_execz .LBB6_15882
; %bb.15875:                            ;   in Loop: Header=BB6_15804 Depth=3
	v_mov_b32_e32 v52, 0
	s_mov_b32 s23, exec_lo
	v_cmpx_ne_u32_e32 0, v7
	s_cbranch_execz .LBB6_15881
; %bb.15876:                            ;   in Loop: Header=BB6_15804 Depth=3
	v_bfe_u32 v14, v7, 23, 8
	v_and_b32_e32 v15, 0x7fffff, v7
	v_sub_nc_u32_e32 v19, 0x70, v14
	v_cmp_gt_u32_e32 vcc_lo, 0x71, v14
	v_or_b32_e32 v20, 0x800000, v15
	v_cndmask_b32_e32 v19, 0, v19, vcc_lo
	v_cmp_eq_u32_e32 vcc_lo, 0, v14
	v_add_nc_u32_e32 v14, 0xffffff91, v14
	v_cndmask_b32_e64 v19, v19, 0x6f, vcc_lo
	v_cndmask_b32_e32 v15, v20, v15, vcc_lo
	v_cndmask_b32_e64 v14, v14, 0xffffff92, vcc_lo
	v_lshl_add_u32 v20, 0x200000, v19, -1
	v_lshrrev_b32_e32 v21, v19, v15
	v_lshlrev_b32_e64 v24, v19, 0x100000
	v_add_nc_u32_e32 v19, v19, v14
	v_and_b32_e32 v15, v20, v15
	v_bfe_u32 v23, v21, 21, 1
	v_cmp_eq_u32_e64 s16, v15, v24
	v_add_nc_u32_e32 v20, -1, v23
	v_cndmask_b32_e64 v15, 0, v20, s16
	v_lshrrev_b32_e32 v20, 23, v21
	s_mov_b32 s16, exec_lo
	v_add_nc_u32_e32 v15, v15, v21
	v_xor_b32_e32 v20, 1, v20
	v_and_b32_e32 v14, 0x1fffff, v15
	v_add_nc_u32_e32 v15, v14, v21
                                        ; implicit-def: $vgpr14
	v_cmpx_ne_u32_e64 v19, v20
	s_xor_b32 s16, exec_lo, s16
; %bb.15877:                            ;   in Loop: Header=BB6_15804 Depth=3
	v_cmp_lt_u32_e32 vcc_lo, 0xffffff, v15
	v_sub_nc_u32_e32 v14, v19, v20
	v_cndmask_b32_e64 v19, 0, 1, vcc_lo
	v_add_co_ci_u32_e64 v14, null, 0, v14, vcc_lo
	v_lshrrev_b32_e32 v15, v19, v15
; %bb.15878:                            ;   in Loop: Header=BB6_15804 Depth=3
	s_andn2_saveexec_b32 s16, s16
; %bb.15879:                            ;   in Loop: Header=BB6_15804 Depth=3
	v_bfe_u32 v14, v15, 23, 1
; %bb.15880:                            ;   in Loop: Header=BB6_15804 Depth=3
	s_or_b32 exec_lo, exec_lo, s16
	v_lshrrev_b32_e32 v15, 21, v15
	v_cmp_gt_i32_e32 vcc_lo, 32, v14
	v_min_i32_e32 v19, 31, v14
	v_and_b32_sdwa v7, v7, v117 dst_sel:DWORD dst_unused:UNUSED_PAD src0_sel:BYTE_3 src1_sel:DWORD
	v_cndmask_b32_e32 v15, 3, v15, vcc_lo
	v_lshlrev_b32_e32 v19, 2, v19
	v_and_b32_e32 v20, 3, v15
	v_or_b32_e32 v14, v14, v15
	v_or3_b32 v7, v19, v7, v20
	v_cmp_ne_u32_e32 vcc_lo, 0, v14
	v_cndmask_b32_e32 v52, 0, v7, vcc_lo
.LBB6_15881:                            ;   in Loop: Header=BB6_15804 Depth=3
	s_or_b32 exec_lo, exec_lo, s23
.LBB6_15882:                            ;   in Loop: Header=BB6_15804 Depth=3
	s_or_b32 exec_lo, exec_lo, s22
	flat_load_ubyte v7, v[8:9] offset:160 slc
	s_mov_b32 s16, 0
	s_mov_b32 s22, exec_lo
	s_waitcnt vmcnt(0) lgkmcnt(0)
	v_cmpx_lt_i16_e32 0x7f, v7
	s_xor_b32 s22, exec_lo, s22
	s_cbranch_execz .LBB6_16908
; %bb.15883:                            ;   in Loop: Header=BB6_15804 Depth=3
	s_mov_b32 s16, -1
	s_mov_b32 s23, exec_lo
	v_cmpx_eq_u16_e32 0x80, v7
; %bb.15884:                            ;   in Loop: Header=BB6_15804 Depth=3
	s_xor_b32 s16, exec_lo, -1
; %bb.15885:                            ;   in Loop: Header=BB6_15804 Depth=3
	s_or_b32 exec_lo, exec_lo, s23
	s_and_b32 s16, s16, exec_lo
	s_or_saveexec_b32 s22, s22
	v_mov_b32_e32 v14, 0x7f800001
	s_xor_b32 exec_lo, exec_lo, s22
	s_cbranch_execnz .LBB6_16909
.LBB6_15886:                            ;   in Loop: Header=BB6_15804 Depth=3
	s_or_b32 exec_lo, exec_lo, s22
	s_and_saveexec_b32 s22, s16
	s_cbranch_execz .LBB6_15888
.LBB6_15887:                            ;   in Loop: Header=BB6_15804 Depth=3
	v_and_b32_e32 v14, 0xffff, v7
	v_lshlrev_b32_e32 v7, 24, v7
	v_and_b32_e32 v15, 3, v14
	v_bfe_u32 v21, v14, 2, 5
	v_and_b32_e32 v7, 0x80000000, v7
	v_ffbh_u32_e32 v19, v15
	v_cmp_eq_u32_e32 vcc_lo, 0, v21
	v_min_u32_e32 v19, 32, v19
	v_subrev_nc_u32_e32 v20, 29, v19
	v_sub_nc_u32_e32 v19, 30, v19
	v_lshlrev_b32_e32 v14, v20, v14
	v_cndmask_b32_e32 v19, v21, v19, vcc_lo
	v_and_b32_e32 v14, 3, v14
	v_cndmask_b32_e32 v14, v15, v14, vcc_lo
	v_lshl_add_u32 v15, v19, 23, 0x37800000
	v_lshlrev_b32_e32 v14, 21, v14
	v_or3_b32 v14, v7, v15, v14
.LBB6_15888:                            ;   in Loop: Header=BB6_15804 Depth=3
	s_or_b32 exec_lo, exec_lo, s22
	v_mul_f32_e32 v7, v6, v14
	v_mov_b32_e32 v66, 0x80
	s_mov_b32 s22, exec_lo
	v_and_b32_e32 v14, 0x7f800000, v7
	v_cmpx_ne_u32_e32 0x7f800000, v14
	s_cbranch_execz .LBB6_15896
; %bb.15889:                            ;   in Loop: Header=BB6_15804 Depth=3
	v_mov_b32_e32 v66, 0
	s_mov_b32 s23, exec_lo
	v_cmpx_ne_u32_e32 0, v7
	s_cbranch_execz .LBB6_15895
; %bb.15890:                            ;   in Loop: Header=BB6_15804 Depth=3
	v_bfe_u32 v14, v7, 23, 8
	v_and_b32_e32 v15, 0x7fffff, v7
	v_sub_nc_u32_e32 v19, 0x70, v14
	v_cmp_gt_u32_e32 vcc_lo, 0x71, v14
	v_or_b32_e32 v20, 0x800000, v15
	v_cndmask_b32_e32 v19, 0, v19, vcc_lo
	v_cmp_eq_u32_e32 vcc_lo, 0, v14
	v_add_nc_u32_e32 v14, 0xffffff91, v14
	v_cndmask_b32_e64 v19, v19, 0x6f, vcc_lo
	v_cndmask_b32_e32 v15, v20, v15, vcc_lo
	v_cndmask_b32_e64 v14, v14, 0xffffff92, vcc_lo
	v_lshl_add_u32 v20, 0x200000, v19, -1
	v_lshrrev_b32_e32 v21, v19, v15
	v_lshlrev_b32_e64 v24, v19, 0x100000
	v_add_nc_u32_e32 v19, v19, v14
	v_and_b32_e32 v15, v20, v15
	v_bfe_u32 v23, v21, 21, 1
	v_cmp_eq_u32_e64 s16, v15, v24
	v_add_nc_u32_e32 v20, -1, v23
	v_cndmask_b32_e64 v15, 0, v20, s16
	v_lshrrev_b32_e32 v20, 23, v21
	s_mov_b32 s16, exec_lo
	v_add_nc_u32_e32 v15, v15, v21
	v_xor_b32_e32 v20, 1, v20
	v_and_b32_e32 v14, 0x1fffff, v15
	v_add_nc_u32_e32 v15, v14, v21
                                        ; implicit-def: $vgpr14
	v_cmpx_ne_u32_e64 v19, v20
	s_xor_b32 s16, exec_lo, s16
; %bb.15891:                            ;   in Loop: Header=BB6_15804 Depth=3
	v_cmp_lt_u32_e32 vcc_lo, 0xffffff, v15
	v_sub_nc_u32_e32 v14, v19, v20
	v_cndmask_b32_e64 v19, 0, 1, vcc_lo
	v_add_co_ci_u32_e64 v14, null, 0, v14, vcc_lo
	v_lshrrev_b32_e32 v15, v19, v15
; %bb.15892:                            ;   in Loop: Header=BB6_15804 Depth=3
	s_andn2_saveexec_b32 s16, s16
; %bb.15893:                            ;   in Loop: Header=BB6_15804 Depth=3
	v_bfe_u32 v14, v15, 23, 1
; %bb.15894:                            ;   in Loop: Header=BB6_15804 Depth=3
	s_or_b32 exec_lo, exec_lo, s16
	v_lshrrev_b32_e32 v15, 21, v15
	v_cmp_gt_i32_e32 vcc_lo, 32, v14
	v_min_i32_e32 v19, 31, v14
	v_and_b32_sdwa v7, v7, v117 dst_sel:DWORD dst_unused:UNUSED_PAD src0_sel:BYTE_3 src1_sel:DWORD
	v_cndmask_b32_e32 v15, 3, v15, vcc_lo
	v_lshlrev_b32_e32 v19, 2, v19
	v_and_b32_e32 v20, 3, v15
	v_or_b32_e32 v14, v14, v15
	v_or3_b32 v7, v19, v7, v20
	v_cmp_ne_u32_e32 vcc_lo, 0, v14
	v_cndmask_b32_e32 v66, 0, v7, vcc_lo
.LBB6_15895:                            ;   in Loop: Header=BB6_15804 Depth=3
	s_or_b32 exec_lo, exec_lo, s23
.LBB6_15896:                            ;   in Loop: Header=BB6_15804 Depth=3
	s_or_b32 exec_lo, exec_lo, s22
	flat_load_ubyte v7, v[8:9] offset:192 slc
	s_mov_b32 s16, 0
	s_mov_b32 s22, exec_lo
	s_waitcnt vmcnt(0) lgkmcnt(0)
	v_cmpx_lt_i16_e32 0x7f, v7
	s_xor_b32 s22, exec_lo, s22
	s_cbranch_execz .LBB6_16910
; %bb.15897:                            ;   in Loop: Header=BB6_15804 Depth=3
	s_mov_b32 s16, -1
	s_mov_b32 s23, exec_lo
	v_cmpx_eq_u16_e32 0x80, v7
; %bb.15898:                            ;   in Loop: Header=BB6_15804 Depth=3
	s_xor_b32 s16, exec_lo, -1
; %bb.15899:                            ;   in Loop: Header=BB6_15804 Depth=3
	s_or_b32 exec_lo, exec_lo, s23
	s_and_b32 s16, s16, exec_lo
	s_or_saveexec_b32 s22, s22
	v_mov_b32_e32 v14, 0x7f800001
	s_xor_b32 exec_lo, exec_lo, s22
	s_cbranch_execnz .LBB6_16911
.LBB6_15900:                            ;   in Loop: Header=BB6_15804 Depth=3
	s_or_b32 exec_lo, exec_lo, s22
	s_and_saveexec_b32 s22, s16
	s_cbranch_execz .LBB6_15902
.LBB6_15901:                            ;   in Loop: Header=BB6_15804 Depth=3
	v_and_b32_e32 v14, 0xffff, v7
	v_lshlrev_b32_e32 v7, 24, v7
	v_and_b32_e32 v15, 3, v14
	v_bfe_u32 v21, v14, 2, 5
	v_and_b32_e32 v7, 0x80000000, v7
	v_ffbh_u32_e32 v19, v15
	v_cmp_eq_u32_e32 vcc_lo, 0, v21
	v_min_u32_e32 v19, 32, v19
	v_subrev_nc_u32_e32 v20, 29, v19
	v_sub_nc_u32_e32 v19, 30, v19
	v_lshlrev_b32_e32 v14, v20, v14
	v_cndmask_b32_e32 v19, v21, v19, vcc_lo
	v_and_b32_e32 v14, 3, v14
	v_cndmask_b32_e32 v14, v15, v14, vcc_lo
	v_lshl_add_u32 v15, v19, 23, 0x37800000
	v_lshlrev_b32_e32 v14, 21, v14
	v_or3_b32 v14, v7, v15, v14
.LBB6_15902:                            ;   in Loop: Header=BB6_15804 Depth=3
	s_or_b32 exec_lo, exec_lo, s22
	v_mul_f32_e32 v7, v6, v14
	v_mov_b32_e32 v80, 0x80
	s_mov_b32 s22, exec_lo
	v_and_b32_e32 v14, 0x7f800000, v7
	v_cmpx_ne_u32_e32 0x7f800000, v14
	s_cbranch_execz .LBB6_15910
; %bb.15903:                            ;   in Loop: Header=BB6_15804 Depth=3
	v_mov_b32_e32 v80, 0
	s_mov_b32 s23, exec_lo
	v_cmpx_ne_u32_e32 0, v7
	s_cbranch_execz .LBB6_15909
; %bb.15904:                            ;   in Loop: Header=BB6_15804 Depth=3
	v_bfe_u32 v14, v7, 23, 8
	v_and_b32_e32 v15, 0x7fffff, v7
	v_sub_nc_u32_e32 v19, 0x70, v14
	v_cmp_gt_u32_e32 vcc_lo, 0x71, v14
	v_or_b32_e32 v20, 0x800000, v15
	v_cndmask_b32_e32 v19, 0, v19, vcc_lo
	v_cmp_eq_u32_e32 vcc_lo, 0, v14
	v_add_nc_u32_e32 v14, 0xffffff91, v14
	v_cndmask_b32_e64 v19, v19, 0x6f, vcc_lo
	v_cndmask_b32_e32 v15, v20, v15, vcc_lo
	v_cndmask_b32_e64 v14, v14, 0xffffff92, vcc_lo
	v_lshl_add_u32 v20, 0x200000, v19, -1
	v_lshrrev_b32_e32 v21, v19, v15
	v_lshlrev_b32_e64 v24, v19, 0x100000
	v_add_nc_u32_e32 v19, v19, v14
	v_and_b32_e32 v15, v20, v15
	v_bfe_u32 v23, v21, 21, 1
	v_cmp_eq_u32_e64 s16, v15, v24
	v_add_nc_u32_e32 v20, -1, v23
	v_cndmask_b32_e64 v15, 0, v20, s16
	v_lshrrev_b32_e32 v20, 23, v21
	s_mov_b32 s16, exec_lo
	v_add_nc_u32_e32 v15, v15, v21
	v_xor_b32_e32 v20, 1, v20
	v_and_b32_e32 v14, 0x1fffff, v15
	v_add_nc_u32_e32 v15, v14, v21
                                        ; implicit-def: $vgpr14
	v_cmpx_ne_u32_e64 v19, v20
	s_xor_b32 s16, exec_lo, s16
; %bb.15905:                            ;   in Loop: Header=BB6_15804 Depth=3
	v_cmp_lt_u32_e32 vcc_lo, 0xffffff, v15
	v_sub_nc_u32_e32 v14, v19, v20
	v_cndmask_b32_e64 v19, 0, 1, vcc_lo
	v_add_co_ci_u32_e64 v14, null, 0, v14, vcc_lo
	v_lshrrev_b32_e32 v15, v19, v15
; %bb.15906:                            ;   in Loop: Header=BB6_15804 Depth=3
	s_andn2_saveexec_b32 s16, s16
; %bb.15907:                            ;   in Loop: Header=BB6_15804 Depth=3
	v_bfe_u32 v14, v15, 23, 1
; %bb.15908:                            ;   in Loop: Header=BB6_15804 Depth=3
	s_or_b32 exec_lo, exec_lo, s16
	v_lshrrev_b32_e32 v15, 21, v15
	v_cmp_gt_i32_e32 vcc_lo, 32, v14
	v_min_i32_e32 v19, 31, v14
	v_and_b32_sdwa v7, v7, v117 dst_sel:DWORD dst_unused:UNUSED_PAD src0_sel:BYTE_3 src1_sel:DWORD
	v_cndmask_b32_e32 v15, 3, v15, vcc_lo
	v_lshlrev_b32_e32 v19, 2, v19
	v_and_b32_e32 v20, 3, v15
	v_or_b32_e32 v14, v14, v15
	v_or3_b32 v7, v19, v7, v20
	v_cmp_ne_u32_e32 vcc_lo, 0, v14
	v_cndmask_b32_e32 v80, 0, v7, vcc_lo
.LBB6_15909:                            ;   in Loop: Header=BB6_15804 Depth=3
	s_or_b32 exec_lo, exec_lo, s23
.LBB6_15910:                            ;   in Loop: Header=BB6_15804 Depth=3
	s_or_b32 exec_lo, exec_lo, s22
	flat_load_ubyte v7, v[8:9] offset:224 slc
	s_mov_b32 s16, 0
	s_mov_b32 s22, exec_lo
	s_waitcnt vmcnt(0) lgkmcnt(0)
	v_cmpx_lt_i16_e32 0x7f, v7
	s_xor_b32 s22, exec_lo, s22
	s_cbranch_execz .LBB6_16912
; %bb.15911:                            ;   in Loop: Header=BB6_15804 Depth=3
	s_mov_b32 s16, -1
	s_mov_b32 s23, exec_lo
	v_cmpx_eq_u16_e32 0x80, v7
; %bb.15912:                            ;   in Loop: Header=BB6_15804 Depth=3
	s_xor_b32 s16, exec_lo, -1
; %bb.15913:                            ;   in Loop: Header=BB6_15804 Depth=3
	s_or_b32 exec_lo, exec_lo, s23
	s_and_b32 s16, s16, exec_lo
	s_or_saveexec_b32 s22, s22
	v_mov_b32_e32 v14, 0x7f800001
	s_xor_b32 exec_lo, exec_lo, s22
	s_cbranch_execnz .LBB6_16913
.LBB6_15914:                            ;   in Loop: Header=BB6_15804 Depth=3
	s_or_b32 exec_lo, exec_lo, s22
	s_and_saveexec_b32 s22, s16
	s_cbranch_execz .LBB6_15916
.LBB6_15915:                            ;   in Loop: Header=BB6_15804 Depth=3
	v_and_b32_e32 v14, 0xffff, v7
	v_lshlrev_b32_e32 v7, 24, v7
	v_and_b32_e32 v15, 3, v14
	v_bfe_u32 v21, v14, 2, 5
	v_and_b32_e32 v7, 0x80000000, v7
	v_ffbh_u32_e32 v19, v15
	v_cmp_eq_u32_e32 vcc_lo, 0, v21
	v_min_u32_e32 v19, 32, v19
	v_subrev_nc_u32_e32 v20, 29, v19
	v_sub_nc_u32_e32 v19, 30, v19
	v_lshlrev_b32_e32 v14, v20, v14
	v_cndmask_b32_e32 v19, v21, v19, vcc_lo
	v_and_b32_e32 v14, 3, v14
	v_cndmask_b32_e32 v14, v15, v14, vcc_lo
	v_lshl_add_u32 v15, v19, 23, 0x37800000
	v_lshlrev_b32_e32 v14, 21, v14
	v_or3_b32 v14, v7, v15, v14
.LBB6_15916:                            ;   in Loop: Header=BB6_15804 Depth=3
	s_or_b32 exec_lo, exec_lo, s22
	v_mul_f32_e32 v7, v6, v14
	v_mov_b32_e32 v84, 0x80
	s_mov_b32 s22, exec_lo
	v_and_b32_e32 v14, 0x7f800000, v7
	v_cmpx_ne_u32_e32 0x7f800000, v14
	s_cbranch_execz .LBB6_15924
; %bb.15917:                            ;   in Loop: Header=BB6_15804 Depth=3
	v_mov_b32_e32 v84, 0
	s_mov_b32 s23, exec_lo
	v_cmpx_ne_u32_e32 0, v7
	s_cbranch_execz .LBB6_15923
; %bb.15918:                            ;   in Loop: Header=BB6_15804 Depth=3
	v_bfe_u32 v14, v7, 23, 8
	v_and_b32_e32 v15, 0x7fffff, v7
	v_sub_nc_u32_e32 v19, 0x70, v14
	v_cmp_gt_u32_e32 vcc_lo, 0x71, v14
	v_or_b32_e32 v20, 0x800000, v15
	v_cndmask_b32_e32 v19, 0, v19, vcc_lo
	v_cmp_eq_u32_e32 vcc_lo, 0, v14
	v_add_nc_u32_e32 v14, 0xffffff91, v14
	v_cndmask_b32_e64 v19, v19, 0x6f, vcc_lo
	v_cndmask_b32_e32 v15, v20, v15, vcc_lo
	v_cndmask_b32_e64 v14, v14, 0xffffff92, vcc_lo
	v_lshl_add_u32 v20, 0x200000, v19, -1
	v_lshrrev_b32_e32 v21, v19, v15
	v_lshlrev_b32_e64 v24, v19, 0x100000
	v_add_nc_u32_e32 v19, v19, v14
	v_and_b32_e32 v15, v20, v15
	v_bfe_u32 v23, v21, 21, 1
	v_cmp_eq_u32_e64 s16, v15, v24
	v_add_nc_u32_e32 v20, -1, v23
	v_cndmask_b32_e64 v15, 0, v20, s16
	v_lshrrev_b32_e32 v20, 23, v21
	s_mov_b32 s16, exec_lo
	v_add_nc_u32_e32 v15, v15, v21
	v_xor_b32_e32 v20, 1, v20
	v_and_b32_e32 v14, 0x1fffff, v15
	v_add_nc_u32_e32 v15, v14, v21
                                        ; implicit-def: $vgpr14
	v_cmpx_ne_u32_e64 v19, v20
	s_xor_b32 s16, exec_lo, s16
; %bb.15919:                            ;   in Loop: Header=BB6_15804 Depth=3
	v_cmp_lt_u32_e32 vcc_lo, 0xffffff, v15
	v_sub_nc_u32_e32 v14, v19, v20
	v_cndmask_b32_e64 v19, 0, 1, vcc_lo
	v_add_co_ci_u32_e64 v14, null, 0, v14, vcc_lo
	v_lshrrev_b32_e32 v15, v19, v15
; %bb.15920:                            ;   in Loop: Header=BB6_15804 Depth=3
	s_andn2_saveexec_b32 s16, s16
; %bb.15921:                            ;   in Loop: Header=BB6_15804 Depth=3
	v_bfe_u32 v14, v15, 23, 1
; %bb.15922:                            ;   in Loop: Header=BB6_15804 Depth=3
	s_or_b32 exec_lo, exec_lo, s16
	v_lshrrev_b32_e32 v15, 21, v15
	v_cmp_gt_i32_e32 vcc_lo, 32, v14
	v_min_i32_e32 v19, 31, v14
	v_and_b32_sdwa v7, v7, v117 dst_sel:DWORD dst_unused:UNUSED_PAD src0_sel:BYTE_3 src1_sel:DWORD
	v_cndmask_b32_e32 v15, 3, v15, vcc_lo
	v_lshlrev_b32_e32 v19, 2, v19
	v_and_b32_e32 v20, 3, v15
	v_or_b32_e32 v14, v14, v15
	v_or3_b32 v7, v19, v7, v20
	v_cmp_ne_u32_e32 vcc_lo, 0, v14
	v_cndmask_b32_e32 v84, 0, v7, vcc_lo
.LBB6_15923:                            ;   in Loop: Header=BB6_15804 Depth=3
	s_or_b32 exec_lo, exec_lo, s23
.LBB6_15924:                            ;   in Loop: Header=BB6_15804 Depth=3
	s_or_b32 exec_lo, exec_lo, s22
	flat_load_ubyte v7, v[8:9] offset:256 slc
	s_mov_b32 s16, 0
	s_mov_b32 s22, exec_lo
	s_waitcnt vmcnt(0) lgkmcnt(0)
	v_cmpx_lt_i16_e32 0x7f, v7
	s_xor_b32 s22, exec_lo, s22
	s_cbranch_execz .LBB6_16914
; %bb.15925:                            ;   in Loop: Header=BB6_15804 Depth=3
	s_mov_b32 s16, -1
	s_mov_b32 s23, exec_lo
	v_cmpx_eq_u16_e32 0x80, v7
; %bb.15926:                            ;   in Loop: Header=BB6_15804 Depth=3
	s_xor_b32 s16, exec_lo, -1
; %bb.15927:                            ;   in Loop: Header=BB6_15804 Depth=3
	s_or_b32 exec_lo, exec_lo, s23
	s_and_b32 s16, s16, exec_lo
	s_or_saveexec_b32 s22, s22
	v_mov_b32_e32 v14, 0x7f800001
	s_xor_b32 exec_lo, exec_lo, s22
	s_cbranch_execnz .LBB6_16915
.LBB6_15928:                            ;   in Loop: Header=BB6_15804 Depth=3
	s_or_b32 exec_lo, exec_lo, s22
	s_and_saveexec_b32 s22, s16
	s_cbranch_execz .LBB6_15930
.LBB6_15929:                            ;   in Loop: Header=BB6_15804 Depth=3
	v_and_b32_e32 v14, 0xffff, v7
	v_lshlrev_b32_e32 v7, 24, v7
	v_and_b32_e32 v15, 3, v14
	v_bfe_u32 v21, v14, 2, 5
	v_and_b32_e32 v7, 0x80000000, v7
	v_ffbh_u32_e32 v19, v15
	v_cmp_eq_u32_e32 vcc_lo, 0, v21
	v_min_u32_e32 v19, 32, v19
	v_subrev_nc_u32_e32 v20, 29, v19
	v_sub_nc_u32_e32 v19, 30, v19
	v_lshlrev_b32_e32 v14, v20, v14
	v_cndmask_b32_e32 v19, v21, v19, vcc_lo
	v_and_b32_e32 v14, 3, v14
	v_cndmask_b32_e32 v14, v15, v14, vcc_lo
	v_lshl_add_u32 v15, v19, 23, 0x37800000
	v_lshlrev_b32_e32 v14, 21, v14
	v_or3_b32 v14, v7, v15, v14
.LBB6_15930:                            ;   in Loop: Header=BB6_15804 Depth=3
	s_or_b32 exec_lo, exec_lo, s22
	v_mul_f32_e32 v7, v6, v14
	v_mov_b32_e32 v96, 0x80
	s_mov_b32 s22, exec_lo
	v_and_b32_e32 v14, 0x7f800000, v7
	v_cmpx_ne_u32_e32 0x7f800000, v14
	s_cbranch_execz .LBB6_15938
; %bb.15931:                            ;   in Loop: Header=BB6_15804 Depth=3
	v_mov_b32_e32 v96, 0
	s_mov_b32 s23, exec_lo
	v_cmpx_ne_u32_e32 0, v7
	s_cbranch_execz .LBB6_15937
; %bb.15932:                            ;   in Loop: Header=BB6_15804 Depth=3
	v_bfe_u32 v14, v7, 23, 8
	v_and_b32_e32 v15, 0x7fffff, v7
	v_sub_nc_u32_e32 v19, 0x70, v14
	v_cmp_gt_u32_e32 vcc_lo, 0x71, v14
	v_or_b32_e32 v20, 0x800000, v15
	v_cndmask_b32_e32 v19, 0, v19, vcc_lo
	v_cmp_eq_u32_e32 vcc_lo, 0, v14
	v_add_nc_u32_e32 v14, 0xffffff91, v14
	v_cndmask_b32_e64 v19, v19, 0x6f, vcc_lo
	v_cndmask_b32_e32 v15, v20, v15, vcc_lo
	v_cndmask_b32_e64 v14, v14, 0xffffff92, vcc_lo
	v_lshl_add_u32 v20, 0x200000, v19, -1
	v_lshrrev_b32_e32 v21, v19, v15
	v_lshlrev_b32_e64 v24, v19, 0x100000
	v_add_nc_u32_e32 v19, v19, v14
	v_and_b32_e32 v15, v20, v15
	v_bfe_u32 v23, v21, 21, 1
	v_cmp_eq_u32_e64 s16, v15, v24
	v_add_nc_u32_e32 v20, -1, v23
	v_cndmask_b32_e64 v15, 0, v20, s16
	v_lshrrev_b32_e32 v20, 23, v21
	s_mov_b32 s16, exec_lo
	v_add_nc_u32_e32 v15, v15, v21
	v_xor_b32_e32 v20, 1, v20
	v_and_b32_e32 v14, 0x1fffff, v15
	v_add_nc_u32_e32 v15, v14, v21
                                        ; implicit-def: $vgpr14
	v_cmpx_ne_u32_e64 v19, v20
	s_xor_b32 s16, exec_lo, s16
; %bb.15933:                            ;   in Loop: Header=BB6_15804 Depth=3
	v_cmp_lt_u32_e32 vcc_lo, 0xffffff, v15
	v_sub_nc_u32_e32 v14, v19, v20
	v_cndmask_b32_e64 v19, 0, 1, vcc_lo
	v_add_co_ci_u32_e64 v14, null, 0, v14, vcc_lo
	v_lshrrev_b32_e32 v15, v19, v15
; %bb.15934:                            ;   in Loop: Header=BB6_15804 Depth=3
	s_andn2_saveexec_b32 s16, s16
; %bb.15935:                            ;   in Loop: Header=BB6_15804 Depth=3
	v_bfe_u32 v14, v15, 23, 1
; %bb.15936:                            ;   in Loop: Header=BB6_15804 Depth=3
	s_or_b32 exec_lo, exec_lo, s16
	v_lshrrev_b32_e32 v15, 21, v15
	v_cmp_gt_i32_e32 vcc_lo, 32, v14
	v_min_i32_e32 v19, 31, v14
	v_and_b32_sdwa v7, v7, v117 dst_sel:DWORD dst_unused:UNUSED_PAD src0_sel:BYTE_3 src1_sel:DWORD
	v_cndmask_b32_e32 v15, 3, v15, vcc_lo
	v_lshlrev_b32_e32 v19, 2, v19
	v_and_b32_e32 v20, 3, v15
	v_or_b32_e32 v14, v14, v15
	v_or3_b32 v7, v19, v7, v20
	v_cmp_ne_u32_e32 vcc_lo, 0, v14
	v_cndmask_b32_e32 v96, 0, v7, vcc_lo
.LBB6_15937:                            ;   in Loop: Header=BB6_15804 Depth=3
	s_or_b32 exec_lo, exec_lo, s23
.LBB6_15938:                            ;   in Loop: Header=BB6_15804 Depth=3
	s_or_b32 exec_lo, exec_lo, s22
	flat_load_ubyte v7, v[8:9] offset:288 slc
	s_mov_b32 s16, 0
	s_mov_b32 s22, exec_lo
	s_waitcnt vmcnt(0) lgkmcnt(0)
	v_cmpx_lt_i16_e32 0x7f, v7
	s_xor_b32 s22, exec_lo, s22
	s_cbranch_execz .LBB6_16916
; %bb.15939:                            ;   in Loop: Header=BB6_15804 Depth=3
	s_mov_b32 s16, -1
	s_mov_b32 s23, exec_lo
	v_cmpx_eq_u16_e32 0x80, v7
; %bb.15940:                            ;   in Loop: Header=BB6_15804 Depth=3
	s_xor_b32 s16, exec_lo, -1
; %bb.15941:                            ;   in Loop: Header=BB6_15804 Depth=3
	s_or_b32 exec_lo, exec_lo, s23
	s_and_b32 s16, s16, exec_lo
	s_or_saveexec_b32 s22, s22
	v_mov_b32_e32 v14, 0x7f800001
	s_xor_b32 exec_lo, exec_lo, s22
	s_cbranch_execnz .LBB6_16917
.LBB6_15942:                            ;   in Loop: Header=BB6_15804 Depth=3
	s_or_b32 exec_lo, exec_lo, s22
	s_and_saveexec_b32 s22, s16
	s_cbranch_execz .LBB6_15944
.LBB6_15943:                            ;   in Loop: Header=BB6_15804 Depth=3
	v_and_b32_e32 v14, 0xffff, v7
	v_lshlrev_b32_e32 v7, 24, v7
	v_and_b32_e32 v15, 3, v14
	v_bfe_u32 v21, v14, 2, 5
	v_and_b32_e32 v7, 0x80000000, v7
	v_ffbh_u32_e32 v19, v15
	v_cmp_eq_u32_e32 vcc_lo, 0, v21
	v_min_u32_e32 v19, 32, v19
	v_subrev_nc_u32_e32 v20, 29, v19
	v_sub_nc_u32_e32 v19, 30, v19
	v_lshlrev_b32_e32 v14, v20, v14
	v_cndmask_b32_e32 v19, v21, v19, vcc_lo
	v_and_b32_e32 v14, 3, v14
	v_cndmask_b32_e32 v14, v15, v14, vcc_lo
	v_lshl_add_u32 v15, v19, 23, 0x37800000
	v_lshlrev_b32_e32 v14, 21, v14
	v_or3_b32 v14, v7, v15, v14
.LBB6_15944:                            ;   in Loop: Header=BB6_15804 Depth=3
	s_or_b32 exec_lo, exec_lo, s22
	v_mul_f32_e32 v7, v6, v14
	v_mov_b32_e32 v101, 0x80
	s_mov_b32 s22, exec_lo
	v_and_b32_e32 v14, 0x7f800000, v7
	v_cmpx_ne_u32_e32 0x7f800000, v14
	s_cbranch_execz .LBB6_15952
; %bb.15945:                            ;   in Loop: Header=BB6_15804 Depth=3
	v_mov_b32_e32 v101, 0
	s_mov_b32 s23, exec_lo
	v_cmpx_ne_u32_e32 0, v7
	s_cbranch_execz .LBB6_15951
; %bb.15946:                            ;   in Loop: Header=BB6_15804 Depth=3
	v_bfe_u32 v14, v7, 23, 8
	v_and_b32_e32 v15, 0x7fffff, v7
	v_sub_nc_u32_e32 v19, 0x70, v14
	v_cmp_gt_u32_e32 vcc_lo, 0x71, v14
	v_or_b32_e32 v20, 0x800000, v15
	v_cndmask_b32_e32 v19, 0, v19, vcc_lo
	v_cmp_eq_u32_e32 vcc_lo, 0, v14
	v_add_nc_u32_e32 v14, 0xffffff91, v14
	v_cndmask_b32_e64 v19, v19, 0x6f, vcc_lo
	v_cndmask_b32_e32 v15, v20, v15, vcc_lo
	v_cndmask_b32_e64 v14, v14, 0xffffff92, vcc_lo
	v_lshl_add_u32 v20, 0x200000, v19, -1
	v_lshrrev_b32_e32 v21, v19, v15
	v_lshlrev_b32_e64 v24, v19, 0x100000
	v_add_nc_u32_e32 v19, v19, v14
	v_and_b32_e32 v15, v20, v15
	v_bfe_u32 v23, v21, 21, 1
	v_cmp_eq_u32_e64 s16, v15, v24
	v_add_nc_u32_e32 v20, -1, v23
	v_cndmask_b32_e64 v15, 0, v20, s16
	v_lshrrev_b32_e32 v20, 23, v21
	s_mov_b32 s16, exec_lo
	v_add_nc_u32_e32 v15, v15, v21
	v_xor_b32_e32 v20, 1, v20
	v_and_b32_e32 v14, 0x1fffff, v15
	v_add_nc_u32_e32 v15, v14, v21
                                        ; implicit-def: $vgpr14
	v_cmpx_ne_u32_e64 v19, v20
	s_xor_b32 s16, exec_lo, s16
; %bb.15947:                            ;   in Loop: Header=BB6_15804 Depth=3
	v_cmp_lt_u32_e32 vcc_lo, 0xffffff, v15
	v_sub_nc_u32_e32 v14, v19, v20
	v_cndmask_b32_e64 v19, 0, 1, vcc_lo
	v_add_co_ci_u32_e64 v14, null, 0, v14, vcc_lo
	v_lshrrev_b32_e32 v15, v19, v15
; %bb.15948:                            ;   in Loop: Header=BB6_15804 Depth=3
	s_andn2_saveexec_b32 s16, s16
; %bb.15949:                            ;   in Loop: Header=BB6_15804 Depth=3
	v_bfe_u32 v14, v15, 23, 1
; %bb.15950:                            ;   in Loop: Header=BB6_15804 Depth=3
	s_or_b32 exec_lo, exec_lo, s16
	v_lshrrev_b32_e32 v15, 21, v15
	v_cmp_gt_i32_e32 vcc_lo, 32, v14
	v_min_i32_e32 v19, 31, v14
	v_and_b32_sdwa v7, v7, v117 dst_sel:DWORD dst_unused:UNUSED_PAD src0_sel:BYTE_3 src1_sel:DWORD
	v_cndmask_b32_e32 v15, 3, v15, vcc_lo
	v_lshlrev_b32_e32 v19, 2, v19
	v_and_b32_e32 v20, 3, v15
	v_or_b32_e32 v14, v14, v15
	v_or3_b32 v7, v19, v7, v20
	v_cmp_ne_u32_e32 vcc_lo, 0, v14
	v_cndmask_b32_e32 v101, 0, v7, vcc_lo
.LBB6_15951:                            ;   in Loop: Header=BB6_15804 Depth=3
	s_or_b32 exec_lo, exec_lo, s23
.LBB6_15952:                            ;   in Loop: Header=BB6_15804 Depth=3
	s_or_b32 exec_lo, exec_lo, s22
	flat_load_ubyte v7, v[8:9] offset:320 slc
	s_mov_b32 s16, 0
	s_mov_b32 s22, exec_lo
	s_waitcnt vmcnt(0) lgkmcnt(0)
	v_cmpx_lt_i16_e32 0x7f, v7
	s_xor_b32 s22, exec_lo, s22
	s_cbranch_execz .LBB6_16918
; %bb.15953:                            ;   in Loop: Header=BB6_15804 Depth=3
	s_mov_b32 s16, -1
	s_mov_b32 s23, exec_lo
	v_cmpx_eq_u16_e32 0x80, v7
; %bb.15954:                            ;   in Loop: Header=BB6_15804 Depth=3
	s_xor_b32 s16, exec_lo, -1
; %bb.15955:                            ;   in Loop: Header=BB6_15804 Depth=3
	s_or_b32 exec_lo, exec_lo, s23
	s_and_b32 s16, s16, exec_lo
	s_or_saveexec_b32 s22, s22
	v_mov_b32_e32 v14, 0x7f800001
	s_xor_b32 exec_lo, exec_lo, s22
	s_cbranch_execnz .LBB6_16919
.LBB6_15956:                            ;   in Loop: Header=BB6_15804 Depth=3
	s_or_b32 exec_lo, exec_lo, s22
	s_and_saveexec_b32 s22, s16
	s_cbranch_execz .LBB6_15958
.LBB6_15957:                            ;   in Loop: Header=BB6_15804 Depth=3
	v_and_b32_e32 v14, 0xffff, v7
	v_lshlrev_b32_e32 v7, 24, v7
	v_and_b32_e32 v15, 3, v14
	v_bfe_u32 v21, v14, 2, 5
	v_and_b32_e32 v7, 0x80000000, v7
	v_ffbh_u32_e32 v19, v15
	v_cmp_eq_u32_e32 vcc_lo, 0, v21
	v_min_u32_e32 v19, 32, v19
	v_subrev_nc_u32_e32 v20, 29, v19
	v_sub_nc_u32_e32 v19, 30, v19
	v_lshlrev_b32_e32 v14, v20, v14
	v_cndmask_b32_e32 v19, v21, v19, vcc_lo
	v_and_b32_e32 v14, 3, v14
	v_cndmask_b32_e32 v14, v15, v14, vcc_lo
	v_lshl_add_u32 v15, v19, 23, 0x37800000
	v_lshlrev_b32_e32 v14, 21, v14
	v_or3_b32 v14, v7, v15, v14
.LBB6_15958:                            ;   in Loop: Header=BB6_15804 Depth=3
	s_or_b32 exec_lo, exec_lo, s22
	v_mul_f32_e32 v7, v6, v14
	v_mov_b32_e32 v98, 0x80
	s_mov_b32 s22, exec_lo
	v_and_b32_e32 v14, 0x7f800000, v7
	v_cmpx_ne_u32_e32 0x7f800000, v14
	s_cbranch_execz .LBB6_15966
; %bb.15959:                            ;   in Loop: Header=BB6_15804 Depth=3
	v_mov_b32_e32 v98, 0
	s_mov_b32 s23, exec_lo
	v_cmpx_ne_u32_e32 0, v7
	s_cbranch_execz .LBB6_15965
; %bb.15960:                            ;   in Loop: Header=BB6_15804 Depth=3
	v_bfe_u32 v14, v7, 23, 8
	v_and_b32_e32 v15, 0x7fffff, v7
	v_sub_nc_u32_e32 v19, 0x70, v14
	v_cmp_gt_u32_e32 vcc_lo, 0x71, v14
	v_or_b32_e32 v20, 0x800000, v15
	v_cndmask_b32_e32 v19, 0, v19, vcc_lo
	v_cmp_eq_u32_e32 vcc_lo, 0, v14
	v_add_nc_u32_e32 v14, 0xffffff91, v14
	v_cndmask_b32_e64 v19, v19, 0x6f, vcc_lo
	v_cndmask_b32_e32 v15, v20, v15, vcc_lo
	v_cndmask_b32_e64 v14, v14, 0xffffff92, vcc_lo
	v_lshl_add_u32 v20, 0x200000, v19, -1
	v_lshrrev_b32_e32 v21, v19, v15
	v_lshlrev_b32_e64 v24, v19, 0x100000
	v_add_nc_u32_e32 v19, v19, v14
	v_and_b32_e32 v15, v20, v15
	v_bfe_u32 v23, v21, 21, 1
	v_cmp_eq_u32_e64 s16, v15, v24
	v_add_nc_u32_e32 v20, -1, v23
	v_cndmask_b32_e64 v15, 0, v20, s16
	v_lshrrev_b32_e32 v20, 23, v21
	s_mov_b32 s16, exec_lo
	v_add_nc_u32_e32 v15, v15, v21
	v_xor_b32_e32 v20, 1, v20
	v_and_b32_e32 v14, 0x1fffff, v15
	v_add_nc_u32_e32 v15, v14, v21
                                        ; implicit-def: $vgpr14
	v_cmpx_ne_u32_e64 v19, v20
	s_xor_b32 s16, exec_lo, s16
; %bb.15961:                            ;   in Loop: Header=BB6_15804 Depth=3
	v_cmp_lt_u32_e32 vcc_lo, 0xffffff, v15
	v_sub_nc_u32_e32 v14, v19, v20
	v_cndmask_b32_e64 v19, 0, 1, vcc_lo
	v_add_co_ci_u32_e64 v14, null, 0, v14, vcc_lo
	v_lshrrev_b32_e32 v15, v19, v15
; %bb.15962:                            ;   in Loop: Header=BB6_15804 Depth=3
	s_andn2_saveexec_b32 s16, s16
; %bb.15963:                            ;   in Loop: Header=BB6_15804 Depth=3
	v_bfe_u32 v14, v15, 23, 1
; %bb.15964:                            ;   in Loop: Header=BB6_15804 Depth=3
	s_or_b32 exec_lo, exec_lo, s16
	v_lshrrev_b32_e32 v15, 21, v15
	v_cmp_gt_i32_e32 vcc_lo, 32, v14
	v_min_i32_e32 v19, 31, v14
	v_and_b32_sdwa v7, v7, v117 dst_sel:DWORD dst_unused:UNUSED_PAD src0_sel:BYTE_3 src1_sel:DWORD
	v_cndmask_b32_e32 v15, 3, v15, vcc_lo
	v_lshlrev_b32_e32 v19, 2, v19
	v_and_b32_e32 v20, 3, v15
	v_or_b32_e32 v14, v14, v15
	v_or3_b32 v7, v19, v7, v20
	v_cmp_ne_u32_e32 vcc_lo, 0, v14
	v_cndmask_b32_e32 v98, 0, v7, vcc_lo
.LBB6_15965:                            ;   in Loop: Header=BB6_15804 Depth=3
	s_or_b32 exec_lo, exec_lo, s23
.LBB6_15966:                            ;   in Loop: Header=BB6_15804 Depth=3
	s_or_b32 exec_lo, exec_lo, s22
	flat_load_ubyte v7, v[8:9] offset:352 slc
	s_mov_b32 s16, 0
	s_mov_b32 s22, exec_lo
	s_waitcnt vmcnt(0) lgkmcnt(0)
	v_cmpx_lt_i16_e32 0x7f, v7
	s_xor_b32 s22, exec_lo, s22
	s_cbranch_execz .LBB6_16920
; %bb.15967:                            ;   in Loop: Header=BB6_15804 Depth=3
	s_mov_b32 s16, -1
	s_mov_b32 s23, exec_lo
	v_cmpx_eq_u16_e32 0x80, v7
; %bb.15968:                            ;   in Loop: Header=BB6_15804 Depth=3
	s_xor_b32 s16, exec_lo, -1
; %bb.15969:                            ;   in Loop: Header=BB6_15804 Depth=3
	s_or_b32 exec_lo, exec_lo, s23
	s_and_b32 s16, s16, exec_lo
	s_or_saveexec_b32 s22, s22
	v_mov_b32_e32 v14, 0x7f800001
	s_xor_b32 exec_lo, exec_lo, s22
	s_cbranch_execnz .LBB6_16921
.LBB6_15970:                            ;   in Loop: Header=BB6_15804 Depth=3
	s_or_b32 exec_lo, exec_lo, s22
	s_and_saveexec_b32 s22, s16
	s_cbranch_execz .LBB6_15972
.LBB6_15971:                            ;   in Loop: Header=BB6_15804 Depth=3
	v_and_b32_e32 v14, 0xffff, v7
	v_lshlrev_b32_e32 v7, 24, v7
	v_and_b32_e32 v15, 3, v14
	v_bfe_u32 v21, v14, 2, 5
	v_and_b32_e32 v7, 0x80000000, v7
	v_ffbh_u32_e32 v19, v15
	v_cmp_eq_u32_e32 vcc_lo, 0, v21
	v_min_u32_e32 v19, 32, v19
	v_subrev_nc_u32_e32 v20, 29, v19
	v_sub_nc_u32_e32 v19, 30, v19
	v_lshlrev_b32_e32 v14, v20, v14
	v_cndmask_b32_e32 v19, v21, v19, vcc_lo
	v_and_b32_e32 v14, 3, v14
	v_cndmask_b32_e32 v14, v15, v14, vcc_lo
	v_lshl_add_u32 v15, v19, 23, 0x37800000
	v_lshlrev_b32_e32 v14, 21, v14
	v_or3_b32 v14, v7, v15, v14
.LBB6_15972:                            ;   in Loop: Header=BB6_15804 Depth=3
	s_or_b32 exec_lo, exec_lo, s22
	v_mul_f32_e32 v7, v6, v14
	v_mov_b32_e32 v97, 0x80
	s_mov_b32 s22, exec_lo
	v_and_b32_e32 v14, 0x7f800000, v7
	v_cmpx_ne_u32_e32 0x7f800000, v14
	s_cbranch_execz .LBB6_15980
; %bb.15973:                            ;   in Loop: Header=BB6_15804 Depth=3
	v_mov_b32_e32 v97, 0
	s_mov_b32 s23, exec_lo
	v_cmpx_ne_u32_e32 0, v7
	s_cbranch_execz .LBB6_15979
; %bb.15974:                            ;   in Loop: Header=BB6_15804 Depth=3
	v_bfe_u32 v14, v7, 23, 8
	v_and_b32_e32 v15, 0x7fffff, v7
	v_sub_nc_u32_e32 v19, 0x70, v14
	v_cmp_gt_u32_e32 vcc_lo, 0x71, v14
	v_or_b32_e32 v20, 0x800000, v15
	v_cndmask_b32_e32 v19, 0, v19, vcc_lo
	v_cmp_eq_u32_e32 vcc_lo, 0, v14
	v_add_nc_u32_e32 v14, 0xffffff91, v14
	v_cndmask_b32_e64 v19, v19, 0x6f, vcc_lo
	v_cndmask_b32_e32 v15, v20, v15, vcc_lo
	v_cndmask_b32_e64 v14, v14, 0xffffff92, vcc_lo
	v_lshl_add_u32 v20, 0x200000, v19, -1
	v_lshrrev_b32_e32 v21, v19, v15
	v_lshlrev_b32_e64 v24, v19, 0x100000
	v_add_nc_u32_e32 v19, v19, v14
	v_and_b32_e32 v15, v20, v15
	v_bfe_u32 v23, v21, 21, 1
	v_cmp_eq_u32_e64 s16, v15, v24
	v_add_nc_u32_e32 v20, -1, v23
	v_cndmask_b32_e64 v15, 0, v20, s16
	v_lshrrev_b32_e32 v20, 23, v21
	s_mov_b32 s16, exec_lo
	v_add_nc_u32_e32 v15, v15, v21
	v_xor_b32_e32 v20, 1, v20
	v_and_b32_e32 v14, 0x1fffff, v15
	v_add_nc_u32_e32 v15, v14, v21
                                        ; implicit-def: $vgpr14
	v_cmpx_ne_u32_e64 v19, v20
	s_xor_b32 s16, exec_lo, s16
; %bb.15975:                            ;   in Loop: Header=BB6_15804 Depth=3
	v_cmp_lt_u32_e32 vcc_lo, 0xffffff, v15
	v_sub_nc_u32_e32 v14, v19, v20
	v_cndmask_b32_e64 v19, 0, 1, vcc_lo
	v_add_co_ci_u32_e64 v14, null, 0, v14, vcc_lo
	v_lshrrev_b32_e32 v15, v19, v15
; %bb.15976:                            ;   in Loop: Header=BB6_15804 Depth=3
	s_andn2_saveexec_b32 s16, s16
; %bb.15977:                            ;   in Loop: Header=BB6_15804 Depth=3
	v_bfe_u32 v14, v15, 23, 1
; %bb.15978:                            ;   in Loop: Header=BB6_15804 Depth=3
	s_or_b32 exec_lo, exec_lo, s16
	v_lshrrev_b32_e32 v15, 21, v15
	v_cmp_gt_i32_e32 vcc_lo, 32, v14
	v_min_i32_e32 v19, 31, v14
	v_and_b32_sdwa v7, v7, v117 dst_sel:DWORD dst_unused:UNUSED_PAD src0_sel:BYTE_3 src1_sel:DWORD
	v_cndmask_b32_e32 v15, 3, v15, vcc_lo
	v_lshlrev_b32_e32 v19, 2, v19
	v_and_b32_e32 v20, 3, v15
	v_or_b32_e32 v14, v14, v15
	v_or3_b32 v7, v19, v7, v20
	v_cmp_ne_u32_e32 vcc_lo, 0, v14
	v_cndmask_b32_e32 v97, 0, v7, vcc_lo
.LBB6_15979:                            ;   in Loop: Header=BB6_15804 Depth=3
	s_or_b32 exec_lo, exec_lo, s23
.LBB6_15980:                            ;   in Loop: Header=BB6_15804 Depth=3
	s_or_b32 exec_lo, exec_lo, s22
	flat_load_ubyte v7, v[8:9] offset:384 slc
	s_mov_b32 s16, 0
	s_mov_b32 s22, exec_lo
	s_waitcnt vmcnt(0) lgkmcnt(0)
	v_cmpx_lt_i16_e32 0x7f, v7
	s_xor_b32 s22, exec_lo, s22
	s_cbranch_execz .LBB6_16922
; %bb.15981:                            ;   in Loop: Header=BB6_15804 Depth=3
	s_mov_b32 s16, -1
	s_mov_b32 s23, exec_lo
	v_cmpx_eq_u16_e32 0x80, v7
; %bb.15982:                            ;   in Loop: Header=BB6_15804 Depth=3
	s_xor_b32 s16, exec_lo, -1
; %bb.15983:                            ;   in Loop: Header=BB6_15804 Depth=3
	s_or_b32 exec_lo, exec_lo, s23
	s_and_b32 s16, s16, exec_lo
	s_or_saveexec_b32 s22, s22
	v_mov_b32_e32 v14, 0x7f800001
	s_xor_b32 exec_lo, exec_lo, s22
	s_cbranch_execnz .LBB6_16923
.LBB6_15984:                            ;   in Loop: Header=BB6_15804 Depth=3
	s_or_b32 exec_lo, exec_lo, s22
	s_and_saveexec_b32 s22, s16
	s_cbranch_execz .LBB6_15986
.LBB6_15985:                            ;   in Loop: Header=BB6_15804 Depth=3
	v_and_b32_e32 v14, 0xffff, v7
	v_lshlrev_b32_e32 v7, 24, v7
	v_and_b32_e32 v15, 3, v14
	v_bfe_u32 v21, v14, 2, 5
	v_and_b32_e32 v7, 0x80000000, v7
	v_ffbh_u32_e32 v19, v15
	v_cmp_eq_u32_e32 vcc_lo, 0, v21
	v_min_u32_e32 v19, 32, v19
	v_subrev_nc_u32_e32 v20, 29, v19
	v_sub_nc_u32_e32 v19, 30, v19
	v_lshlrev_b32_e32 v14, v20, v14
	v_cndmask_b32_e32 v19, v21, v19, vcc_lo
	v_and_b32_e32 v14, 3, v14
	v_cndmask_b32_e32 v14, v15, v14, vcc_lo
	v_lshl_add_u32 v15, v19, 23, 0x37800000
	v_lshlrev_b32_e32 v14, 21, v14
	v_or3_b32 v14, v7, v15, v14
.LBB6_15986:                            ;   in Loop: Header=BB6_15804 Depth=3
	s_or_b32 exec_lo, exec_lo, s22
	v_mul_f32_e32 v7, v6, v14
	v_mov_b32_e32 v86, 0x80
	s_mov_b32 s22, exec_lo
	v_and_b32_e32 v14, 0x7f800000, v7
	v_cmpx_ne_u32_e32 0x7f800000, v14
	s_cbranch_execz .LBB6_15994
; %bb.15987:                            ;   in Loop: Header=BB6_15804 Depth=3
	v_mov_b32_e32 v86, 0
	s_mov_b32 s23, exec_lo
	v_cmpx_ne_u32_e32 0, v7
	s_cbranch_execz .LBB6_15993
; %bb.15988:                            ;   in Loop: Header=BB6_15804 Depth=3
	v_bfe_u32 v14, v7, 23, 8
	v_and_b32_e32 v15, 0x7fffff, v7
	v_sub_nc_u32_e32 v19, 0x70, v14
	v_cmp_gt_u32_e32 vcc_lo, 0x71, v14
	v_or_b32_e32 v20, 0x800000, v15
	v_cndmask_b32_e32 v19, 0, v19, vcc_lo
	v_cmp_eq_u32_e32 vcc_lo, 0, v14
	v_add_nc_u32_e32 v14, 0xffffff91, v14
	v_cndmask_b32_e64 v19, v19, 0x6f, vcc_lo
	v_cndmask_b32_e32 v15, v20, v15, vcc_lo
	v_cndmask_b32_e64 v14, v14, 0xffffff92, vcc_lo
	v_lshl_add_u32 v20, 0x200000, v19, -1
	v_lshrrev_b32_e32 v21, v19, v15
	v_lshlrev_b32_e64 v24, v19, 0x100000
	v_add_nc_u32_e32 v19, v19, v14
	v_and_b32_e32 v15, v20, v15
	v_bfe_u32 v23, v21, 21, 1
	v_cmp_eq_u32_e64 s16, v15, v24
	v_add_nc_u32_e32 v20, -1, v23
	v_cndmask_b32_e64 v15, 0, v20, s16
	v_lshrrev_b32_e32 v20, 23, v21
	s_mov_b32 s16, exec_lo
	v_add_nc_u32_e32 v15, v15, v21
	v_xor_b32_e32 v20, 1, v20
	v_and_b32_e32 v14, 0x1fffff, v15
	v_add_nc_u32_e32 v15, v14, v21
                                        ; implicit-def: $vgpr14
	v_cmpx_ne_u32_e64 v19, v20
	s_xor_b32 s16, exec_lo, s16
; %bb.15989:                            ;   in Loop: Header=BB6_15804 Depth=3
	v_cmp_lt_u32_e32 vcc_lo, 0xffffff, v15
	v_sub_nc_u32_e32 v14, v19, v20
	v_cndmask_b32_e64 v19, 0, 1, vcc_lo
	v_add_co_ci_u32_e64 v14, null, 0, v14, vcc_lo
	v_lshrrev_b32_e32 v15, v19, v15
; %bb.15990:                            ;   in Loop: Header=BB6_15804 Depth=3
	s_andn2_saveexec_b32 s16, s16
; %bb.15991:                            ;   in Loop: Header=BB6_15804 Depth=3
	v_bfe_u32 v14, v15, 23, 1
; %bb.15992:                            ;   in Loop: Header=BB6_15804 Depth=3
	s_or_b32 exec_lo, exec_lo, s16
	v_lshrrev_b32_e32 v15, 21, v15
	v_cmp_gt_i32_e32 vcc_lo, 32, v14
	v_min_i32_e32 v19, 31, v14
	v_and_b32_sdwa v7, v7, v117 dst_sel:DWORD dst_unused:UNUSED_PAD src0_sel:BYTE_3 src1_sel:DWORD
	v_cndmask_b32_e32 v15, 3, v15, vcc_lo
	v_lshlrev_b32_e32 v19, 2, v19
	v_and_b32_e32 v20, 3, v15
	v_or_b32_e32 v14, v14, v15
	v_or3_b32 v7, v19, v7, v20
	v_cmp_ne_u32_e32 vcc_lo, 0, v14
	v_cndmask_b32_e32 v86, 0, v7, vcc_lo
.LBB6_15993:                            ;   in Loop: Header=BB6_15804 Depth=3
	s_or_b32 exec_lo, exec_lo, s23
.LBB6_15994:                            ;   in Loop: Header=BB6_15804 Depth=3
	s_or_b32 exec_lo, exec_lo, s22
	flat_load_ubyte v7, v[8:9] offset:416 slc
	s_mov_b32 s16, 0
	s_mov_b32 s22, exec_lo
	s_waitcnt vmcnt(0) lgkmcnt(0)
	v_cmpx_lt_i16_e32 0x7f, v7
	s_xor_b32 s22, exec_lo, s22
	s_cbranch_execz .LBB6_16924
; %bb.15995:                            ;   in Loop: Header=BB6_15804 Depth=3
	s_mov_b32 s16, -1
	s_mov_b32 s23, exec_lo
	v_cmpx_eq_u16_e32 0x80, v7
; %bb.15996:                            ;   in Loop: Header=BB6_15804 Depth=3
	s_xor_b32 s16, exec_lo, -1
; %bb.15997:                            ;   in Loop: Header=BB6_15804 Depth=3
	s_or_b32 exec_lo, exec_lo, s23
	s_and_b32 s16, s16, exec_lo
	s_or_saveexec_b32 s22, s22
	v_mov_b32_e32 v14, 0x7f800001
	s_xor_b32 exec_lo, exec_lo, s22
	s_cbranch_execnz .LBB6_16925
.LBB6_15998:                            ;   in Loop: Header=BB6_15804 Depth=3
	s_or_b32 exec_lo, exec_lo, s22
	s_and_saveexec_b32 s22, s16
	s_cbranch_execz .LBB6_16000
.LBB6_15999:                            ;   in Loop: Header=BB6_15804 Depth=3
	v_and_b32_e32 v14, 0xffff, v7
	v_lshlrev_b32_e32 v7, 24, v7
	v_and_b32_e32 v15, 3, v14
	v_bfe_u32 v21, v14, 2, 5
	v_and_b32_e32 v7, 0x80000000, v7
	v_ffbh_u32_e32 v19, v15
	v_cmp_eq_u32_e32 vcc_lo, 0, v21
	v_min_u32_e32 v19, 32, v19
	v_subrev_nc_u32_e32 v20, 29, v19
	v_sub_nc_u32_e32 v19, 30, v19
	v_lshlrev_b32_e32 v14, v20, v14
	v_cndmask_b32_e32 v19, v21, v19, vcc_lo
	v_and_b32_e32 v14, 3, v14
	v_cndmask_b32_e32 v14, v15, v14, vcc_lo
	v_lshl_add_u32 v15, v19, 23, 0x37800000
	v_lshlrev_b32_e32 v14, 21, v14
	v_or3_b32 v14, v7, v15, v14
.LBB6_16000:                            ;   in Loop: Header=BB6_15804 Depth=3
	s_or_b32 exec_lo, exec_lo, s22
	v_mul_f32_e32 v7, v6, v14
	v_mov_b32_e32 v85, 0x80
	s_mov_b32 s22, exec_lo
	v_and_b32_e32 v14, 0x7f800000, v7
	v_cmpx_ne_u32_e32 0x7f800000, v14
	s_cbranch_execz .LBB6_16008
; %bb.16001:                            ;   in Loop: Header=BB6_15804 Depth=3
	v_mov_b32_e32 v85, 0
	s_mov_b32 s23, exec_lo
	v_cmpx_ne_u32_e32 0, v7
	s_cbranch_execz .LBB6_16007
; %bb.16002:                            ;   in Loop: Header=BB6_15804 Depth=3
	v_bfe_u32 v14, v7, 23, 8
	v_and_b32_e32 v15, 0x7fffff, v7
	v_sub_nc_u32_e32 v19, 0x70, v14
	v_cmp_gt_u32_e32 vcc_lo, 0x71, v14
	v_or_b32_e32 v20, 0x800000, v15
	v_cndmask_b32_e32 v19, 0, v19, vcc_lo
	v_cmp_eq_u32_e32 vcc_lo, 0, v14
	v_add_nc_u32_e32 v14, 0xffffff91, v14
	v_cndmask_b32_e64 v19, v19, 0x6f, vcc_lo
	v_cndmask_b32_e32 v15, v20, v15, vcc_lo
	v_cndmask_b32_e64 v14, v14, 0xffffff92, vcc_lo
	v_lshl_add_u32 v20, 0x200000, v19, -1
	v_lshrrev_b32_e32 v21, v19, v15
	v_lshlrev_b32_e64 v24, v19, 0x100000
	v_add_nc_u32_e32 v19, v19, v14
	v_and_b32_e32 v15, v20, v15
	v_bfe_u32 v23, v21, 21, 1
	v_cmp_eq_u32_e64 s16, v15, v24
	v_add_nc_u32_e32 v20, -1, v23
	v_cndmask_b32_e64 v15, 0, v20, s16
	v_lshrrev_b32_e32 v20, 23, v21
	s_mov_b32 s16, exec_lo
	v_add_nc_u32_e32 v15, v15, v21
	v_xor_b32_e32 v20, 1, v20
	v_and_b32_e32 v14, 0x1fffff, v15
	v_add_nc_u32_e32 v15, v14, v21
                                        ; implicit-def: $vgpr14
	v_cmpx_ne_u32_e64 v19, v20
	s_xor_b32 s16, exec_lo, s16
; %bb.16003:                            ;   in Loop: Header=BB6_15804 Depth=3
	v_cmp_lt_u32_e32 vcc_lo, 0xffffff, v15
	v_sub_nc_u32_e32 v14, v19, v20
	v_cndmask_b32_e64 v19, 0, 1, vcc_lo
	v_add_co_ci_u32_e64 v14, null, 0, v14, vcc_lo
	v_lshrrev_b32_e32 v15, v19, v15
; %bb.16004:                            ;   in Loop: Header=BB6_15804 Depth=3
	s_andn2_saveexec_b32 s16, s16
; %bb.16005:                            ;   in Loop: Header=BB6_15804 Depth=3
	v_bfe_u32 v14, v15, 23, 1
; %bb.16006:                            ;   in Loop: Header=BB6_15804 Depth=3
	s_or_b32 exec_lo, exec_lo, s16
	v_lshrrev_b32_e32 v15, 21, v15
	v_cmp_gt_i32_e32 vcc_lo, 32, v14
	v_min_i32_e32 v19, 31, v14
	v_and_b32_sdwa v7, v7, v117 dst_sel:DWORD dst_unused:UNUSED_PAD src0_sel:BYTE_3 src1_sel:DWORD
	v_cndmask_b32_e32 v15, 3, v15, vcc_lo
	v_lshlrev_b32_e32 v19, 2, v19
	v_and_b32_e32 v20, 3, v15
	v_or_b32_e32 v14, v14, v15
	v_or3_b32 v7, v19, v7, v20
	v_cmp_ne_u32_e32 vcc_lo, 0, v14
	v_cndmask_b32_e32 v85, 0, v7, vcc_lo
.LBB6_16007:                            ;   in Loop: Header=BB6_15804 Depth=3
	s_or_b32 exec_lo, exec_lo, s23
.LBB6_16008:                            ;   in Loop: Header=BB6_15804 Depth=3
	s_or_b32 exec_lo, exec_lo, s22
	flat_load_ubyte v7, v[8:9] offset:448 slc
	s_mov_b32 s16, 0
	s_mov_b32 s22, exec_lo
	s_waitcnt vmcnt(0) lgkmcnt(0)
	v_cmpx_lt_i16_e32 0x7f, v7
	s_xor_b32 s22, exec_lo, s22
	s_cbranch_execz .LBB6_16926
; %bb.16009:                            ;   in Loop: Header=BB6_15804 Depth=3
	s_mov_b32 s16, -1
	s_mov_b32 s23, exec_lo
	v_cmpx_eq_u16_e32 0x80, v7
; %bb.16010:                            ;   in Loop: Header=BB6_15804 Depth=3
	s_xor_b32 s16, exec_lo, -1
; %bb.16011:                            ;   in Loop: Header=BB6_15804 Depth=3
	s_or_b32 exec_lo, exec_lo, s23
	s_and_b32 s16, s16, exec_lo
	s_or_saveexec_b32 s22, s22
	v_mov_b32_e32 v14, 0x7f800001
	s_xor_b32 exec_lo, exec_lo, s22
	s_cbranch_execnz .LBB6_16927
.LBB6_16012:                            ;   in Loop: Header=BB6_15804 Depth=3
	s_or_b32 exec_lo, exec_lo, s22
	s_and_saveexec_b32 s22, s16
	s_cbranch_execz .LBB6_16014
.LBB6_16013:                            ;   in Loop: Header=BB6_15804 Depth=3
	v_and_b32_e32 v14, 0xffff, v7
	v_lshlrev_b32_e32 v7, 24, v7
	v_and_b32_e32 v15, 3, v14
	v_bfe_u32 v21, v14, 2, 5
	v_and_b32_e32 v7, 0x80000000, v7
	v_ffbh_u32_e32 v19, v15
	v_cmp_eq_u32_e32 vcc_lo, 0, v21
	v_min_u32_e32 v19, 32, v19
	v_subrev_nc_u32_e32 v20, 29, v19
	v_sub_nc_u32_e32 v19, 30, v19
	v_lshlrev_b32_e32 v14, v20, v14
	v_cndmask_b32_e32 v19, v21, v19, vcc_lo
	v_and_b32_e32 v14, 3, v14
	v_cndmask_b32_e32 v14, v15, v14, vcc_lo
	v_lshl_add_u32 v15, v19, 23, 0x37800000
	v_lshlrev_b32_e32 v14, 21, v14
	v_or3_b32 v14, v7, v15, v14
.LBB6_16014:                            ;   in Loop: Header=BB6_15804 Depth=3
	s_or_b32 exec_lo, exec_lo, s22
	v_mul_f32_e32 v7, v6, v14
	v_mov_b32_e32 v82, 0x80
	s_mov_b32 s22, exec_lo
	v_and_b32_e32 v14, 0x7f800000, v7
	v_cmpx_ne_u32_e32 0x7f800000, v14
	s_cbranch_execz .LBB6_16022
; %bb.16015:                            ;   in Loop: Header=BB6_15804 Depth=3
	v_mov_b32_e32 v82, 0
	s_mov_b32 s23, exec_lo
	v_cmpx_ne_u32_e32 0, v7
	s_cbranch_execz .LBB6_16021
; %bb.16016:                            ;   in Loop: Header=BB6_15804 Depth=3
	v_bfe_u32 v14, v7, 23, 8
	v_and_b32_e32 v15, 0x7fffff, v7
	v_sub_nc_u32_e32 v19, 0x70, v14
	v_cmp_gt_u32_e32 vcc_lo, 0x71, v14
	v_or_b32_e32 v20, 0x800000, v15
	v_cndmask_b32_e32 v19, 0, v19, vcc_lo
	v_cmp_eq_u32_e32 vcc_lo, 0, v14
	v_add_nc_u32_e32 v14, 0xffffff91, v14
	v_cndmask_b32_e64 v19, v19, 0x6f, vcc_lo
	v_cndmask_b32_e32 v15, v20, v15, vcc_lo
	v_cndmask_b32_e64 v14, v14, 0xffffff92, vcc_lo
	v_lshl_add_u32 v20, 0x200000, v19, -1
	v_lshrrev_b32_e32 v21, v19, v15
	v_lshlrev_b32_e64 v24, v19, 0x100000
	v_add_nc_u32_e32 v19, v19, v14
	v_and_b32_e32 v15, v20, v15
	v_bfe_u32 v23, v21, 21, 1
	v_cmp_eq_u32_e64 s16, v15, v24
	v_add_nc_u32_e32 v20, -1, v23
	v_cndmask_b32_e64 v15, 0, v20, s16
	v_lshrrev_b32_e32 v20, 23, v21
	s_mov_b32 s16, exec_lo
	v_add_nc_u32_e32 v15, v15, v21
	v_xor_b32_e32 v20, 1, v20
	v_and_b32_e32 v14, 0x1fffff, v15
	v_add_nc_u32_e32 v15, v14, v21
                                        ; implicit-def: $vgpr14
	v_cmpx_ne_u32_e64 v19, v20
	s_xor_b32 s16, exec_lo, s16
; %bb.16017:                            ;   in Loop: Header=BB6_15804 Depth=3
	v_cmp_lt_u32_e32 vcc_lo, 0xffffff, v15
	v_sub_nc_u32_e32 v14, v19, v20
	v_cndmask_b32_e64 v19, 0, 1, vcc_lo
	v_add_co_ci_u32_e64 v14, null, 0, v14, vcc_lo
	v_lshrrev_b32_e32 v15, v19, v15
; %bb.16018:                            ;   in Loop: Header=BB6_15804 Depth=3
	s_andn2_saveexec_b32 s16, s16
; %bb.16019:                            ;   in Loop: Header=BB6_15804 Depth=3
	v_bfe_u32 v14, v15, 23, 1
; %bb.16020:                            ;   in Loop: Header=BB6_15804 Depth=3
	s_or_b32 exec_lo, exec_lo, s16
	v_lshrrev_b32_e32 v15, 21, v15
	v_cmp_gt_i32_e32 vcc_lo, 32, v14
	v_min_i32_e32 v19, 31, v14
	v_and_b32_sdwa v7, v7, v117 dst_sel:DWORD dst_unused:UNUSED_PAD src0_sel:BYTE_3 src1_sel:DWORD
	v_cndmask_b32_e32 v15, 3, v15, vcc_lo
	v_lshlrev_b32_e32 v19, 2, v19
	v_and_b32_e32 v20, 3, v15
	v_or_b32_e32 v14, v14, v15
	v_or3_b32 v7, v19, v7, v20
	v_cmp_ne_u32_e32 vcc_lo, 0, v14
	v_cndmask_b32_e32 v82, 0, v7, vcc_lo
.LBB6_16021:                            ;   in Loop: Header=BB6_15804 Depth=3
	s_or_b32 exec_lo, exec_lo, s23
.LBB6_16022:                            ;   in Loop: Header=BB6_15804 Depth=3
	s_or_b32 exec_lo, exec_lo, s22
	flat_load_ubyte v7, v[8:9] offset:480 slc
	s_mov_b32 s16, 0
	s_mov_b32 s22, exec_lo
	s_waitcnt vmcnt(0) lgkmcnt(0)
	v_cmpx_lt_i16_e32 0x7f, v7
	s_xor_b32 s22, exec_lo, s22
	s_cbranch_execz .LBB6_16928
; %bb.16023:                            ;   in Loop: Header=BB6_15804 Depth=3
	s_mov_b32 s16, -1
	s_mov_b32 s23, exec_lo
	v_cmpx_eq_u16_e32 0x80, v7
; %bb.16024:                            ;   in Loop: Header=BB6_15804 Depth=3
	s_xor_b32 s16, exec_lo, -1
; %bb.16025:                            ;   in Loop: Header=BB6_15804 Depth=3
	s_or_b32 exec_lo, exec_lo, s23
	s_and_b32 s16, s16, exec_lo
	s_or_saveexec_b32 s22, s22
	v_mov_b32_e32 v14, 0x7f800001
	s_xor_b32 exec_lo, exec_lo, s22
	s_cbranch_execnz .LBB6_16929
.LBB6_16026:                            ;   in Loop: Header=BB6_15804 Depth=3
	s_or_b32 exec_lo, exec_lo, s22
	s_and_saveexec_b32 s22, s16
	s_cbranch_execz .LBB6_16028
.LBB6_16027:                            ;   in Loop: Header=BB6_15804 Depth=3
	v_and_b32_e32 v14, 0xffff, v7
	v_lshlrev_b32_e32 v7, 24, v7
	v_and_b32_e32 v15, 3, v14
	v_bfe_u32 v21, v14, 2, 5
	v_and_b32_e32 v7, 0x80000000, v7
	v_ffbh_u32_e32 v19, v15
	v_cmp_eq_u32_e32 vcc_lo, 0, v21
	v_min_u32_e32 v19, 32, v19
	v_subrev_nc_u32_e32 v20, 29, v19
	v_sub_nc_u32_e32 v19, 30, v19
	v_lshlrev_b32_e32 v14, v20, v14
	v_cndmask_b32_e32 v19, v21, v19, vcc_lo
	v_and_b32_e32 v14, 3, v14
	v_cndmask_b32_e32 v14, v15, v14, vcc_lo
	v_lshl_add_u32 v15, v19, 23, 0x37800000
	v_lshlrev_b32_e32 v14, 21, v14
	v_or3_b32 v14, v7, v15, v14
.LBB6_16028:                            ;   in Loop: Header=BB6_15804 Depth=3
	s_or_b32 exec_lo, exec_lo, s22
	v_mul_f32_e32 v7, v6, v14
	v_mov_b32_e32 v81, 0x80
	s_mov_b32 s22, exec_lo
	v_and_b32_e32 v14, 0x7f800000, v7
	v_cmpx_ne_u32_e32 0x7f800000, v14
	s_cbranch_execz .LBB6_16036
; %bb.16029:                            ;   in Loop: Header=BB6_15804 Depth=3
	v_mov_b32_e32 v81, 0
	s_mov_b32 s23, exec_lo
	v_cmpx_ne_u32_e32 0, v7
	s_cbranch_execz .LBB6_16035
; %bb.16030:                            ;   in Loop: Header=BB6_15804 Depth=3
	v_bfe_u32 v14, v7, 23, 8
	v_and_b32_e32 v15, 0x7fffff, v7
	v_sub_nc_u32_e32 v19, 0x70, v14
	v_cmp_gt_u32_e32 vcc_lo, 0x71, v14
	v_or_b32_e32 v20, 0x800000, v15
	v_cndmask_b32_e32 v19, 0, v19, vcc_lo
	v_cmp_eq_u32_e32 vcc_lo, 0, v14
	v_add_nc_u32_e32 v14, 0xffffff91, v14
	v_cndmask_b32_e64 v19, v19, 0x6f, vcc_lo
	v_cndmask_b32_e32 v15, v20, v15, vcc_lo
	v_cndmask_b32_e64 v14, v14, 0xffffff92, vcc_lo
	v_lshl_add_u32 v20, 0x200000, v19, -1
	v_lshrrev_b32_e32 v21, v19, v15
	v_lshlrev_b32_e64 v24, v19, 0x100000
	v_add_nc_u32_e32 v19, v19, v14
	v_and_b32_e32 v15, v20, v15
	v_bfe_u32 v23, v21, 21, 1
	v_cmp_eq_u32_e64 s16, v15, v24
	v_add_nc_u32_e32 v20, -1, v23
	v_cndmask_b32_e64 v15, 0, v20, s16
	v_lshrrev_b32_e32 v20, 23, v21
	s_mov_b32 s16, exec_lo
	v_add_nc_u32_e32 v15, v15, v21
	v_xor_b32_e32 v20, 1, v20
	v_and_b32_e32 v14, 0x1fffff, v15
	v_add_nc_u32_e32 v15, v14, v21
                                        ; implicit-def: $vgpr14
	v_cmpx_ne_u32_e64 v19, v20
	s_xor_b32 s16, exec_lo, s16
; %bb.16031:                            ;   in Loop: Header=BB6_15804 Depth=3
	v_cmp_lt_u32_e32 vcc_lo, 0xffffff, v15
	v_sub_nc_u32_e32 v14, v19, v20
	v_cndmask_b32_e64 v19, 0, 1, vcc_lo
	v_add_co_ci_u32_e64 v14, null, 0, v14, vcc_lo
	v_lshrrev_b32_e32 v15, v19, v15
; %bb.16032:                            ;   in Loop: Header=BB6_15804 Depth=3
	s_andn2_saveexec_b32 s16, s16
; %bb.16033:                            ;   in Loop: Header=BB6_15804 Depth=3
	v_bfe_u32 v14, v15, 23, 1
; %bb.16034:                            ;   in Loop: Header=BB6_15804 Depth=3
	s_or_b32 exec_lo, exec_lo, s16
	v_lshrrev_b32_e32 v15, 21, v15
	v_cmp_gt_i32_e32 vcc_lo, 32, v14
	v_min_i32_e32 v19, 31, v14
	v_and_b32_sdwa v7, v7, v117 dst_sel:DWORD dst_unused:UNUSED_PAD src0_sel:BYTE_3 src1_sel:DWORD
	v_cndmask_b32_e32 v15, 3, v15, vcc_lo
	v_lshlrev_b32_e32 v19, 2, v19
	v_and_b32_e32 v20, 3, v15
	v_or_b32_e32 v14, v14, v15
	v_or3_b32 v7, v19, v7, v20
	v_cmp_ne_u32_e32 vcc_lo, 0, v14
	v_cndmask_b32_e32 v81, 0, v7, vcc_lo
.LBB6_16035:                            ;   in Loop: Header=BB6_15804 Depth=3
	s_or_b32 exec_lo, exec_lo, s23
.LBB6_16036:                            ;   in Loop: Header=BB6_15804 Depth=3
	s_or_b32 exec_lo, exec_lo, s22
	flat_load_ubyte v7, v[8:9] offset:512 slc
	s_mov_b32 s16, 0
	s_mov_b32 s22, exec_lo
	s_waitcnt vmcnt(0) lgkmcnt(0)
	v_cmpx_lt_i16_e32 0x7f, v7
	s_xor_b32 s22, exec_lo, s22
	s_cbranch_execz .LBB6_16930
; %bb.16037:                            ;   in Loop: Header=BB6_15804 Depth=3
	s_mov_b32 s16, -1
	s_mov_b32 s23, exec_lo
	v_cmpx_eq_u16_e32 0x80, v7
; %bb.16038:                            ;   in Loop: Header=BB6_15804 Depth=3
	s_xor_b32 s16, exec_lo, -1
; %bb.16039:                            ;   in Loop: Header=BB6_15804 Depth=3
	s_or_b32 exec_lo, exec_lo, s23
	s_and_b32 s16, s16, exec_lo
	s_or_saveexec_b32 s22, s22
	v_mov_b32_e32 v14, 0x7f800001
	s_xor_b32 exec_lo, exec_lo, s22
	s_cbranch_execnz .LBB6_16931
.LBB6_16040:                            ;   in Loop: Header=BB6_15804 Depth=3
	s_or_b32 exec_lo, exec_lo, s22
	s_and_saveexec_b32 s22, s16
	s_cbranch_execz .LBB6_16042
.LBB6_16041:                            ;   in Loop: Header=BB6_15804 Depth=3
	v_and_b32_e32 v14, 0xffff, v7
	v_lshlrev_b32_e32 v7, 24, v7
	v_and_b32_e32 v15, 3, v14
	v_bfe_u32 v21, v14, 2, 5
	v_and_b32_e32 v7, 0x80000000, v7
	v_ffbh_u32_e32 v19, v15
	v_cmp_eq_u32_e32 vcc_lo, 0, v21
	v_min_u32_e32 v19, 32, v19
	v_subrev_nc_u32_e32 v20, 29, v19
	v_sub_nc_u32_e32 v19, 30, v19
	v_lshlrev_b32_e32 v14, v20, v14
	v_cndmask_b32_e32 v19, v21, v19, vcc_lo
	v_and_b32_e32 v14, 3, v14
	v_cndmask_b32_e32 v14, v15, v14, vcc_lo
	v_lshl_add_u32 v15, v19, 23, 0x37800000
	v_lshlrev_b32_e32 v14, 21, v14
	v_or3_b32 v14, v7, v15, v14
.LBB6_16042:                            ;   in Loop: Header=BB6_15804 Depth=3
	s_or_b32 exec_lo, exec_lo, s22
	v_mul_f32_e32 v7, v6, v14
	v_mov_b32_e32 v69, 0x80
	s_mov_b32 s22, exec_lo
	v_and_b32_e32 v14, 0x7f800000, v7
	v_cmpx_ne_u32_e32 0x7f800000, v14
	s_cbranch_execz .LBB6_16050
; %bb.16043:                            ;   in Loop: Header=BB6_15804 Depth=3
	v_mov_b32_e32 v69, 0
	s_mov_b32 s23, exec_lo
	v_cmpx_ne_u32_e32 0, v7
	s_cbranch_execz .LBB6_16049
; %bb.16044:                            ;   in Loop: Header=BB6_15804 Depth=3
	v_bfe_u32 v14, v7, 23, 8
	v_and_b32_e32 v15, 0x7fffff, v7
	v_sub_nc_u32_e32 v19, 0x70, v14
	v_cmp_gt_u32_e32 vcc_lo, 0x71, v14
	v_or_b32_e32 v20, 0x800000, v15
	v_cndmask_b32_e32 v19, 0, v19, vcc_lo
	v_cmp_eq_u32_e32 vcc_lo, 0, v14
	v_add_nc_u32_e32 v14, 0xffffff91, v14
	v_cndmask_b32_e64 v19, v19, 0x6f, vcc_lo
	v_cndmask_b32_e32 v15, v20, v15, vcc_lo
	v_cndmask_b32_e64 v14, v14, 0xffffff92, vcc_lo
	v_lshl_add_u32 v20, 0x200000, v19, -1
	v_lshrrev_b32_e32 v21, v19, v15
	v_lshlrev_b32_e64 v24, v19, 0x100000
	v_add_nc_u32_e32 v19, v19, v14
	v_and_b32_e32 v15, v20, v15
	v_bfe_u32 v23, v21, 21, 1
	v_cmp_eq_u32_e64 s16, v15, v24
	v_add_nc_u32_e32 v20, -1, v23
	v_cndmask_b32_e64 v15, 0, v20, s16
	v_lshrrev_b32_e32 v20, 23, v21
	s_mov_b32 s16, exec_lo
	v_add_nc_u32_e32 v15, v15, v21
	v_xor_b32_e32 v20, 1, v20
	v_and_b32_e32 v14, 0x1fffff, v15
	v_add_nc_u32_e32 v15, v14, v21
                                        ; implicit-def: $vgpr14
	v_cmpx_ne_u32_e64 v19, v20
	s_xor_b32 s16, exec_lo, s16
; %bb.16045:                            ;   in Loop: Header=BB6_15804 Depth=3
	v_cmp_lt_u32_e32 vcc_lo, 0xffffff, v15
	v_sub_nc_u32_e32 v14, v19, v20
	v_cndmask_b32_e64 v19, 0, 1, vcc_lo
	v_add_co_ci_u32_e64 v14, null, 0, v14, vcc_lo
	v_lshrrev_b32_e32 v15, v19, v15
; %bb.16046:                            ;   in Loop: Header=BB6_15804 Depth=3
	s_andn2_saveexec_b32 s16, s16
; %bb.16047:                            ;   in Loop: Header=BB6_15804 Depth=3
	v_bfe_u32 v14, v15, 23, 1
; %bb.16048:                            ;   in Loop: Header=BB6_15804 Depth=3
	s_or_b32 exec_lo, exec_lo, s16
	v_lshrrev_b32_e32 v15, 21, v15
	v_cmp_gt_i32_e32 vcc_lo, 32, v14
	v_min_i32_e32 v19, 31, v14
	v_and_b32_sdwa v7, v7, v117 dst_sel:DWORD dst_unused:UNUSED_PAD src0_sel:BYTE_3 src1_sel:DWORD
	v_cndmask_b32_e32 v15, 3, v15, vcc_lo
	v_lshlrev_b32_e32 v19, 2, v19
	v_and_b32_e32 v20, 3, v15
	v_or_b32_e32 v14, v14, v15
	v_or3_b32 v7, v19, v7, v20
	v_cmp_ne_u32_e32 vcc_lo, 0, v14
	v_cndmask_b32_e32 v69, 0, v7, vcc_lo
.LBB6_16049:                            ;   in Loop: Header=BB6_15804 Depth=3
	s_or_b32 exec_lo, exec_lo, s23
.LBB6_16050:                            ;   in Loop: Header=BB6_15804 Depth=3
	s_or_b32 exec_lo, exec_lo, s22
	flat_load_ubyte v7, v[8:9] offset:544 slc
	s_mov_b32 s16, 0
	s_mov_b32 s22, exec_lo
	s_waitcnt vmcnt(0) lgkmcnt(0)
	v_cmpx_lt_i16_e32 0x7f, v7
	s_xor_b32 s22, exec_lo, s22
	s_cbranch_execz .LBB6_16932
; %bb.16051:                            ;   in Loop: Header=BB6_15804 Depth=3
	s_mov_b32 s16, -1
	s_mov_b32 s23, exec_lo
	v_cmpx_eq_u16_e32 0x80, v7
; %bb.16052:                            ;   in Loop: Header=BB6_15804 Depth=3
	s_xor_b32 s16, exec_lo, -1
; %bb.16053:                            ;   in Loop: Header=BB6_15804 Depth=3
	s_or_b32 exec_lo, exec_lo, s23
	s_and_b32 s16, s16, exec_lo
	s_or_saveexec_b32 s22, s22
	v_mov_b32_e32 v14, 0x7f800001
	s_xor_b32 exec_lo, exec_lo, s22
	s_cbranch_execnz .LBB6_16933
.LBB6_16054:                            ;   in Loop: Header=BB6_15804 Depth=3
	s_or_b32 exec_lo, exec_lo, s22
	s_and_saveexec_b32 s22, s16
	s_cbranch_execz .LBB6_16056
.LBB6_16055:                            ;   in Loop: Header=BB6_15804 Depth=3
	v_and_b32_e32 v14, 0xffff, v7
	v_lshlrev_b32_e32 v7, 24, v7
	v_and_b32_e32 v15, 3, v14
	v_bfe_u32 v21, v14, 2, 5
	v_and_b32_e32 v7, 0x80000000, v7
	v_ffbh_u32_e32 v19, v15
	v_cmp_eq_u32_e32 vcc_lo, 0, v21
	v_min_u32_e32 v19, 32, v19
	v_subrev_nc_u32_e32 v20, 29, v19
	v_sub_nc_u32_e32 v19, 30, v19
	v_lshlrev_b32_e32 v14, v20, v14
	v_cndmask_b32_e32 v19, v21, v19, vcc_lo
	v_and_b32_e32 v14, 3, v14
	v_cndmask_b32_e32 v14, v15, v14, vcc_lo
	v_lshl_add_u32 v15, v19, 23, 0x37800000
	v_lshlrev_b32_e32 v14, 21, v14
	v_or3_b32 v14, v7, v15, v14
.LBB6_16056:                            ;   in Loop: Header=BB6_15804 Depth=3
	s_or_b32 exec_lo, exec_lo, s22
	v_mul_f32_e32 v7, v6, v14
	v_mov_b32_e32 v67, 0x80
	s_mov_b32 s22, exec_lo
	v_and_b32_e32 v14, 0x7f800000, v7
	v_cmpx_ne_u32_e32 0x7f800000, v14
	s_cbranch_execz .LBB6_16064
; %bb.16057:                            ;   in Loop: Header=BB6_15804 Depth=3
	v_mov_b32_e32 v67, 0
	s_mov_b32 s23, exec_lo
	v_cmpx_ne_u32_e32 0, v7
	s_cbranch_execz .LBB6_16063
; %bb.16058:                            ;   in Loop: Header=BB6_15804 Depth=3
	v_bfe_u32 v14, v7, 23, 8
	v_and_b32_e32 v15, 0x7fffff, v7
	v_sub_nc_u32_e32 v19, 0x70, v14
	v_cmp_gt_u32_e32 vcc_lo, 0x71, v14
	v_or_b32_e32 v20, 0x800000, v15
	v_cndmask_b32_e32 v19, 0, v19, vcc_lo
	v_cmp_eq_u32_e32 vcc_lo, 0, v14
	v_add_nc_u32_e32 v14, 0xffffff91, v14
	v_cndmask_b32_e64 v19, v19, 0x6f, vcc_lo
	v_cndmask_b32_e32 v15, v20, v15, vcc_lo
	v_cndmask_b32_e64 v14, v14, 0xffffff92, vcc_lo
	v_lshl_add_u32 v20, 0x200000, v19, -1
	v_lshrrev_b32_e32 v21, v19, v15
	v_lshlrev_b32_e64 v24, v19, 0x100000
	v_add_nc_u32_e32 v19, v19, v14
	v_and_b32_e32 v15, v20, v15
	v_bfe_u32 v23, v21, 21, 1
	v_cmp_eq_u32_e64 s16, v15, v24
	v_add_nc_u32_e32 v20, -1, v23
	v_cndmask_b32_e64 v15, 0, v20, s16
	v_lshrrev_b32_e32 v20, 23, v21
	s_mov_b32 s16, exec_lo
	v_add_nc_u32_e32 v15, v15, v21
	v_xor_b32_e32 v20, 1, v20
	v_and_b32_e32 v14, 0x1fffff, v15
	v_add_nc_u32_e32 v15, v14, v21
                                        ; implicit-def: $vgpr14
	v_cmpx_ne_u32_e64 v19, v20
	s_xor_b32 s16, exec_lo, s16
; %bb.16059:                            ;   in Loop: Header=BB6_15804 Depth=3
	v_cmp_lt_u32_e32 vcc_lo, 0xffffff, v15
	v_sub_nc_u32_e32 v14, v19, v20
	v_cndmask_b32_e64 v19, 0, 1, vcc_lo
	v_add_co_ci_u32_e64 v14, null, 0, v14, vcc_lo
	v_lshrrev_b32_e32 v15, v19, v15
; %bb.16060:                            ;   in Loop: Header=BB6_15804 Depth=3
	s_andn2_saveexec_b32 s16, s16
; %bb.16061:                            ;   in Loop: Header=BB6_15804 Depth=3
	v_bfe_u32 v14, v15, 23, 1
; %bb.16062:                            ;   in Loop: Header=BB6_15804 Depth=3
	s_or_b32 exec_lo, exec_lo, s16
	v_lshrrev_b32_e32 v15, 21, v15
	v_cmp_gt_i32_e32 vcc_lo, 32, v14
	v_min_i32_e32 v19, 31, v14
	v_and_b32_sdwa v7, v7, v117 dst_sel:DWORD dst_unused:UNUSED_PAD src0_sel:BYTE_3 src1_sel:DWORD
	v_cndmask_b32_e32 v15, 3, v15, vcc_lo
	v_lshlrev_b32_e32 v19, 2, v19
	v_and_b32_e32 v20, 3, v15
	v_or_b32_e32 v14, v14, v15
	v_or3_b32 v7, v19, v7, v20
	v_cmp_ne_u32_e32 vcc_lo, 0, v14
	v_cndmask_b32_e32 v67, 0, v7, vcc_lo
.LBB6_16063:                            ;   in Loop: Header=BB6_15804 Depth=3
	s_or_b32 exec_lo, exec_lo, s23
.LBB6_16064:                            ;   in Loop: Header=BB6_15804 Depth=3
	s_or_b32 exec_lo, exec_lo, s22
	flat_load_ubyte v7, v[8:9] offset:576 slc
	s_mov_b32 s16, 0
	s_mov_b32 s22, exec_lo
	s_waitcnt vmcnt(0) lgkmcnt(0)
	v_cmpx_lt_i16_e32 0x7f, v7
	s_xor_b32 s22, exec_lo, s22
	s_cbranch_execz .LBB6_16934
; %bb.16065:                            ;   in Loop: Header=BB6_15804 Depth=3
	s_mov_b32 s16, -1
	s_mov_b32 s23, exec_lo
	v_cmpx_eq_u16_e32 0x80, v7
; %bb.16066:                            ;   in Loop: Header=BB6_15804 Depth=3
	s_xor_b32 s16, exec_lo, -1
; %bb.16067:                            ;   in Loop: Header=BB6_15804 Depth=3
	s_or_b32 exec_lo, exec_lo, s23
	s_and_b32 s16, s16, exec_lo
	s_or_saveexec_b32 s22, s22
	v_mov_b32_e32 v14, 0x7f800001
	s_xor_b32 exec_lo, exec_lo, s22
	s_cbranch_execnz .LBB6_16935
.LBB6_16068:                            ;   in Loop: Header=BB6_15804 Depth=3
	s_or_b32 exec_lo, exec_lo, s22
	s_and_saveexec_b32 s22, s16
	s_cbranch_execz .LBB6_16070
.LBB6_16069:                            ;   in Loop: Header=BB6_15804 Depth=3
	v_and_b32_e32 v14, 0xffff, v7
	v_lshlrev_b32_e32 v7, 24, v7
	v_and_b32_e32 v15, 3, v14
	v_bfe_u32 v21, v14, 2, 5
	v_and_b32_e32 v7, 0x80000000, v7
	v_ffbh_u32_e32 v19, v15
	v_cmp_eq_u32_e32 vcc_lo, 0, v21
	v_min_u32_e32 v19, 32, v19
	v_subrev_nc_u32_e32 v20, 29, v19
	v_sub_nc_u32_e32 v19, 30, v19
	v_lshlrev_b32_e32 v14, v20, v14
	v_cndmask_b32_e32 v19, v21, v19, vcc_lo
	v_and_b32_e32 v14, 3, v14
	v_cndmask_b32_e32 v14, v15, v14, vcc_lo
	v_lshl_add_u32 v15, v19, 23, 0x37800000
	v_lshlrev_b32_e32 v14, 21, v14
	v_or3_b32 v14, v7, v15, v14
.LBB6_16070:                            ;   in Loop: Header=BB6_15804 Depth=3
	s_or_b32 exec_lo, exec_lo, s22
	v_mul_f32_e32 v7, v6, v14
	v_mov_b32_e32 v55, 0x80
	s_mov_b32 s22, exec_lo
	v_and_b32_e32 v14, 0x7f800000, v7
	v_cmpx_ne_u32_e32 0x7f800000, v14
	s_cbranch_execz .LBB6_16078
; %bb.16071:                            ;   in Loop: Header=BB6_15804 Depth=3
	v_mov_b32_e32 v55, 0
	s_mov_b32 s23, exec_lo
	v_cmpx_ne_u32_e32 0, v7
	s_cbranch_execz .LBB6_16077
; %bb.16072:                            ;   in Loop: Header=BB6_15804 Depth=3
	v_bfe_u32 v14, v7, 23, 8
	v_and_b32_e32 v15, 0x7fffff, v7
	v_sub_nc_u32_e32 v19, 0x70, v14
	v_cmp_gt_u32_e32 vcc_lo, 0x71, v14
	v_or_b32_e32 v20, 0x800000, v15
	v_cndmask_b32_e32 v19, 0, v19, vcc_lo
	v_cmp_eq_u32_e32 vcc_lo, 0, v14
	v_add_nc_u32_e32 v14, 0xffffff91, v14
	v_cndmask_b32_e64 v19, v19, 0x6f, vcc_lo
	v_cndmask_b32_e32 v15, v20, v15, vcc_lo
	v_cndmask_b32_e64 v14, v14, 0xffffff92, vcc_lo
	v_lshl_add_u32 v20, 0x200000, v19, -1
	v_lshrrev_b32_e32 v21, v19, v15
	v_lshlrev_b32_e64 v24, v19, 0x100000
	v_add_nc_u32_e32 v19, v19, v14
	v_and_b32_e32 v15, v20, v15
	v_bfe_u32 v23, v21, 21, 1
	v_cmp_eq_u32_e64 s16, v15, v24
	v_add_nc_u32_e32 v20, -1, v23
	v_cndmask_b32_e64 v15, 0, v20, s16
	v_lshrrev_b32_e32 v20, 23, v21
	s_mov_b32 s16, exec_lo
	v_add_nc_u32_e32 v15, v15, v21
	v_xor_b32_e32 v20, 1, v20
	v_and_b32_e32 v14, 0x1fffff, v15
	v_add_nc_u32_e32 v15, v14, v21
                                        ; implicit-def: $vgpr14
	v_cmpx_ne_u32_e64 v19, v20
	s_xor_b32 s16, exec_lo, s16
; %bb.16073:                            ;   in Loop: Header=BB6_15804 Depth=3
	v_cmp_lt_u32_e32 vcc_lo, 0xffffff, v15
	v_sub_nc_u32_e32 v14, v19, v20
	v_cndmask_b32_e64 v19, 0, 1, vcc_lo
	v_add_co_ci_u32_e64 v14, null, 0, v14, vcc_lo
	v_lshrrev_b32_e32 v15, v19, v15
; %bb.16074:                            ;   in Loop: Header=BB6_15804 Depth=3
	s_andn2_saveexec_b32 s16, s16
; %bb.16075:                            ;   in Loop: Header=BB6_15804 Depth=3
	v_bfe_u32 v14, v15, 23, 1
; %bb.16076:                            ;   in Loop: Header=BB6_15804 Depth=3
	s_or_b32 exec_lo, exec_lo, s16
	v_lshrrev_b32_e32 v15, 21, v15
	v_cmp_gt_i32_e32 vcc_lo, 32, v14
	v_min_i32_e32 v19, 31, v14
	v_and_b32_sdwa v7, v7, v117 dst_sel:DWORD dst_unused:UNUSED_PAD src0_sel:BYTE_3 src1_sel:DWORD
	v_cndmask_b32_e32 v15, 3, v15, vcc_lo
	v_lshlrev_b32_e32 v19, 2, v19
	v_and_b32_e32 v20, 3, v15
	v_or_b32_e32 v14, v14, v15
	v_or3_b32 v7, v19, v7, v20
	v_cmp_ne_u32_e32 vcc_lo, 0, v14
	v_cndmask_b32_e32 v55, 0, v7, vcc_lo
.LBB6_16077:                            ;   in Loop: Header=BB6_15804 Depth=3
	s_or_b32 exec_lo, exec_lo, s23
.LBB6_16078:                            ;   in Loop: Header=BB6_15804 Depth=3
	s_or_b32 exec_lo, exec_lo, s22
	flat_load_ubyte v7, v[8:9] offset:608 slc
	s_mov_b32 s16, 0
	s_mov_b32 s22, exec_lo
	s_waitcnt vmcnt(0) lgkmcnt(0)
	v_cmpx_lt_i16_e32 0x7f, v7
	s_xor_b32 s22, exec_lo, s22
	s_cbranch_execz .LBB6_16936
; %bb.16079:                            ;   in Loop: Header=BB6_15804 Depth=3
	s_mov_b32 s16, -1
	s_mov_b32 s23, exec_lo
	v_cmpx_eq_u16_e32 0x80, v7
; %bb.16080:                            ;   in Loop: Header=BB6_15804 Depth=3
	s_xor_b32 s16, exec_lo, -1
; %bb.16081:                            ;   in Loop: Header=BB6_15804 Depth=3
	s_or_b32 exec_lo, exec_lo, s23
	s_and_b32 s16, s16, exec_lo
	s_or_saveexec_b32 s22, s22
	v_mov_b32_e32 v14, 0x7f800001
	s_xor_b32 exec_lo, exec_lo, s22
	s_cbranch_execnz .LBB6_16937
.LBB6_16082:                            ;   in Loop: Header=BB6_15804 Depth=3
	s_or_b32 exec_lo, exec_lo, s22
	s_and_saveexec_b32 s22, s16
	s_cbranch_execz .LBB6_16084
.LBB6_16083:                            ;   in Loop: Header=BB6_15804 Depth=3
	v_and_b32_e32 v14, 0xffff, v7
	v_lshlrev_b32_e32 v7, 24, v7
	v_and_b32_e32 v15, 3, v14
	v_bfe_u32 v21, v14, 2, 5
	v_and_b32_e32 v7, 0x80000000, v7
	v_ffbh_u32_e32 v19, v15
	v_cmp_eq_u32_e32 vcc_lo, 0, v21
	v_min_u32_e32 v19, 32, v19
	v_subrev_nc_u32_e32 v20, 29, v19
	v_sub_nc_u32_e32 v19, 30, v19
	v_lshlrev_b32_e32 v14, v20, v14
	v_cndmask_b32_e32 v19, v21, v19, vcc_lo
	v_and_b32_e32 v14, 3, v14
	v_cndmask_b32_e32 v14, v15, v14, vcc_lo
	v_lshl_add_u32 v15, v19, 23, 0x37800000
	v_lshlrev_b32_e32 v14, 21, v14
	v_or3_b32 v14, v7, v15, v14
.LBB6_16084:                            ;   in Loop: Header=BB6_15804 Depth=3
	s_or_b32 exec_lo, exec_lo, s22
	v_mul_f32_e32 v7, v6, v14
	v_mov_b32_e32 v53, 0x80
	s_mov_b32 s22, exec_lo
	v_and_b32_e32 v14, 0x7f800000, v7
	v_cmpx_ne_u32_e32 0x7f800000, v14
	s_cbranch_execz .LBB6_16092
; %bb.16085:                            ;   in Loop: Header=BB6_15804 Depth=3
	v_mov_b32_e32 v53, 0
	s_mov_b32 s23, exec_lo
	v_cmpx_ne_u32_e32 0, v7
	s_cbranch_execz .LBB6_16091
; %bb.16086:                            ;   in Loop: Header=BB6_15804 Depth=3
	v_bfe_u32 v14, v7, 23, 8
	v_and_b32_e32 v15, 0x7fffff, v7
	v_sub_nc_u32_e32 v19, 0x70, v14
	v_cmp_gt_u32_e32 vcc_lo, 0x71, v14
	v_or_b32_e32 v20, 0x800000, v15
	v_cndmask_b32_e32 v19, 0, v19, vcc_lo
	v_cmp_eq_u32_e32 vcc_lo, 0, v14
	v_add_nc_u32_e32 v14, 0xffffff91, v14
	v_cndmask_b32_e64 v19, v19, 0x6f, vcc_lo
	v_cndmask_b32_e32 v15, v20, v15, vcc_lo
	v_cndmask_b32_e64 v14, v14, 0xffffff92, vcc_lo
	v_lshl_add_u32 v20, 0x200000, v19, -1
	v_lshrrev_b32_e32 v21, v19, v15
	v_lshlrev_b32_e64 v24, v19, 0x100000
	v_add_nc_u32_e32 v19, v19, v14
	v_and_b32_e32 v15, v20, v15
	v_bfe_u32 v23, v21, 21, 1
	v_cmp_eq_u32_e64 s16, v15, v24
	v_add_nc_u32_e32 v20, -1, v23
	v_cndmask_b32_e64 v15, 0, v20, s16
	v_lshrrev_b32_e32 v20, 23, v21
	s_mov_b32 s16, exec_lo
	v_add_nc_u32_e32 v15, v15, v21
	v_xor_b32_e32 v20, 1, v20
	v_and_b32_e32 v14, 0x1fffff, v15
	v_add_nc_u32_e32 v15, v14, v21
                                        ; implicit-def: $vgpr14
	v_cmpx_ne_u32_e64 v19, v20
	s_xor_b32 s16, exec_lo, s16
; %bb.16087:                            ;   in Loop: Header=BB6_15804 Depth=3
	v_cmp_lt_u32_e32 vcc_lo, 0xffffff, v15
	v_sub_nc_u32_e32 v14, v19, v20
	v_cndmask_b32_e64 v19, 0, 1, vcc_lo
	v_add_co_ci_u32_e64 v14, null, 0, v14, vcc_lo
	v_lshrrev_b32_e32 v15, v19, v15
; %bb.16088:                            ;   in Loop: Header=BB6_15804 Depth=3
	s_andn2_saveexec_b32 s16, s16
; %bb.16089:                            ;   in Loop: Header=BB6_15804 Depth=3
	v_bfe_u32 v14, v15, 23, 1
; %bb.16090:                            ;   in Loop: Header=BB6_15804 Depth=3
	s_or_b32 exec_lo, exec_lo, s16
	v_lshrrev_b32_e32 v15, 21, v15
	v_cmp_gt_i32_e32 vcc_lo, 32, v14
	v_min_i32_e32 v19, 31, v14
	v_and_b32_sdwa v7, v7, v117 dst_sel:DWORD dst_unused:UNUSED_PAD src0_sel:BYTE_3 src1_sel:DWORD
	v_cndmask_b32_e32 v15, 3, v15, vcc_lo
	v_lshlrev_b32_e32 v19, 2, v19
	v_and_b32_e32 v20, 3, v15
	v_or_b32_e32 v14, v14, v15
	v_or3_b32 v7, v19, v7, v20
	v_cmp_ne_u32_e32 vcc_lo, 0, v14
	v_cndmask_b32_e32 v53, 0, v7, vcc_lo
.LBB6_16091:                            ;   in Loop: Header=BB6_15804 Depth=3
	s_or_b32 exec_lo, exec_lo, s23
.LBB6_16092:                            ;   in Loop: Header=BB6_15804 Depth=3
	s_or_b32 exec_lo, exec_lo, s22
	flat_load_ubyte v7, v[8:9] offset:640 slc
	s_mov_b32 s16, 0
	s_mov_b32 s22, exec_lo
	s_waitcnt vmcnt(0) lgkmcnt(0)
	v_cmpx_lt_i16_e32 0x7f, v7
	s_xor_b32 s22, exec_lo, s22
	s_cbranch_execz .LBB6_16938
; %bb.16093:                            ;   in Loop: Header=BB6_15804 Depth=3
	s_mov_b32 s16, -1
	s_mov_b32 s23, exec_lo
	v_cmpx_eq_u16_e32 0x80, v7
; %bb.16094:                            ;   in Loop: Header=BB6_15804 Depth=3
	s_xor_b32 s16, exec_lo, -1
; %bb.16095:                            ;   in Loop: Header=BB6_15804 Depth=3
	s_or_b32 exec_lo, exec_lo, s23
	s_and_b32 s16, s16, exec_lo
	s_or_saveexec_b32 s22, s22
	v_mov_b32_e32 v14, 0x7f800001
	s_xor_b32 exec_lo, exec_lo, s22
	s_cbranch_execnz .LBB6_16939
.LBB6_16096:                            ;   in Loop: Header=BB6_15804 Depth=3
	s_or_b32 exec_lo, exec_lo, s22
	s_and_saveexec_b32 s22, s16
	s_cbranch_execz .LBB6_16098
.LBB6_16097:                            ;   in Loop: Header=BB6_15804 Depth=3
	v_and_b32_e32 v14, 0xffff, v7
	v_lshlrev_b32_e32 v7, 24, v7
	v_and_b32_e32 v15, 3, v14
	v_bfe_u32 v21, v14, 2, 5
	v_and_b32_e32 v7, 0x80000000, v7
	v_ffbh_u32_e32 v19, v15
	v_cmp_eq_u32_e32 vcc_lo, 0, v21
	v_min_u32_e32 v19, 32, v19
	v_subrev_nc_u32_e32 v20, 29, v19
	v_sub_nc_u32_e32 v19, 30, v19
	v_lshlrev_b32_e32 v14, v20, v14
	v_cndmask_b32_e32 v19, v21, v19, vcc_lo
	v_and_b32_e32 v14, 3, v14
	v_cndmask_b32_e32 v14, v15, v14, vcc_lo
	v_lshl_add_u32 v15, v19, 23, 0x37800000
	v_lshlrev_b32_e32 v14, 21, v14
	v_or3_b32 v14, v7, v15, v14
.LBB6_16098:                            ;   in Loop: Header=BB6_15804 Depth=3
	s_or_b32 exec_lo, exec_lo, s22
	v_mul_f32_e32 v7, v6, v14
	v_mov_b32_e32 v51, 0x80
	s_mov_b32 s22, exec_lo
	v_and_b32_e32 v14, 0x7f800000, v7
	v_cmpx_ne_u32_e32 0x7f800000, v14
	s_cbranch_execz .LBB6_16106
; %bb.16099:                            ;   in Loop: Header=BB6_15804 Depth=3
	v_mov_b32_e32 v51, 0
	s_mov_b32 s23, exec_lo
	v_cmpx_ne_u32_e32 0, v7
	s_cbranch_execz .LBB6_16105
; %bb.16100:                            ;   in Loop: Header=BB6_15804 Depth=3
	v_bfe_u32 v14, v7, 23, 8
	v_and_b32_e32 v15, 0x7fffff, v7
	v_sub_nc_u32_e32 v19, 0x70, v14
	v_cmp_gt_u32_e32 vcc_lo, 0x71, v14
	v_or_b32_e32 v20, 0x800000, v15
	v_cndmask_b32_e32 v19, 0, v19, vcc_lo
	v_cmp_eq_u32_e32 vcc_lo, 0, v14
	v_add_nc_u32_e32 v14, 0xffffff91, v14
	v_cndmask_b32_e64 v19, v19, 0x6f, vcc_lo
	v_cndmask_b32_e32 v15, v20, v15, vcc_lo
	v_cndmask_b32_e64 v14, v14, 0xffffff92, vcc_lo
	v_lshl_add_u32 v20, 0x200000, v19, -1
	v_lshrrev_b32_e32 v21, v19, v15
	v_lshlrev_b32_e64 v24, v19, 0x100000
	v_add_nc_u32_e32 v19, v19, v14
	v_and_b32_e32 v15, v20, v15
	v_bfe_u32 v23, v21, 21, 1
	v_cmp_eq_u32_e64 s16, v15, v24
	v_add_nc_u32_e32 v20, -1, v23
	v_cndmask_b32_e64 v15, 0, v20, s16
	v_lshrrev_b32_e32 v20, 23, v21
	s_mov_b32 s16, exec_lo
	v_add_nc_u32_e32 v15, v15, v21
	v_xor_b32_e32 v20, 1, v20
	v_and_b32_e32 v14, 0x1fffff, v15
	v_add_nc_u32_e32 v15, v14, v21
                                        ; implicit-def: $vgpr14
	v_cmpx_ne_u32_e64 v19, v20
	s_xor_b32 s16, exec_lo, s16
; %bb.16101:                            ;   in Loop: Header=BB6_15804 Depth=3
	v_cmp_lt_u32_e32 vcc_lo, 0xffffff, v15
	v_sub_nc_u32_e32 v14, v19, v20
	v_cndmask_b32_e64 v19, 0, 1, vcc_lo
	v_add_co_ci_u32_e64 v14, null, 0, v14, vcc_lo
	v_lshrrev_b32_e32 v15, v19, v15
; %bb.16102:                            ;   in Loop: Header=BB6_15804 Depth=3
	s_andn2_saveexec_b32 s16, s16
; %bb.16103:                            ;   in Loop: Header=BB6_15804 Depth=3
	v_bfe_u32 v14, v15, 23, 1
; %bb.16104:                            ;   in Loop: Header=BB6_15804 Depth=3
	s_or_b32 exec_lo, exec_lo, s16
	v_lshrrev_b32_e32 v15, 21, v15
	v_cmp_gt_i32_e32 vcc_lo, 32, v14
	v_min_i32_e32 v19, 31, v14
	v_and_b32_sdwa v7, v7, v117 dst_sel:DWORD dst_unused:UNUSED_PAD src0_sel:BYTE_3 src1_sel:DWORD
	v_cndmask_b32_e32 v15, 3, v15, vcc_lo
	v_lshlrev_b32_e32 v19, 2, v19
	v_and_b32_e32 v20, 3, v15
	v_or_b32_e32 v14, v14, v15
	v_or3_b32 v7, v19, v7, v20
	v_cmp_ne_u32_e32 vcc_lo, 0, v14
	v_cndmask_b32_e32 v51, 0, v7, vcc_lo
.LBB6_16105:                            ;   in Loop: Header=BB6_15804 Depth=3
	s_or_b32 exec_lo, exec_lo, s23
.LBB6_16106:                            ;   in Loop: Header=BB6_15804 Depth=3
	s_or_b32 exec_lo, exec_lo, s22
	flat_load_ubyte v7, v[8:9] offset:672 slc
	s_mov_b32 s16, 0
	s_mov_b32 s22, exec_lo
	s_waitcnt vmcnt(0) lgkmcnt(0)
	v_cmpx_lt_i16_e32 0x7f, v7
	s_xor_b32 s22, exec_lo, s22
	s_cbranch_execz .LBB6_16940
; %bb.16107:                            ;   in Loop: Header=BB6_15804 Depth=3
	s_mov_b32 s16, -1
	s_mov_b32 s23, exec_lo
	v_cmpx_eq_u16_e32 0x80, v7
; %bb.16108:                            ;   in Loop: Header=BB6_15804 Depth=3
	s_xor_b32 s16, exec_lo, -1
; %bb.16109:                            ;   in Loop: Header=BB6_15804 Depth=3
	s_or_b32 exec_lo, exec_lo, s23
	s_and_b32 s16, s16, exec_lo
	s_or_saveexec_b32 s22, s22
	v_mov_b32_e32 v14, 0x7f800001
	s_xor_b32 exec_lo, exec_lo, s22
	s_cbranch_execnz .LBB6_16941
.LBB6_16110:                            ;   in Loop: Header=BB6_15804 Depth=3
	s_or_b32 exec_lo, exec_lo, s22
	s_and_saveexec_b32 s22, s16
	s_cbranch_execz .LBB6_16112
.LBB6_16111:                            ;   in Loop: Header=BB6_15804 Depth=3
	v_and_b32_e32 v14, 0xffff, v7
	v_lshlrev_b32_e32 v7, 24, v7
	v_and_b32_e32 v15, 3, v14
	v_bfe_u32 v21, v14, 2, 5
	v_and_b32_e32 v7, 0x80000000, v7
	v_ffbh_u32_e32 v19, v15
	v_cmp_eq_u32_e32 vcc_lo, 0, v21
	v_min_u32_e32 v19, 32, v19
	v_subrev_nc_u32_e32 v20, 29, v19
	v_sub_nc_u32_e32 v19, 30, v19
	v_lshlrev_b32_e32 v14, v20, v14
	v_cndmask_b32_e32 v19, v21, v19, vcc_lo
	v_and_b32_e32 v14, 3, v14
	v_cndmask_b32_e32 v14, v15, v14, vcc_lo
	v_lshl_add_u32 v15, v19, 23, 0x37800000
	v_lshlrev_b32_e32 v14, 21, v14
	v_or3_b32 v14, v7, v15, v14
.LBB6_16112:                            ;   in Loop: Header=BB6_15804 Depth=3
	s_or_b32 exec_lo, exec_lo, s22
	v_mul_f32_e32 v7, v6, v14
	v_mov_b32_e32 v37, 0x80
	s_mov_b32 s22, exec_lo
	v_and_b32_e32 v14, 0x7f800000, v7
	v_cmpx_ne_u32_e32 0x7f800000, v14
	s_cbranch_execz .LBB6_16120
; %bb.16113:                            ;   in Loop: Header=BB6_15804 Depth=3
	v_mov_b32_e32 v37, 0
	s_mov_b32 s23, exec_lo
	v_cmpx_ne_u32_e32 0, v7
	s_cbranch_execz .LBB6_16119
; %bb.16114:                            ;   in Loop: Header=BB6_15804 Depth=3
	v_bfe_u32 v14, v7, 23, 8
	v_and_b32_e32 v15, 0x7fffff, v7
	v_sub_nc_u32_e32 v19, 0x70, v14
	v_cmp_gt_u32_e32 vcc_lo, 0x71, v14
	v_or_b32_e32 v20, 0x800000, v15
	v_cndmask_b32_e32 v19, 0, v19, vcc_lo
	v_cmp_eq_u32_e32 vcc_lo, 0, v14
	v_add_nc_u32_e32 v14, 0xffffff91, v14
	v_cndmask_b32_e64 v19, v19, 0x6f, vcc_lo
	v_cndmask_b32_e32 v15, v20, v15, vcc_lo
	v_cndmask_b32_e64 v14, v14, 0xffffff92, vcc_lo
	v_lshl_add_u32 v20, 0x200000, v19, -1
	v_lshrrev_b32_e32 v21, v19, v15
	v_lshlrev_b32_e64 v24, v19, 0x100000
	v_add_nc_u32_e32 v19, v19, v14
	v_and_b32_e32 v15, v20, v15
	v_bfe_u32 v23, v21, 21, 1
	v_cmp_eq_u32_e64 s16, v15, v24
	v_add_nc_u32_e32 v20, -1, v23
	v_cndmask_b32_e64 v15, 0, v20, s16
	v_lshrrev_b32_e32 v20, 23, v21
	s_mov_b32 s16, exec_lo
	v_add_nc_u32_e32 v15, v15, v21
	v_xor_b32_e32 v20, 1, v20
	v_and_b32_e32 v14, 0x1fffff, v15
	v_add_nc_u32_e32 v15, v14, v21
                                        ; implicit-def: $vgpr14
	v_cmpx_ne_u32_e64 v19, v20
	s_xor_b32 s16, exec_lo, s16
; %bb.16115:                            ;   in Loop: Header=BB6_15804 Depth=3
	v_cmp_lt_u32_e32 vcc_lo, 0xffffff, v15
	v_sub_nc_u32_e32 v14, v19, v20
	v_cndmask_b32_e64 v19, 0, 1, vcc_lo
	v_add_co_ci_u32_e64 v14, null, 0, v14, vcc_lo
	v_lshrrev_b32_e32 v15, v19, v15
; %bb.16116:                            ;   in Loop: Header=BB6_15804 Depth=3
	s_andn2_saveexec_b32 s16, s16
; %bb.16117:                            ;   in Loop: Header=BB6_15804 Depth=3
	v_bfe_u32 v14, v15, 23, 1
; %bb.16118:                            ;   in Loop: Header=BB6_15804 Depth=3
	s_or_b32 exec_lo, exec_lo, s16
	v_lshrrev_b32_e32 v15, 21, v15
	v_cmp_gt_i32_e32 vcc_lo, 32, v14
	v_min_i32_e32 v19, 31, v14
	v_and_b32_sdwa v7, v7, v117 dst_sel:DWORD dst_unused:UNUSED_PAD src0_sel:BYTE_3 src1_sel:DWORD
	v_cndmask_b32_e32 v15, 3, v15, vcc_lo
	v_lshlrev_b32_e32 v19, 2, v19
	v_and_b32_e32 v20, 3, v15
	v_or_b32_e32 v14, v14, v15
	v_or3_b32 v7, v19, v7, v20
	v_cmp_ne_u32_e32 vcc_lo, 0, v14
	v_cndmask_b32_e32 v37, 0, v7, vcc_lo
.LBB6_16119:                            ;   in Loop: Header=BB6_15804 Depth=3
	s_or_b32 exec_lo, exec_lo, s23
.LBB6_16120:                            ;   in Loop: Header=BB6_15804 Depth=3
	s_or_b32 exec_lo, exec_lo, s22
	flat_load_ubyte v7, v[8:9] offset:704 slc
	s_mov_b32 s16, 0
	s_mov_b32 s22, exec_lo
	s_waitcnt vmcnt(0) lgkmcnt(0)
	v_cmpx_lt_i16_e32 0x7f, v7
	s_xor_b32 s22, exec_lo, s22
	s_cbranch_execz .LBB6_16942
; %bb.16121:                            ;   in Loop: Header=BB6_15804 Depth=3
	s_mov_b32 s16, -1
	s_mov_b32 s23, exec_lo
	v_cmpx_eq_u16_e32 0x80, v7
; %bb.16122:                            ;   in Loop: Header=BB6_15804 Depth=3
	s_xor_b32 s16, exec_lo, -1
; %bb.16123:                            ;   in Loop: Header=BB6_15804 Depth=3
	s_or_b32 exec_lo, exec_lo, s23
	s_and_b32 s16, s16, exec_lo
	s_or_saveexec_b32 s22, s22
	v_mov_b32_e32 v14, 0x7f800001
	s_xor_b32 exec_lo, exec_lo, s22
	s_cbranch_execnz .LBB6_16943
.LBB6_16124:                            ;   in Loop: Header=BB6_15804 Depth=3
	s_or_b32 exec_lo, exec_lo, s22
	s_and_saveexec_b32 s22, s16
	s_cbranch_execz .LBB6_16126
.LBB6_16125:                            ;   in Loop: Header=BB6_15804 Depth=3
	v_and_b32_e32 v14, 0xffff, v7
	v_lshlrev_b32_e32 v7, 24, v7
	v_and_b32_e32 v15, 3, v14
	v_bfe_u32 v21, v14, 2, 5
	v_and_b32_e32 v7, 0x80000000, v7
	v_ffbh_u32_e32 v19, v15
	v_cmp_eq_u32_e32 vcc_lo, 0, v21
	v_min_u32_e32 v19, 32, v19
	v_subrev_nc_u32_e32 v20, 29, v19
	v_sub_nc_u32_e32 v19, 30, v19
	v_lshlrev_b32_e32 v14, v20, v14
	v_cndmask_b32_e32 v19, v21, v19, vcc_lo
	v_and_b32_e32 v14, 3, v14
	v_cndmask_b32_e32 v14, v15, v14, vcc_lo
	v_lshl_add_u32 v15, v19, 23, 0x37800000
	v_lshlrev_b32_e32 v14, 21, v14
	v_or3_b32 v14, v7, v15, v14
.LBB6_16126:                            ;   in Loop: Header=BB6_15804 Depth=3
	s_or_b32 exec_lo, exec_lo, s22
	v_mul_f32_e32 v7, v6, v14
	v_mov_b32_e32 v36, 0x80
	s_mov_b32 s22, exec_lo
	v_and_b32_e32 v14, 0x7f800000, v7
	v_cmpx_ne_u32_e32 0x7f800000, v14
	s_cbranch_execz .LBB6_16134
; %bb.16127:                            ;   in Loop: Header=BB6_15804 Depth=3
	v_mov_b32_e32 v36, 0
	s_mov_b32 s23, exec_lo
	v_cmpx_ne_u32_e32 0, v7
	s_cbranch_execz .LBB6_16133
; %bb.16128:                            ;   in Loop: Header=BB6_15804 Depth=3
	v_bfe_u32 v14, v7, 23, 8
	v_and_b32_e32 v15, 0x7fffff, v7
	v_sub_nc_u32_e32 v19, 0x70, v14
	v_cmp_gt_u32_e32 vcc_lo, 0x71, v14
	v_or_b32_e32 v20, 0x800000, v15
	v_cndmask_b32_e32 v19, 0, v19, vcc_lo
	v_cmp_eq_u32_e32 vcc_lo, 0, v14
	v_add_nc_u32_e32 v14, 0xffffff91, v14
	v_cndmask_b32_e64 v19, v19, 0x6f, vcc_lo
	v_cndmask_b32_e32 v15, v20, v15, vcc_lo
	v_cndmask_b32_e64 v14, v14, 0xffffff92, vcc_lo
	v_lshl_add_u32 v20, 0x200000, v19, -1
	v_lshrrev_b32_e32 v21, v19, v15
	v_lshlrev_b32_e64 v24, v19, 0x100000
	v_add_nc_u32_e32 v19, v19, v14
	v_and_b32_e32 v15, v20, v15
	v_bfe_u32 v23, v21, 21, 1
	v_cmp_eq_u32_e64 s16, v15, v24
	v_add_nc_u32_e32 v20, -1, v23
	v_cndmask_b32_e64 v15, 0, v20, s16
	v_lshrrev_b32_e32 v20, 23, v21
	s_mov_b32 s16, exec_lo
	v_add_nc_u32_e32 v15, v15, v21
	v_xor_b32_e32 v20, 1, v20
	v_and_b32_e32 v14, 0x1fffff, v15
	v_add_nc_u32_e32 v15, v14, v21
                                        ; implicit-def: $vgpr14
	v_cmpx_ne_u32_e64 v19, v20
	s_xor_b32 s16, exec_lo, s16
; %bb.16129:                            ;   in Loop: Header=BB6_15804 Depth=3
	v_cmp_lt_u32_e32 vcc_lo, 0xffffff, v15
	v_sub_nc_u32_e32 v14, v19, v20
	v_cndmask_b32_e64 v19, 0, 1, vcc_lo
	v_add_co_ci_u32_e64 v14, null, 0, v14, vcc_lo
	v_lshrrev_b32_e32 v15, v19, v15
; %bb.16130:                            ;   in Loop: Header=BB6_15804 Depth=3
	s_andn2_saveexec_b32 s16, s16
; %bb.16131:                            ;   in Loop: Header=BB6_15804 Depth=3
	v_bfe_u32 v14, v15, 23, 1
; %bb.16132:                            ;   in Loop: Header=BB6_15804 Depth=3
	s_or_b32 exec_lo, exec_lo, s16
	v_lshrrev_b32_e32 v15, 21, v15
	v_cmp_gt_i32_e32 vcc_lo, 32, v14
	v_min_i32_e32 v19, 31, v14
	v_and_b32_sdwa v7, v7, v117 dst_sel:DWORD dst_unused:UNUSED_PAD src0_sel:BYTE_3 src1_sel:DWORD
	v_cndmask_b32_e32 v15, 3, v15, vcc_lo
	v_lshlrev_b32_e32 v19, 2, v19
	v_and_b32_e32 v20, 3, v15
	v_or_b32_e32 v14, v14, v15
	v_or3_b32 v7, v19, v7, v20
	v_cmp_ne_u32_e32 vcc_lo, 0, v14
	v_cndmask_b32_e32 v36, 0, v7, vcc_lo
.LBB6_16133:                            ;   in Loop: Header=BB6_15804 Depth=3
	s_or_b32 exec_lo, exec_lo, s23
.LBB6_16134:                            ;   in Loop: Header=BB6_15804 Depth=3
	s_or_b32 exec_lo, exec_lo, s22
	flat_load_ubyte v7, v[8:9] offset:736 slc
	s_mov_b32 s16, 0
	s_mov_b32 s22, exec_lo
	s_waitcnt vmcnt(0) lgkmcnt(0)
	v_cmpx_lt_i16_e32 0x7f, v7
	s_xor_b32 s22, exec_lo, s22
	s_cbranch_execz .LBB6_16944
; %bb.16135:                            ;   in Loop: Header=BB6_15804 Depth=3
	s_mov_b32 s16, -1
	s_mov_b32 s23, exec_lo
	v_cmpx_eq_u16_e32 0x80, v7
; %bb.16136:                            ;   in Loop: Header=BB6_15804 Depth=3
	s_xor_b32 s16, exec_lo, -1
; %bb.16137:                            ;   in Loop: Header=BB6_15804 Depth=3
	s_or_b32 exec_lo, exec_lo, s23
	s_and_b32 s16, s16, exec_lo
	s_or_saveexec_b32 s22, s22
	v_mov_b32_e32 v14, 0x7f800001
	s_xor_b32 exec_lo, exec_lo, s22
	s_cbranch_execnz .LBB6_16945
.LBB6_16138:                            ;   in Loop: Header=BB6_15804 Depth=3
	s_or_b32 exec_lo, exec_lo, s22
	s_and_saveexec_b32 s22, s16
	s_cbranch_execz .LBB6_16140
.LBB6_16139:                            ;   in Loop: Header=BB6_15804 Depth=3
	v_and_b32_e32 v14, 0xffff, v7
	v_lshlrev_b32_e32 v7, 24, v7
	v_and_b32_e32 v15, 3, v14
	v_bfe_u32 v21, v14, 2, 5
	v_and_b32_e32 v7, 0x80000000, v7
	v_ffbh_u32_e32 v19, v15
	v_cmp_eq_u32_e32 vcc_lo, 0, v21
	v_min_u32_e32 v19, 32, v19
	v_subrev_nc_u32_e32 v20, 29, v19
	v_sub_nc_u32_e32 v19, 30, v19
	v_lshlrev_b32_e32 v14, v20, v14
	v_cndmask_b32_e32 v19, v21, v19, vcc_lo
	v_and_b32_e32 v14, 3, v14
	v_cndmask_b32_e32 v14, v15, v14, vcc_lo
	v_lshl_add_u32 v15, v19, 23, 0x37800000
	v_lshlrev_b32_e32 v14, 21, v14
	v_or3_b32 v14, v7, v15, v14
.LBB6_16140:                            ;   in Loop: Header=BB6_15804 Depth=3
	s_or_b32 exec_lo, exec_lo, s22
	v_mul_f32_e32 v7, v6, v14
	v_mov_b32_e32 v29, 0x80
	s_mov_b32 s22, exec_lo
	v_and_b32_e32 v14, 0x7f800000, v7
	v_cmpx_ne_u32_e32 0x7f800000, v14
	s_cbranch_execz .LBB6_16148
; %bb.16141:                            ;   in Loop: Header=BB6_15804 Depth=3
	v_mov_b32_e32 v29, 0
	s_mov_b32 s23, exec_lo
	v_cmpx_ne_u32_e32 0, v7
	s_cbranch_execz .LBB6_16147
; %bb.16142:                            ;   in Loop: Header=BB6_15804 Depth=3
	v_bfe_u32 v14, v7, 23, 8
	v_and_b32_e32 v15, 0x7fffff, v7
	v_sub_nc_u32_e32 v19, 0x70, v14
	v_cmp_gt_u32_e32 vcc_lo, 0x71, v14
	v_or_b32_e32 v20, 0x800000, v15
	v_cndmask_b32_e32 v19, 0, v19, vcc_lo
	v_cmp_eq_u32_e32 vcc_lo, 0, v14
	v_add_nc_u32_e32 v14, 0xffffff91, v14
	v_cndmask_b32_e64 v19, v19, 0x6f, vcc_lo
	v_cndmask_b32_e32 v15, v20, v15, vcc_lo
	v_cndmask_b32_e64 v14, v14, 0xffffff92, vcc_lo
	v_lshl_add_u32 v20, 0x200000, v19, -1
	v_lshrrev_b32_e32 v21, v19, v15
	v_lshlrev_b32_e64 v24, v19, 0x100000
	v_add_nc_u32_e32 v19, v19, v14
	v_and_b32_e32 v15, v20, v15
	v_bfe_u32 v23, v21, 21, 1
	v_cmp_eq_u32_e64 s16, v15, v24
	v_add_nc_u32_e32 v20, -1, v23
	v_cndmask_b32_e64 v15, 0, v20, s16
	v_lshrrev_b32_e32 v20, 23, v21
	s_mov_b32 s16, exec_lo
	v_add_nc_u32_e32 v15, v15, v21
	v_xor_b32_e32 v20, 1, v20
	v_and_b32_e32 v14, 0x1fffff, v15
	v_add_nc_u32_e32 v15, v14, v21
                                        ; implicit-def: $vgpr14
	v_cmpx_ne_u32_e64 v19, v20
	s_xor_b32 s16, exec_lo, s16
; %bb.16143:                            ;   in Loop: Header=BB6_15804 Depth=3
	v_cmp_lt_u32_e32 vcc_lo, 0xffffff, v15
	v_sub_nc_u32_e32 v14, v19, v20
	v_cndmask_b32_e64 v19, 0, 1, vcc_lo
	v_add_co_ci_u32_e64 v14, null, 0, v14, vcc_lo
	v_lshrrev_b32_e32 v15, v19, v15
; %bb.16144:                            ;   in Loop: Header=BB6_15804 Depth=3
	s_andn2_saveexec_b32 s16, s16
; %bb.16145:                            ;   in Loop: Header=BB6_15804 Depth=3
	v_bfe_u32 v14, v15, 23, 1
; %bb.16146:                            ;   in Loop: Header=BB6_15804 Depth=3
	s_or_b32 exec_lo, exec_lo, s16
	v_lshrrev_b32_e32 v15, 21, v15
	v_cmp_gt_i32_e32 vcc_lo, 32, v14
	v_min_i32_e32 v19, 31, v14
	v_and_b32_sdwa v7, v7, v117 dst_sel:DWORD dst_unused:UNUSED_PAD src0_sel:BYTE_3 src1_sel:DWORD
	v_cndmask_b32_e32 v15, 3, v15, vcc_lo
	v_lshlrev_b32_e32 v19, 2, v19
	v_and_b32_e32 v20, 3, v15
	v_or_b32_e32 v14, v14, v15
	v_or3_b32 v7, v19, v7, v20
	v_cmp_ne_u32_e32 vcc_lo, 0, v14
	v_cndmask_b32_e32 v29, 0, v7, vcc_lo
.LBB6_16147:                            ;   in Loop: Header=BB6_15804 Depth=3
	s_or_b32 exec_lo, exec_lo, s23
.LBB6_16148:                            ;   in Loop: Header=BB6_15804 Depth=3
	s_or_b32 exec_lo, exec_lo, s22
	flat_load_ubyte v7, v[8:9] offset:768 slc
	s_mov_b32 s16, 0
	s_mov_b32 s22, exec_lo
	s_waitcnt vmcnt(0) lgkmcnt(0)
	v_cmpx_lt_i16_e32 0x7f, v7
	s_xor_b32 s22, exec_lo, s22
	s_cbranch_execz .LBB6_16946
; %bb.16149:                            ;   in Loop: Header=BB6_15804 Depth=3
	s_mov_b32 s16, -1
	s_mov_b32 s23, exec_lo
	v_cmpx_eq_u16_e32 0x80, v7
; %bb.16150:                            ;   in Loop: Header=BB6_15804 Depth=3
	s_xor_b32 s16, exec_lo, -1
; %bb.16151:                            ;   in Loop: Header=BB6_15804 Depth=3
	s_or_b32 exec_lo, exec_lo, s23
	s_and_b32 s16, s16, exec_lo
	s_or_saveexec_b32 s22, s22
	v_mov_b32_e32 v14, 0x7f800001
	s_xor_b32 exec_lo, exec_lo, s22
	s_cbranch_execnz .LBB6_16947
.LBB6_16152:                            ;   in Loop: Header=BB6_15804 Depth=3
	s_or_b32 exec_lo, exec_lo, s22
	s_and_saveexec_b32 s22, s16
	s_cbranch_execz .LBB6_16154
.LBB6_16153:                            ;   in Loop: Header=BB6_15804 Depth=3
	v_and_b32_e32 v14, 0xffff, v7
	v_lshlrev_b32_e32 v7, 24, v7
	v_and_b32_e32 v15, 3, v14
	v_bfe_u32 v21, v14, 2, 5
	v_and_b32_e32 v7, 0x80000000, v7
	v_ffbh_u32_e32 v19, v15
	v_cmp_eq_u32_e32 vcc_lo, 0, v21
	v_min_u32_e32 v19, 32, v19
	v_subrev_nc_u32_e32 v20, 29, v19
	v_sub_nc_u32_e32 v19, 30, v19
	v_lshlrev_b32_e32 v14, v20, v14
	v_cndmask_b32_e32 v19, v21, v19, vcc_lo
	v_and_b32_e32 v14, 3, v14
	v_cndmask_b32_e32 v14, v15, v14, vcc_lo
	v_lshl_add_u32 v15, v19, 23, 0x37800000
	v_lshlrev_b32_e32 v14, 21, v14
	v_or3_b32 v14, v7, v15, v14
.LBB6_16154:                            ;   in Loop: Header=BB6_15804 Depth=3
	s_or_b32 exec_lo, exec_lo, s22
	v_mul_f32_e32 v7, v6, v14
	v_mov_b32_e32 v28, 0x80
	s_mov_b32 s22, exec_lo
	v_and_b32_e32 v14, 0x7f800000, v7
	v_cmpx_ne_u32_e32 0x7f800000, v14
	s_cbranch_execz .LBB6_16162
; %bb.16155:                            ;   in Loop: Header=BB6_15804 Depth=3
	v_mov_b32_e32 v28, 0
	s_mov_b32 s23, exec_lo
	v_cmpx_ne_u32_e32 0, v7
	s_cbranch_execz .LBB6_16161
; %bb.16156:                            ;   in Loop: Header=BB6_15804 Depth=3
	v_bfe_u32 v14, v7, 23, 8
	v_and_b32_e32 v15, 0x7fffff, v7
	v_sub_nc_u32_e32 v19, 0x70, v14
	v_cmp_gt_u32_e32 vcc_lo, 0x71, v14
	v_or_b32_e32 v20, 0x800000, v15
	v_cndmask_b32_e32 v19, 0, v19, vcc_lo
	v_cmp_eq_u32_e32 vcc_lo, 0, v14
	v_add_nc_u32_e32 v14, 0xffffff91, v14
	v_cndmask_b32_e64 v19, v19, 0x6f, vcc_lo
	v_cndmask_b32_e32 v15, v20, v15, vcc_lo
	v_cndmask_b32_e64 v14, v14, 0xffffff92, vcc_lo
	v_lshl_add_u32 v20, 0x200000, v19, -1
	v_lshrrev_b32_e32 v21, v19, v15
	v_lshlrev_b32_e64 v24, v19, 0x100000
	v_add_nc_u32_e32 v19, v19, v14
	v_and_b32_e32 v15, v20, v15
	v_bfe_u32 v23, v21, 21, 1
	v_cmp_eq_u32_e64 s16, v15, v24
	v_add_nc_u32_e32 v20, -1, v23
	v_cndmask_b32_e64 v15, 0, v20, s16
	v_lshrrev_b32_e32 v20, 23, v21
	s_mov_b32 s16, exec_lo
	v_add_nc_u32_e32 v15, v15, v21
	v_xor_b32_e32 v20, 1, v20
	v_and_b32_e32 v14, 0x1fffff, v15
	v_add_nc_u32_e32 v15, v14, v21
                                        ; implicit-def: $vgpr14
	v_cmpx_ne_u32_e64 v19, v20
	s_xor_b32 s16, exec_lo, s16
; %bb.16157:                            ;   in Loop: Header=BB6_15804 Depth=3
	v_cmp_lt_u32_e32 vcc_lo, 0xffffff, v15
	v_sub_nc_u32_e32 v14, v19, v20
	v_cndmask_b32_e64 v19, 0, 1, vcc_lo
	v_add_co_ci_u32_e64 v14, null, 0, v14, vcc_lo
	v_lshrrev_b32_e32 v15, v19, v15
; %bb.16158:                            ;   in Loop: Header=BB6_15804 Depth=3
	s_andn2_saveexec_b32 s16, s16
; %bb.16159:                            ;   in Loop: Header=BB6_15804 Depth=3
	v_bfe_u32 v14, v15, 23, 1
; %bb.16160:                            ;   in Loop: Header=BB6_15804 Depth=3
	s_or_b32 exec_lo, exec_lo, s16
	v_lshrrev_b32_e32 v15, 21, v15
	v_cmp_gt_i32_e32 vcc_lo, 32, v14
	v_min_i32_e32 v19, 31, v14
	v_and_b32_sdwa v7, v7, v117 dst_sel:DWORD dst_unused:UNUSED_PAD src0_sel:BYTE_3 src1_sel:DWORD
	v_cndmask_b32_e32 v15, 3, v15, vcc_lo
	v_lshlrev_b32_e32 v19, 2, v19
	v_and_b32_e32 v20, 3, v15
	v_or_b32_e32 v14, v14, v15
	v_or3_b32 v7, v19, v7, v20
	v_cmp_ne_u32_e32 vcc_lo, 0, v14
	v_cndmask_b32_e32 v28, 0, v7, vcc_lo
.LBB6_16161:                            ;   in Loop: Header=BB6_15804 Depth=3
	s_or_b32 exec_lo, exec_lo, s23
.LBB6_16162:                            ;   in Loop: Header=BB6_15804 Depth=3
	s_or_b32 exec_lo, exec_lo, s22
	flat_load_ubyte v7, v[8:9] offset:800 slc
	s_mov_b32 s16, 0
	s_mov_b32 s22, exec_lo
	s_waitcnt vmcnt(0) lgkmcnt(0)
	v_cmpx_lt_i16_e32 0x7f, v7
	s_xor_b32 s22, exec_lo, s22
	s_cbranch_execz .LBB6_16948
; %bb.16163:                            ;   in Loop: Header=BB6_15804 Depth=3
	s_mov_b32 s16, -1
	s_mov_b32 s23, exec_lo
	v_cmpx_eq_u16_e32 0x80, v7
; %bb.16164:                            ;   in Loop: Header=BB6_15804 Depth=3
	s_xor_b32 s16, exec_lo, -1
; %bb.16165:                            ;   in Loop: Header=BB6_15804 Depth=3
	s_or_b32 exec_lo, exec_lo, s23
	s_and_b32 s16, s16, exec_lo
	s_or_saveexec_b32 s22, s22
	v_mov_b32_e32 v14, 0x7f800001
	s_xor_b32 exec_lo, exec_lo, s22
	s_cbranch_execnz .LBB6_16949
.LBB6_16166:                            ;   in Loop: Header=BB6_15804 Depth=3
	s_or_b32 exec_lo, exec_lo, s22
	s_and_saveexec_b32 s22, s16
	s_cbranch_execz .LBB6_16168
.LBB6_16167:                            ;   in Loop: Header=BB6_15804 Depth=3
	v_and_b32_e32 v14, 0xffff, v7
	v_lshlrev_b32_e32 v7, 24, v7
	v_and_b32_e32 v15, 3, v14
	v_bfe_u32 v21, v14, 2, 5
	v_and_b32_e32 v7, 0x80000000, v7
	v_ffbh_u32_e32 v19, v15
	v_cmp_eq_u32_e32 vcc_lo, 0, v21
	v_min_u32_e32 v19, 32, v19
	v_subrev_nc_u32_e32 v20, 29, v19
	v_sub_nc_u32_e32 v19, 30, v19
	v_lshlrev_b32_e32 v14, v20, v14
	v_cndmask_b32_e32 v19, v21, v19, vcc_lo
	v_and_b32_e32 v14, 3, v14
	v_cndmask_b32_e32 v14, v15, v14, vcc_lo
	v_lshl_add_u32 v15, v19, 23, 0x37800000
	v_lshlrev_b32_e32 v14, 21, v14
	v_or3_b32 v14, v7, v15, v14
.LBB6_16168:                            ;   in Loop: Header=BB6_15804 Depth=3
	s_or_b32 exec_lo, exec_lo, s22
	v_mul_f32_e32 v7, v6, v14
	v_mov_b32_e32 v25, 0x80
	s_mov_b32 s22, exec_lo
	v_and_b32_e32 v14, 0x7f800000, v7
	v_cmpx_ne_u32_e32 0x7f800000, v14
	s_cbranch_execz .LBB6_16176
; %bb.16169:                            ;   in Loop: Header=BB6_15804 Depth=3
	v_mov_b32_e32 v25, 0
	s_mov_b32 s23, exec_lo
	v_cmpx_ne_u32_e32 0, v7
	s_cbranch_execz .LBB6_16175
; %bb.16170:                            ;   in Loop: Header=BB6_15804 Depth=3
	v_bfe_u32 v14, v7, 23, 8
	v_and_b32_e32 v15, 0x7fffff, v7
	v_sub_nc_u32_e32 v19, 0x70, v14
	v_cmp_gt_u32_e32 vcc_lo, 0x71, v14
	v_or_b32_e32 v20, 0x800000, v15
	v_cndmask_b32_e32 v19, 0, v19, vcc_lo
	v_cmp_eq_u32_e32 vcc_lo, 0, v14
	v_add_nc_u32_e32 v14, 0xffffff91, v14
	v_cndmask_b32_e64 v19, v19, 0x6f, vcc_lo
	v_cndmask_b32_e32 v15, v20, v15, vcc_lo
	v_cndmask_b32_e64 v14, v14, 0xffffff92, vcc_lo
	v_lshl_add_u32 v20, 0x200000, v19, -1
	v_lshrrev_b32_e32 v21, v19, v15
	v_lshlrev_b32_e64 v24, v19, 0x100000
	v_add_nc_u32_e32 v19, v19, v14
	v_and_b32_e32 v15, v20, v15
	v_bfe_u32 v23, v21, 21, 1
	v_cmp_eq_u32_e64 s16, v15, v24
	v_add_nc_u32_e32 v20, -1, v23
	v_cndmask_b32_e64 v15, 0, v20, s16
	v_lshrrev_b32_e32 v20, 23, v21
	s_mov_b32 s16, exec_lo
	v_add_nc_u32_e32 v15, v15, v21
	v_xor_b32_e32 v20, 1, v20
	v_and_b32_e32 v14, 0x1fffff, v15
	v_add_nc_u32_e32 v15, v14, v21
                                        ; implicit-def: $vgpr14
	v_cmpx_ne_u32_e64 v19, v20
	s_xor_b32 s16, exec_lo, s16
; %bb.16171:                            ;   in Loop: Header=BB6_15804 Depth=3
	v_cmp_lt_u32_e32 vcc_lo, 0xffffff, v15
	v_sub_nc_u32_e32 v14, v19, v20
	v_cndmask_b32_e64 v19, 0, 1, vcc_lo
	v_add_co_ci_u32_e64 v14, null, 0, v14, vcc_lo
	v_lshrrev_b32_e32 v15, v19, v15
; %bb.16172:                            ;   in Loop: Header=BB6_15804 Depth=3
	s_andn2_saveexec_b32 s16, s16
; %bb.16173:                            ;   in Loop: Header=BB6_15804 Depth=3
	v_bfe_u32 v14, v15, 23, 1
; %bb.16174:                            ;   in Loop: Header=BB6_15804 Depth=3
	s_or_b32 exec_lo, exec_lo, s16
	v_lshrrev_b32_e32 v15, 21, v15
	v_cmp_gt_i32_e32 vcc_lo, 32, v14
	v_min_i32_e32 v19, 31, v14
	v_and_b32_sdwa v7, v7, v117 dst_sel:DWORD dst_unused:UNUSED_PAD src0_sel:BYTE_3 src1_sel:DWORD
	v_cndmask_b32_e32 v15, 3, v15, vcc_lo
	v_lshlrev_b32_e32 v19, 2, v19
	v_and_b32_e32 v20, 3, v15
	v_or_b32_e32 v14, v14, v15
	v_or3_b32 v7, v19, v7, v20
	v_cmp_ne_u32_e32 vcc_lo, 0, v14
	v_cndmask_b32_e32 v25, 0, v7, vcc_lo
.LBB6_16175:                            ;   in Loop: Header=BB6_15804 Depth=3
	s_or_b32 exec_lo, exec_lo, s23
.LBB6_16176:                            ;   in Loop: Header=BB6_15804 Depth=3
	s_or_b32 exec_lo, exec_lo, s22
	flat_load_ubyte v7, v[8:9] offset:832 slc
	s_mov_b32 s16, 0
	s_mov_b32 s22, exec_lo
	s_waitcnt vmcnt(0) lgkmcnt(0)
	v_cmpx_lt_i16_e32 0x7f, v7
	s_xor_b32 s22, exec_lo, s22
	s_cbranch_execz .LBB6_16950
; %bb.16177:                            ;   in Loop: Header=BB6_15804 Depth=3
	s_mov_b32 s16, -1
	s_mov_b32 s23, exec_lo
	v_cmpx_eq_u16_e32 0x80, v7
; %bb.16178:                            ;   in Loop: Header=BB6_15804 Depth=3
	s_xor_b32 s16, exec_lo, -1
; %bb.16179:                            ;   in Loop: Header=BB6_15804 Depth=3
	s_or_b32 exec_lo, exec_lo, s23
	s_and_b32 s16, s16, exec_lo
	s_or_saveexec_b32 s22, s22
	v_mov_b32_e32 v14, 0x7f800001
	s_xor_b32 exec_lo, exec_lo, s22
	s_cbranch_execnz .LBB6_16951
.LBB6_16180:                            ;   in Loop: Header=BB6_15804 Depth=3
	s_or_b32 exec_lo, exec_lo, s22
	s_and_saveexec_b32 s22, s16
	s_cbranch_execz .LBB6_16182
.LBB6_16181:                            ;   in Loop: Header=BB6_15804 Depth=3
	v_and_b32_e32 v14, 0xffff, v7
	v_lshlrev_b32_e32 v7, 24, v7
	v_and_b32_e32 v15, 3, v14
	v_bfe_u32 v21, v14, 2, 5
	v_and_b32_e32 v7, 0x80000000, v7
	v_ffbh_u32_e32 v19, v15
	v_cmp_eq_u32_e32 vcc_lo, 0, v21
	v_min_u32_e32 v19, 32, v19
	v_subrev_nc_u32_e32 v20, 29, v19
	v_sub_nc_u32_e32 v19, 30, v19
	v_lshlrev_b32_e32 v14, v20, v14
	v_cndmask_b32_e32 v19, v21, v19, vcc_lo
	v_and_b32_e32 v14, 3, v14
	v_cndmask_b32_e32 v14, v15, v14, vcc_lo
	v_lshl_add_u32 v15, v19, 23, 0x37800000
	v_lshlrev_b32_e32 v14, 21, v14
	v_or3_b32 v14, v7, v15, v14
.LBB6_16182:                            ;   in Loop: Header=BB6_15804 Depth=3
	s_or_b32 exec_lo, exec_lo, s22
	v_mul_f32_e32 v7, v6, v14
	v_mov_b32_e32 v24, 0x80
	s_mov_b32 s22, exec_lo
	v_and_b32_e32 v14, 0x7f800000, v7
	v_cmpx_ne_u32_e32 0x7f800000, v14
	s_cbranch_execz .LBB6_16190
; %bb.16183:                            ;   in Loop: Header=BB6_15804 Depth=3
	v_mov_b32_e32 v24, 0
	s_mov_b32 s23, exec_lo
	v_cmpx_ne_u32_e32 0, v7
	s_cbranch_execz .LBB6_16189
; %bb.16184:                            ;   in Loop: Header=BB6_15804 Depth=3
	v_bfe_u32 v14, v7, 23, 8
	v_and_b32_e32 v15, 0x7fffff, v7
	v_sub_nc_u32_e32 v19, 0x70, v14
	v_cmp_gt_u32_e32 vcc_lo, 0x71, v14
	v_or_b32_e32 v20, 0x800000, v15
	v_cndmask_b32_e32 v19, 0, v19, vcc_lo
	v_cmp_eq_u32_e32 vcc_lo, 0, v14
	v_add_nc_u32_e32 v14, 0xffffff91, v14
	v_cndmask_b32_e64 v19, v19, 0x6f, vcc_lo
	v_cndmask_b32_e32 v15, v20, v15, vcc_lo
	v_cndmask_b32_e64 v14, v14, 0xffffff92, vcc_lo
	v_lshl_add_u32 v20, 0x200000, v19, -1
	v_lshrrev_b32_e32 v21, v19, v15
	v_lshlrev_b32_e64 v24, v19, 0x100000
	v_add_nc_u32_e32 v19, v19, v14
	v_and_b32_e32 v15, v20, v15
	v_bfe_u32 v23, v21, 21, 1
	v_cmp_eq_u32_e64 s16, v15, v24
	v_add_nc_u32_e32 v20, -1, v23
	v_cndmask_b32_e64 v15, 0, v20, s16
	v_lshrrev_b32_e32 v20, 23, v21
	s_mov_b32 s16, exec_lo
	v_add_nc_u32_e32 v15, v15, v21
	v_xor_b32_e32 v20, 1, v20
	v_and_b32_e32 v14, 0x1fffff, v15
	v_add_nc_u32_e32 v15, v14, v21
                                        ; implicit-def: $vgpr14
	v_cmpx_ne_u32_e64 v19, v20
	s_xor_b32 s16, exec_lo, s16
; %bb.16185:                            ;   in Loop: Header=BB6_15804 Depth=3
	v_cmp_lt_u32_e32 vcc_lo, 0xffffff, v15
	v_sub_nc_u32_e32 v14, v19, v20
	v_cndmask_b32_e64 v19, 0, 1, vcc_lo
	v_add_co_ci_u32_e64 v14, null, 0, v14, vcc_lo
	v_lshrrev_b32_e32 v15, v19, v15
; %bb.16186:                            ;   in Loop: Header=BB6_15804 Depth=3
	s_andn2_saveexec_b32 s16, s16
; %bb.16187:                            ;   in Loop: Header=BB6_15804 Depth=3
	v_bfe_u32 v14, v15, 23, 1
; %bb.16188:                            ;   in Loop: Header=BB6_15804 Depth=3
	s_or_b32 exec_lo, exec_lo, s16
	v_lshrrev_b32_e32 v15, 21, v15
	v_cmp_gt_i32_e32 vcc_lo, 32, v14
	v_min_i32_e32 v19, 31, v14
	v_and_b32_sdwa v7, v7, v117 dst_sel:DWORD dst_unused:UNUSED_PAD src0_sel:BYTE_3 src1_sel:DWORD
	v_cndmask_b32_e32 v15, 3, v15, vcc_lo
	v_lshlrev_b32_e32 v19, 2, v19
	v_and_b32_e32 v20, 3, v15
	v_or_b32_e32 v14, v14, v15
	v_or3_b32 v7, v19, v7, v20
	v_cmp_ne_u32_e32 vcc_lo, 0, v14
	v_cndmask_b32_e32 v24, 0, v7, vcc_lo
.LBB6_16189:                            ;   in Loop: Header=BB6_15804 Depth=3
	s_or_b32 exec_lo, exec_lo, s23
.LBB6_16190:                            ;   in Loop: Header=BB6_15804 Depth=3
	s_or_b32 exec_lo, exec_lo, s22
	flat_load_ubyte v7, v[8:9] offset:864 slc
	s_mov_b32 s16, 0
	s_mov_b32 s22, exec_lo
	s_waitcnt vmcnt(0) lgkmcnt(0)
	v_cmpx_lt_i16_e32 0x7f, v7
	s_xor_b32 s22, exec_lo, s22
	s_cbranch_execz .LBB6_16952
; %bb.16191:                            ;   in Loop: Header=BB6_15804 Depth=3
	s_mov_b32 s16, -1
	s_mov_b32 s23, exec_lo
	v_cmpx_eq_u16_e32 0x80, v7
; %bb.16192:                            ;   in Loop: Header=BB6_15804 Depth=3
	s_xor_b32 s16, exec_lo, -1
; %bb.16193:                            ;   in Loop: Header=BB6_15804 Depth=3
	s_or_b32 exec_lo, exec_lo, s23
	s_and_b32 s16, s16, exec_lo
	s_or_saveexec_b32 s22, s22
	v_mov_b32_e32 v14, 0x7f800001
	s_xor_b32 exec_lo, exec_lo, s22
	s_cbranch_execnz .LBB6_16953
.LBB6_16194:                            ;   in Loop: Header=BB6_15804 Depth=3
	s_or_b32 exec_lo, exec_lo, s22
	s_and_saveexec_b32 s22, s16
	s_cbranch_execz .LBB6_16196
.LBB6_16195:                            ;   in Loop: Header=BB6_15804 Depth=3
	v_and_b32_e32 v14, 0xffff, v7
	v_lshlrev_b32_e32 v7, 24, v7
	v_and_b32_e32 v15, 3, v14
	v_bfe_u32 v21, v14, 2, 5
	v_and_b32_e32 v7, 0x80000000, v7
	v_ffbh_u32_e32 v19, v15
	v_cmp_eq_u32_e32 vcc_lo, 0, v21
	v_min_u32_e32 v19, 32, v19
	v_subrev_nc_u32_e32 v20, 29, v19
	v_sub_nc_u32_e32 v19, 30, v19
	v_lshlrev_b32_e32 v14, v20, v14
	v_cndmask_b32_e32 v19, v21, v19, vcc_lo
	v_and_b32_e32 v14, 3, v14
	v_cndmask_b32_e32 v14, v15, v14, vcc_lo
	v_lshl_add_u32 v15, v19, 23, 0x37800000
	v_lshlrev_b32_e32 v14, 21, v14
	v_or3_b32 v14, v7, v15, v14
.LBB6_16196:                            ;   in Loop: Header=BB6_15804 Depth=3
	s_or_b32 exec_lo, exec_lo, s22
	v_mul_f32_e32 v7, v6, v14
	v_mov_b32_e32 v21, 0x80
	s_mov_b32 s22, exec_lo
	v_and_b32_e32 v14, 0x7f800000, v7
	v_cmpx_ne_u32_e32 0x7f800000, v14
	s_cbranch_execz .LBB6_16204
; %bb.16197:                            ;   in Loop: Header=BB6_15804 Depth=3
	v_mov_b32_e32 v21, 0
	s_mov_b32 s23, exec_lo
	v_cmpx_ne_u32_e32 0, v7
	s_cbranch_execz .LBB6_16203
; %bb.16198:                            ;   in Loop: Header=BB6_15804 Depth=3
	v_bfe_u32 v14, v7, 23, 8
	v_and_b32_e32 v15, 0x7fffff, v7
	v_sub_nc_u32_e32 v19, 0x70, v14
	v_cmp_gt_u32_e32 vcc_lo, 0x71, v14
	v_or_b32_e32 v20, 0x800000, v15
	v_cndmask_b32_e32 v19, 0, v19, vcc_lo
	v_cmp_eq_u32_e32 vcc_lo, 0, v14
	v_add_nc_u32_e32 v14, 0xffffff91, v14
	v_cndmask_b32_e64 v19, v19, 0x6f, vcc_lo
	v_cndmask_b32_e32 v15, v20, v15, vcc_lo
	v_cndmask_b32_e64 v14, v14, 0xffffff92, vcc_lo
	v_lshl_add_u32 v20, 0x200000, v19, -1
	v_lshrrev_b32_e32 v21, v19, v15
	v_lshlrev_b32_e64 v26, v19, 0x100000
	v_add_nc_u32_e32 v19, v19, v14
	v_and_b32_e32 v15, v20, v15
	v_bfe_u32 v23, v21, 21, 1
	v_cmp_eq_u32_e64 s16, v15, v26
	v_add_nc_u32_e32 v20, -1, v23
	v_cndmask_b32_e64 v15, 0, v20, s16
	v_lshrrev_b32_e32 v20, 23, v21
	s_mov_b32 s16, exec_lo
	v_add_nc_u32_e32 v15, v15, v21
	v_xor_b32_e32 v20, 1, v20
	v_and_b32_e32 v14, 0x1fffff, v15
	v_add_nc_u32_e32 v15, v14, v21
                                        ; implicit-def: $vgpr14
	v_cmpx_ne_u32_e64 v19, v20
	s_xor_b32 s16, exec_lo, s16
; %bb.16199:                            ;   in Loop: Header=BB6_15804 Depth=3
	v_cmp_lt_u32_e32 vcc_lo, 0xffffff, v15
	v_sub_nc_u32_e32 v14, v19, v20
	v_cndmask_b32_e64 v19, 0, 1, vcc_lo
	v_add_co_ci_u32_e64 v14, null, 0, v14, vcc_lo
	v_lshrrev_b32_e32 v15, v19, v15
; %bb.16200:                            ;   in Loop: Header=BB6_15804 Depth=3
	s_andn2_saveexec_b32 s16, s16
; %bb.16201:                            ;   in Loop: Header=BB6_15804 Depth=3
	v_bfe_u32 v14, v15, 23, 1
; %bb.16202:                            ;   in Loop: Header=BB6_15804 Depth=3
	s_or_b32 exec_lo, exec_lo, s16
	v_lshrrev_b32_e32 v15, 21, v15
	v_cmp_gt_i32_e32 vcc_lo, 32, v14
	v_min_i32_e32 v19, 31, v14
	v_and_b32_sdwa v7, v7, v117 dst_sel:DWORD dst_unused:UNUSED_PAD src0_sel:BYTE_3 src1_sel:DWORD
	v_cndmask_b32_e32 v15, 3, v15, vcc_lo
	v_lshlrev_b32_e32 v19, 2, v19
	v_and_b32_e32 v20, 3, v15
	v_or_b32_e32 v14, v14, v15
	v_or3_b32 v7, v19, v7, v20
	v_cmp_ne_u32_e32 vcc_lo, 0, v14
	v_cndmask_b32_e32 v21, 0, v7, vcc_lo
.LBB6_16203:                            ;   in Loop: Header=BB6_15804 Depth=3
	s_or_b32 exec_lo, exec_lo, s23
.LBB6_16204:                            ;   in Loop: Header=BB6_15804 Depth=3
	s_or_b32 exec_lo, exec_lo, s22
	flat_load_ubyte v7, v[8:9] offset:896 slc
	s_mov_b32 s16, 0
	s_mov_b32 s22, exec_lo
	s_waitcnt vmcnt(0) lgkmcnt(0)
	v_cmpx_lt_i16_e32 0x7f, v7
	s_xor_b32 s22, exec_lo, s22
	s_cbranch_execz .LBB6_16954
; %bb.16205:                            ;   in Loop: Header=BB6_15804 Depth=3
	s_mov_b32 s16, -1
	s_mov_b32 s23, exec_lo
	v_cmpx_eq_u16_e32 0x80, v7
; %bb.16206:                            ;   in Loop: Header=BB6_15804 Depth=3
	s_xor_b32 s16, exec_lo, -1
; %bb.16207:                            ;   in Loop: Header=BB6_15804 Depth=3
	s_or_b32 exec_lo, exec_lo, s23
	s_and_b32 s16, s16, exec_lo
	s_or_saveexec_b32 s22, s22
	v_mov_b32_e32 v14, 0x7f800001
	s_xor_b32 exec_lo, exec_lo, s22
	s_cbranch_execnz .LBB6_16955
.LBB6_16208:                            ;   in Loop: Header=BB6_15804 Depth=3
	s_or_b32 exec_lo, exec_lo, s22
	s_and_saveexec_b32 s22, s16
	s_cbranch_execz .LBB6_16210
.LBB6_16209:                            ;   in Loop: Header=BB6_15804 Depth=3
	v_and_b32_e32 v14, 0xffff, v7
	v_lshlrev_b32_e32 v7, 24, v7
	v_and_b32_e32 v15, 3, v14
	v_bfe_u32 v23, v14, 2, 5
	v_and_b32_e32 v7, 0x80000000, v7
	v_ffbh_u32_e32 v19, v15
	v_cmp_eq_u32_e32 vcc_lo, 0, v23
	v_min_u32_e32 v19, 32, v19
	v_subrev_nc_u32_e32 v20, 29, v19
	v_sub_nc_u32_e32 v19, 30, v19
	v_lshlrev_b32_e32 v14, v20, v14
	v_cndmask_b32_e32 v19, v23, v19, vcc_lo
	v_and_b32_e32 v14, 3, v14
	v_cndmask_b32_e32 v14, v15, v14, vcc_lo
	v_lshl_add_u32 v15, v19, 23, 0x37800000
	v_lshlrev_b32_e32 v14, 21, v14
	v_or3_b32 v14, v7, v15, v14
.LBB6_16210:                            ;   in Loop: Header=BB6_15804 Depth=3
	s_or_b32 exec_lo, exec_lo, s22
	v_mul_f32_e32 v7, v6, v14
	v_mov_b32_e32 v20, 0x80
	s_mov_b32 s22, exec_lo
	v_and_b32_e32 v14, 0x7f800000, v7
	v_cmpx_ne_u32_e32 0x7f800000, v14
	s_cbranch_execz .LBB6_16218
; %bb.16211:                            ;   in Loop: Header=BB6_15804 Depth=3
	v_mov_b32_e32 v20, 0
	s_mov_b32 s23, exec_lo
	v_cmpx_ne_u32_e32 0, v7
	s_cbranch_execz .LBB6_16217
; %bb.16212:                            ;   in Loop: Header=BB6_15804 Depth=3
	v_bfe_u32 v14, v7, 23, 8
	v_and_b32_e32 v15, 0x7fffff, v7
	v_sub_nc_u32_e32 v19, 0x70, v14
	v_cmp_gt_u32_e32 vcc_lo, 0x71, v14
	v_or_b32_e32 v20, 0x800000, v15
	v_cndmask_b32_e32 v19, 0, v19, vcc_lo
	v_cmp_eq_u32_e32 vcc_lo, 0, v14
	v_add_nc_u32_e32 v14, 0xffffff91, v14
	v_cndmask_b32_e64 v19, v19, 0x6f, vcc_lo
	v_cndmask_b32_e32 v15, v20, v15, vcc_lo
	v_cndmask_b32_e64 v14, v14, 0xffffff92, vcc_lo
	v_lshl_add_u32 v20, 0x200000, v19, -1
	v_lshrrev_b32_e32 v23, v19, v15
	v_lshlrev_b32_e64 v30, v19, 0x100000
	v_add_nc_u32_e32 v19, v19, v14
	v_and_b32_e32 v15, v20, v15
	v_bfe_u32 v26, v23, 21, 1
	v_cmp_eq_u32_e64 s16, v15, v30
	v_add_nc_u32_e32 v20, -1, v26
	v_cndmask_b32_e64 v15, 0, v20, s16
	v_lshrrev_b32_e32 v20, 23, v23
	s_mov_b32 s16, exec_lo
	v_add_nc_u32_e32 v15, v15, v23
	v_xor_b32_e32 v20, 1, v20
	v_and_b32_e32 v14, 0x1fffff, v15
	v_add_nc_u32_e32 v15, v14, v23
                                        ; implicit-def: $vgpr14
	v_cmpx_ne_u32_e64 v19, v20
	s_xor_b32 s16, exec_lo, s16
; %bb.16213:                            ;   in Loop: Header=BB6_15804 Depth=3
	v_cmp_lt_u32_e32 vcc_lo, 0xffffff, v15
	v_sub_nc_u32_e32 v14, v19, v20
	v_cndmask_b32_e64 v19, 0, 1, vcc_lo
	v_add_co_ci_u32_e64 v14, null, 0, v14, vcc_lo
	v_lshrrev_b32_e32 v15, v19, v15
; %bb.16214:                            ;   in Loop: Header=BB6_15804 Depth=3
	s_andn2_saveexec_b32 s16, s16
; %bb.16215:                            ;   in Loop: Header=BB6_15804 Depth=3
	v_bfe_u32 v14, v15, 23, 1
; %bb.16216:                            ;   in Loop: Header=BB6_15804 Depth=3
	s_or_b32 exec_lo, exec_lo, s16
	v_lshrrev_b32_e32 v15, 21, v15
	v_cmp_gt_i32_e32 vcc_lo, 32, v14
	v_min_i32_e32 v19, 31, v14
	v_and_b32_sdwa v7, v7, v117 dst_sel:DWORD dst_unused:UNUSED_PAD src0_sel:BYTE_3 src1_sel:DWORD
	v_cndmask_b32_e32 v15, 3, v15, vcc_lo
	v_lshlrev_b32_e32 v19, 2, v19
	v_and_b32_e32 v20, 3, v15
	v_or_b32_e32 v14, v14, v15
	v_or3_b32 v7, v19, v7, v20
	v_cmp_ne_u32_e32 vcc_lo, 0, v14
	v_cndmask_b32_e32 v20, 0, v7, vcc_lo
.LBB6_16217:                            ;   in Loop: Header=BB6_15804 Depth=3
	s_or_b32 exec_lo, exec_lo, s23
.LBB6_16218:                            ;   in Loop: Header=BB6_15804 Depth=3
	s_or_b32 exec_lo, exec_lo, s22
	flat_load_ubyte v7, v[8:9] offset:928 slc
	s_mov_b32 s16, 0
	s_mov_b32 s22, exec_lo
	s_waitcnt vmcnt(0) lgkmcnt(0)
	v_cmpx_lt_i16_e32 0x7f, v7
	s_xor_b32 s22, exec_lo, s22
	s_cbranch_execz .LBB6_16956
; %bb.16219:                            ;   in Loop: Header=BB6_15804 Depth=3
	s_mov_b32 s16, -1
	s_mov_b32 s23, exec_lo
	v_cmpx_eq_u16_e32 0x80, v7
; %bb.16220:                            ;   in Loop: Header=BB6_15804 Depth=3
	s_xor_b32 s16, exec_lo, -1
; %bb.16221:                            ;   in Loop: Header=BB6_15804 Depth=3
	s_or_b32 exec_lo, exec_lo, s23
	s_and_b32 s16, s16, exec_lo
	s_or_saveexec_b32 s22, s22
	v_mov_b32_e32 v14, 0x7f800001
	s_xor_b32 exec_lo, exec_lo, s22
	s_cbranch_execnz .LBB6_16957
.LBB6_16222:                            ;   in Loop: Header=BB6_15804 Depth=3
	s_or_b32 exec_lo, exec_lo, s22
	s_and_saveexec_b32 s22, s16
	s_cbranch_execz .LBB6_16224
.LBB6_16223:                            ;   in Loop: Header=BB6_15804 Depth=3
	v_and_b32_e32 v14, 0xffff, v7
	v_lshlrev_b32_e32 v7, 24, v7
	v_and_b32_e32 v15, 3, v14
	v_bfe_u32 v26, v14, 2, 5
	v_and_b32_e32 v7, 0x80000000, v7
	v_ffbh_u32_e32 v19, v15
	v_cmp_eq_u32_e32 vcc_lo, 0, v26
	v_min_u32_e32 v19, 32, v19
	v_subrev_nc_u32_e32 v23, 29, v19
	v_sub_nc_u32_e32 v19, 30, v19
	v_lshlrev_b32_e32 v14, v23, v14
	v_cndmask_b32_e32 v19, v26, v19, vcc_lo
	v_and_b32_e32 v14, 3, v14
	v_cndmask_b32_e32 v14, v15, v14, vcc_lo
	v_lshl_add_u32 v15, v19, 23, 0x37800000
	v_lshlrev_b32_e32 v14, 21, v14
	v_or3_b32 v14, v7, v15, v14
.LBB6_16224:                            ;   in Loop: Header=BB6_15804 Depth=3
	s_or_b32 exec_lo, exec_lo, s22
	v_mul_f32_e32 v7, v6, v14
	v_mov_b32_e32 v15, 0x80
	s_mov_b32 s22, exec_lo
	v_and_b32_e32 v14, 0x7f800000, v7
	v_cmpx_ne_u32_e32 0x7f800000, v14
	s_cbranch_execz .LBB6_16232
; %bb.16225:                            ;   in Loop: Header=BB6_15804 Depth=3
	v_mov_b32_e32 v15, 0
	s_mov_b32 s23, exec_lo
	v_cmpx_ne_u32_e32 0, v7
	s_cbranch_execz .LBB6_16231
; %bb.16226:                            ;   in Loop: Header=BB6_15804 Depth=3
	v_bfe_u32 v14, v7, 23, 8
	v_and_b32_e32 v15, 0x7fffff, v7
	v_sub_nc_u32_e32 v19, 0x70, v14
	v_cmp_gt_u32_e32 vcc_lo, 0x71, v14
	v_or_b32_e32 v23, 0x800000, v15
	v_cndmask_b32_e32 v19, 0, v19, vcc_lo
	v_cmp_eq_u32_e32 vcc_lo, 0, v14
	v_add_nc_u32_e32 v14, 0xffffff91, v14
	v_cndmask_b32_e64 v19, v19, 0x6f, vcc_lo
	v_cndmask_b32_e32 v15, v23, v15, vcc_lo
	v_cndmask_b32_e64 v14, v14, 0xffffff92, vcc_lo
	v_lshl_add_u32 v23, 0x200000, v19, -1
	v_lshrrev_b32_e32 v26, v19, v15
	v_lshlrev_b32_e64 v50, v19, 0x100000
	v_add_nc_u32_e32 v19, v19, v14
	v_and_b32_e32 v15, v23, v15
	v_bfe_u32 v30, v26, 21, 1
	v_cmp_eq_u32_e64 s16, v15, v50
	v_add_nc_u32_e32 v23, -1, v30
	v_cndmask_b32_e64 v15, 0, v23, s16
	v_lshrrev_b32_e32 v23, 23, v26
	s_mov_b32 s16, exec_lo
	v_add_nc_u32_e32 v15, v15, v26
	v_xor_b32_e32 v23, 1, v23
	v_and_b32_e32 v14, 0x1fffff, v15
	v_add_nc_u32_e32 v15, v14, v26
                                        ; implicit-def: $vgpr14
	v_cmpx_ne_u32_e64 v19, v23
	s_xor_b32 s16, exec_lo, s16
; %bb.16227:                            ;   in Loop: Header=BB6_15804 Depth=3
	v_cmp_lt_u32_e32 vcc_lo, 0xffffff, v15
	v_sub_nc_u32_e32 v14, v19, v23
	v_cndmask_b32_e64 v19, 0, 1, vcc_lo
	v_add_co_ci_u32_e64 v14, null, 0, v14, vcc_lo
	v_lshrrev_b32_e32 v15, v19, v15
; %bb.16228:                            ;   in Loop: Header=BB6_15804 Depth=3
	s_andn2_saveexec_b32 s16, s16
; %bb.16229:                            ;   in Loop: Header=BB6_15804 Depth=3
	v_bfe_u32 v14, v15, 23, 1
; %bb.16230:                            ;   in Loop: Header=BB6_15804 Depth=3
	s_or_b32 exec_lo, exec_lo, s16
	v_lshrrev_b32_e32 v15, 21, v15
	v_cmp_gt_i32_e32 vcc_lo, 32, v14
	v_min_i32_e32 v19, 31, v14
	v_and_b32_sdwa v7, v7, v117 dst_sel:DWORD dst_unused:UNUSED_PAD src0_sel:BYTE_3 src1_sel:DWORD
	v_cndmask_b32_e32 v15, 3, v15, vcc_lo
	v_lshlrev_b32_e32 v19, 2, v19
	v_and_b32_e32 v23, 3, v15
	v_or_b32_e32 v14, v14, v15
	v_or3_b32 v7, v19, v7, v23
	v_cmp_ne_u32_e32 vcc_lo, 0, v14
	v_cndmask_b32_e32 v15, 0, v7, vcc_lo
.LBB6_16231:                            ;   in Loop: Header=BB6_15804 Depth=3
	s_or_b32 exec_lo, exec_lo, s23
.LBB6_16232:                            ;   in Loop: Header=BB6_15804 Depth=3
	s_or_b32 exec_lo, exec_lo, s22
	flat_load_ubyte v7, v[8:9] offset:960 slc
	s_mov_b32 s16, 0
	s_mov_b32 s22, exec_lo
	s_waitcnt vmcnt(0) lgkmcnt(0)
	v_cmpx_lt_i16_e32 0x7f, v7
	s_xor_b32 s22, exec_lo, s22
	s_cbranch_execz .LBB6_16958
; %bb.16233:                            ;   in Loop: Header=BB6_15804 Depth=3
	s_mov_b32 s16, -1
	s_mov_b32 s23, exec_lo
	v_cmpx_eq_u16_e32 0x80, v7
; %bb.16234:                            ;   in Loop: Header=BB6_15804 Depth=3
	s_xor_b32 s16, exec_lo, -1
; %bb.16235:                            ;   in Loop: Header=BB6_15804 Depth=3
	s_or_b32 exec_lo, exec_lo, s23
	s_and_b32 s16, s16, exec_lo
	s_or_saveexec_b32 s22, s22
	v_mov_b32_e32 v14, 0x7f800001
	s_xor_b32 exec_lo, exec_lo, s22
	s_cbranch_execnz .LBB6_16959
.LBB6_16236:                            ;   in Loop: Header=BB6_15804 Depth=3
	s_or_b32 exec_lo, exec_lo, s22
	s_and_saveexec_b32 s22, s16
	s_cbranch_execz .LBB6_16238
.LBB6_16237:                            ;   in Loop: Header=BB6_15804 Depth=3
	v_and_b32_e32 v14, 0xffff, v7
	v_lshlrev_b32_e32 v7, 24, v7
	v_and_b32_e32 v19, 3, v14
	v_bfe_u32 v30, v14, 2, 5
	v_and_b32_e32 v7, 0x80000000, v7
	v_ffbh_u32_e32 v23, v19
	v_cmp_eq_u32_e32 vcc_lo, 0, v30
	v_min_u32_e32 v23, 32, v23
	v_subrev_nc_u32_e32 v26, 29, v23
	v_sub_nc_u32_e32 v23, 30, v23
	v_lshlrev_b32_e32 v14, v26, v14
	v_cndmask_b32_e32 v23, v30, v23, vcc_lo
	v_and_b32_e32 v14, 3, v14
	v_cndmask_b32_e32 v14, v19, v14, vcc_lo
	v_lshl_add_u32 v19, v23, 23, 0x37800000
	v_lshlrev_b32_e32 v14, 21, v14
	v_or3_b32 v14, v7, v19, v14
.LBB6_16238:                            ;   in Loop: Header=BB6_15804 Depth=3
	s_or_b32 exec_lo, exec_lo, s22
	v_mul_f32_e32 v7, v6, v14
	v_and_b32_e32 v14, 0x7f800000, v7
	v_cmp_ne_u32_e32 vcc_lo, 0x7f800000, v14
	v_mov_b32_e32 v14, 0x80
	s_and_saveexec_b32 s22, vcc_lo
	s_cbranch_execz .LBB6_16246
; %bb.16239:                            ;   in Loop: Header=BB6_15804 Depth=3
	v_mov_b32_e32 v14, 0
	s_mov_b32 s23, exec_lo
	v_cmpx_ne_u32_e32 0, v7
	s_cbranch_execz .LBB6_16245
; %bb.16240:                            ;   in Loop: Header=BB6_15804 Depth=3
	v_bfe_u32 v14, v7, 23, 8
	v_and_b32_e32 v19, 0x7fffff, v7
	v_sub_nc_u32_e32 v23, 0x70, v14
	v_cmp_gt_u32_e32 vcc_lo, 0x71, v14
	v_or_b32_e32 v26, 0x800000, v19
	v_cndmask_b32_e32 v23, 0, v23, vcc_lo
	v_cmp_eq_u32_e32 vcc_lo, 0, v14
	v_add_nc_u32_e32 v14, 0xffffff91, v14
	v_cndmask_b32_e64 v23, v23, 0x6f, vcc_lo
	v_cndmask_b32_e32 v19, v26, v19, vcc_lo
	v_cndmask_b32_e64 v14, v14, 0xffffff92, vcc_lo
	v_lshl_add_u32 v26, 0x200000, v23, -1
	v_lshrrev_b32_e32 v30, v23, v19
	v_lshlrev_b32_e64 v54, v23, 0x100000
	v_add_nc_u32_e32 v23, v23, v14
	v_and_b32_e32 v19, v26, v19
	v_bfe_u32 v50, v30, 21, 1
	v_cmp_eq_u32_e64 s16, v19, v54
	v_add_nc_u32_e32 v26, -1, v50
	v_cndmask_b32_e64 v19, 0, v26, s16
	v_lshrrev_b32_e32 v26, 23, v30
	s_mov_b32 s16, exec_lo
	v_add_nc_u32_e32 v19, v19, v30
	v_xor_b32_e32 v26, 1, v26
	v_and_b32_e32 v14, 0x1fffff, v19
	v_add_nc_u32_e32 v19, v14, v30
                                        ; implicit-def: $vgpr14
	v_cmpx_ne_u32_e64 v23, v26
	s_xor_b32 s16, exec_lo, s16
; %bb.16241:                            ;   in Loop: Header=BB6_15804 Depth=3
	v_cmp_lt_u32_e32 vcc_lo, 0xffffff, v19
	v_sub_nc_u32_e32 v14, v23, v26
	v_cndmask_b32_e64 v23, 0, 1, vcc_lo
	v_add_co_ci_u32_e64 v14, null, 0, v14, vcc_lo
	v_lshrrev_b32_e32 v19, v23, v19
; %bb.16242:                            ;   in Loop: Header=BB6_15804 Depth=3
	s_andn2_saveexec_b32 s16, s16
; %bb.16243:                            ;   in Loop: Header=BB6_15804 Depth=3
	v_bfe_u32 v14, v19, 23, 1
; %bb.16244:                            ;   in Loop: Header=BB6_15804 Depth=3
	s_or_b32 exec_lo, exec_lo, s16
	v_lshrrev_b32_e32 v19, 21, v19
	v_cmp_gt_i32_e32 vcc_lo, 32, v14
	v_min_i32_e32 v23, 31, v14
	v_and_b32_sdwa v7, v7, v117 dst_sel:DWORD dst_unused:UNUSED_PAD src0_sel:BYTE_3 src1_sel:DWORD
	v_cndmask_b32_e32 v19, 3, v19, vcc_lo
	v_lshlrev_b32_e32 v23, 2, v23
	v_and_b32_e32 v26, 3, v19
	v_or_b32_e32 v14, v14, v19
	v_or3_b32 v7, v23, v7, v26
	v_cmp_ne_u32_e32 vcc_lo, 0, v14
	v_cndmask_b32_e32 v14, 0, v7, vcc_lo
.LBB6_16245:                            ;   in Loop: Header=BB6_15804 Depth=3
	s_or_b32 exec_lo, exec_lo, s23
.LBB6_16246:                            ;   in Loop: Header=BB6_15804 Depth=3
	s_or_b32 exec_lo, exec_lo, s22
	flat_load_ubyte v7, v[8:9] offset:992 slc
	s_mov_b32 s16, 0
	s_mov_b32 s22, exec_lo
	s_waitcnt vmcnt(0) lgkmcnt(0)
	v_cmpx_lt_i16_e32 0x7f, v7
	s_xor_b32 s22, exec_lo, s22
	s_cbranch_execz .LBB6_16960
; %bb.16247:                            ;   in Loop: Header=BB6_15804 Depth=3
	s_mov_b32 s16, -1
	s_mov_b32 s23, exec_lo
	v_cmpx_eq_u16_e32 0x80, v7
; %bb.16248:                            ;   in Loop: Header=BB6_15804 Depth=3
	s_xor_b32 s16, exec_lo, -1
; %bb.16249:                            ;   in Loop: Header=BB6_15804 Depth=3
	s_or_b32 exec_lo, exec_lo, s23
	s_and_b32 s16, s16, exec_lo
	s_or_saveexec_b32 s22, s22
	v_mov_b32_e32 v19, 0x7f800001
	s_xor_b32 exec_lo, exec_lo, s22
	s_cbranch_execnz .LBB6_16961
.LBB6_16250:                            ;   in Loop: Header=BB6_15804 Depth=3
	s_or_b32 exec_lo, exec_lo, s22
	s_and_saveexec_b32 s22, s16
	s_cbranch_execz .LBB6_16252
.LBB6_16251:                            ;   in Loop: Header=BB6_15804 Depth=3
	v_and_b32_e32 v19, 0xffff, v7
	v_lshlrev_b32_e32 v7, 24, v7
	v_and_b32_e32 v23, 3, v19
	v_bfe_u32 v50, v19, 2, 5
	v_and_b32_e32 v7, 0x80000000, v7
	v_ffbh_u32_e32 v26, v23
	v_cmp_eq_u32_e32 vcc_lo, 0, v50
	v_min_u32_e32 v26, 32, v26
	v_subrev_nc_u32_e32 v30, 29, v26
	v_sub_nc_u32_e32 v26, 30, v26
	v_lshlrev_b32_e32 v19, v30, v19
	v_cndmask_b32_e32 v26, v50, v26, vcc_lo
	v_and_b32_e32 v19, 3, v19
	v_cndmask_b32_e32 v19, v23, v19, vcc_lo
	v_lshl_add_u32 v23, v26, 23, 0x37800000
	v_lshlrev_b32_e32 v19, 21, v19
	v_or3_b32 v19, v7, v23, v19
.LBB6_16252:                            ;   in Loop: Header=BB6_15804 Depth=3
	s_or_b32 exec_lo, exec_lo, s22
	v_mul_f32_e32 v6, v6, v19
	v_and_b32_e32 v7, 0x7f800000, v6
	v_cmp_ne_u32_e32 vcc_lo, 0x7f800000, v7
	v_mov_b32_e32 v7, 0x80
	s_and_saveexec_b32 s22, vcc_lo
	s_cbranch_execz .LBB6_16260
; %bb.16253:                            ;   in Loop: Header=BB6_15804 Depth=3
	v_mov_b32_e32 v7, 0
	s_mov_b32 s23, exec_lo
	v_cmpx_ne_u32_e32 0, v6
	s_cbranch_execz .LBB6_16259
; %bb.16254:                            ;   in Loop: Header=BB6_15804 Depth=3
	v_bfe_u32 v7, v6, 23, 8
	v_and_b32_e32 v19, 0x7fffff, v6
	v_sub_nc_u32_e32 v23, 0x70, v7
	v_cmp_gt_u32_e32 vcc_lo, 0x71, v7
	v_or_b32_e32 v26, 0x800000, v19
	v_cndmask_b32_e32 v23, 0, v23, vcc_lo
	v_cmp_eq_u32_e32 vcc_lo, 0, v7
	v_add_nc_u32_e32 v7, 0xffffff91, v7
	v_cndmask_b32_e64 v23, v23, 0x6f, vcc_lo
	v_cndmask_b32_e32 v19, v26, v19, vcc_lo
	v_cndmask_b32_e64 v7, v7, 0xffffff92, vcc_lo
	v_lshl_add_u32 v26, 0x200000, v23, -1
	v_lshrrev_b32_e32 v30, v23, v19
	v_lshlrev_b32_e64 v54, v23, 0x100000
	v_add_nc_u32_e32 v23, v23, v7
	v_and_b32_e32 v19, v26, v19
	v_bfe_u32 v50, v30, 21, 1
	v_cmp_eq_u32_e64 s16, v19, v54
	v_add_nc_u32_e32 v26, -1, v50
	v_cndmask_b32_e64 v19, 0, v26, s16
	v_lshrrev_b32_e32 v26, 23, v30
	s_mov_b32 s16, exec_lo
	v_add_nc_u32_e32 v19, v19, v30
	v_xor_b32_e32 v26, 1, v26
	v_and_b32_e32 v7, 0x1fffff, v19
	v_add_nc_u32_e32 v19, v7, v30
                                        ; implicit-def: $vgpr7
	v_cmpx_ne_u32_e64 v23, v26
	s_xor_b32 s16, exec_lo, s16
; %bb.16255:                            ;   in Loop: Header=BB6_15804 Depth=3
	v_cmp_lt_u32_e32 vcc_lo, 0xffffff, v19
	v_sub_nc_u32_e32 v7, v23, v26
	v_cndmask_b32_e64 v23, 0, 1, vcc_lo
	v_add_co_ci_u32_e64 v7, null, 0, v7, vcc_lo
	v_lshrrev_b32_e32 v19, v23, v19
; %bb.16256:                            ;   in Loop: Header=BB6_15804 Depth=3
	s_andn2_saveexec_b32 s16, s16
; %bb.16257:                            ;   in Loop: Header=BB6_15804 Depth=3
	v_bfe_u32 v7, v19, 23, 1
; %bb.16258:                            ;   in Loop: Header=BB6_15804 Depth=3
	s_or_b32 exec_lo, exec_lo, s16
	v_lshrrev_b32_e32 v19, 21, v19
	v_cmp_gt_i32_e32 vcc_lo, 32, v7
	v_min_i32_e32 v23, 31, v7
	v_and_b32_sdwa v6, v6, v117 dst_sel:DWORD dst_unused:UNUSED_PAD src0_sel:BYTE_3 src1_sel:DWORD
	v_cndmask_b32_e32 v19, 3, v19, vcc_lo
	v_lshlrev_b32_e32 v23, 2, v23
	v_and_b32_e32 v26, 3, v19
	v_or_b32_e32 v7, v7, v19
	v_or3_b32 v6, v23, v6, v26
	v_cmp_ne_u32_e32 vcc_lo, 0, v7
	v_cndmask_b32_e32 v7, 0, v6, vcc_lo
.LBB6_16259:                            ;   in Loop: Header=BB6_15804 Depth=3
	s_or_b32 exec_lo, exec_lo, s23
.LBB6_16260:                            ;   in Loop: Header=BB6_15804 Depth=3
	s_or_b32 exec_lo, exec_lo, s22
	s_clause 0x1f
	flat_load_ubyte v75, v[10:11] slc
	flat_load_ubyte v74, v[10:11] offset:32 slc
	flat_load_ubyte v73, v[10:11] offset:64 slc
	;; [unrolled: 1-line block ×31, first 2 shown]
	v_cmp_gt_i16_sdwa s16, v18, v116 src0_sel:BYTE_0 src1_sel:DWORD
	s_mov_b32 s22, 0
	s_and_saveexec_b32 s23, s16
	s_xor_b32 s16, exec_lo, s23
	s_cbranch_execz .LBB6_16962
; %bb.16261:                            ;   in Loop: Header=BB6_15804 Depth=3
	v_cmp_eq_u16_sdwa s72, v18, v117 src0_sel:BYTE_0 src1_sel:DWORD
	s_mov_b32 s22, -1
	s_and_saveexec_b32 s23, s72
; %bb.16262:                            ;   in Loop: Header=BB6_15804 Depth=3
	s_xor_b32 s22, exec_lo, -1
; %bb.16263:                            ;   in Loop: Header=BB6_15804 Depth=3
	s_or_b32 exec_lo, exec_lo, s23
	s_and_b32 s22, s22, exec_lo
	s_or_saveexec_b32 s16, s16
	v_mov_b32_e32 v76, 0x7f800001
	s_xor_b32 exec_lo, exec_lo, s16
	s_cbranch_execnz .LBB6_16963
.LBB6_16264:                            ;   in Loop: Header=BB6_15804 Depth=3
	s_or_b32 exec_lo, exec_lo, s16
	s_and_saveexec_b32 s16, s22
	s_cbranch_execz .LBB6_16266
.LBB6_16265:                            ;   in Loop: Header=BB6_15804 Depth=3
	v_and_b32_e32 v76, 3, v18
	v_lshrrev_b16 v78, 2, v18
	v_ffbh_u32_e32 v77, v76
	v_and_b32_e32 v78, 31, v78
	v_min_u32_e32 v77, 32, v77
	v_cmp_eq_u32_e32 vcc_lo, 0, v78
	v_subrev_nc_u32_e32 v79, 29, v77
	v_sub_nc_u32_e32 v77, 30, v77
	v_lshlrev_b32_e32 v79, v79, v18
	v_lshlrev_b32_e32 v18, 24, v18
	v_cndmask_b32_e32 v77, v78, v77, vcc_lo
	v_and_b32_e32 v79, 3, v79
	v_and_b32_e32 v18, 0x80000000, v18
	v_lshl_add_u32 v77, v77, 23, 0x37800000
	v_cndmask_b32_e32 v76, v76, v79, vcc_lo
	v_lshlrev_b32_e32 v76, 21, v76
	v_or3_b32 v76, v18, v77, v76
.LBB6_16266:                            ;   in Loop: Header=BB6_15804 Depth=3
	s_or_b32 exec_lo, exec_lo, s16
	s_waitcnt vmcnt(31) lgkmcnt(31)
	v_cmp_gt_i16_sdwa s16, v75, v116 src0_sel:BYTE_0 src1_sel:DWORD
	s_mov_b32 s22, 0
	s_and_saveexec_b32 s23, s16
	s_xor_b32 s16, exec_lo, s23
	s_cbranch_execz .LBB6_16964
; %bb.16267:                            ;   in Loop: Header=BB6_15804 Depth=3
	v_cmp_eq_u16_sdwa s72, v75, v117 src0_sel:BYTE_0 src1_sel:DWORD
	s_mov_b32 s22, -1
	s_and_saveexec_b32 s23, s72
; %bb.16268:                            ;   in Loop: Header=BB6_15804 Depth=3
	s_xor_b32 s22, exec_lo, -1
; %bb.16269:                            ;   in Loop: Header=BB6_15804 Depth=3
	s_or_b32 exec_lo, exec_lo, s23
	s_and_b32 s22, s22, exec_lo
	s_or_saveexec_b32 s16, s16
	v_mov_b32_e32 v18, 0x7f800001
	s_xor_b32 exec_lo, exec_lo, s16
	s_cbranch_execnz .LBB6_16965
.LBB6_16270:                            ;   in Loop: Header=BB6_15804 Depth=3
	s_or_b32 exec_lo, exec_lo, s16
	s_and_saveexec_b32 s16, s22
	s_cbranch_execz .LBB6_16272
.LBB6_16271:                            ;   in Loop: Header=BB6_15804 Depth=3
	v_and_b32_e32 v18, 3, v75
	v_lshrrev_b16 v78, 2, v75
	v_ffbh_u32_e32 v77, v18
	v_and_b32_e32 v78, 31, v78
	v_min_u32_e32 v77, 32, v77
	v_cmp_eq_u32_e32 vcc_lo, 0, v78
	v_subrev_nc_u32_e32 v79, 29, v77
	v_sub_nc_u32_e32 v77, 30, v77
	v_lshlrev_b32_e32 v79, v79, v75
	v_lshlrev_b32_e32 v75, 24, v75
	v_cndmask_b32_e32 v77, v78, v77, vcc_lo
	v_and_b32_e32 v79, 3, v79
	v_and_b32_e32 v75, 0x80000000, v75
	v_lshl_add_u32 v77, v77, 23, 0x37800000
	v_cndmask_b32_e32 v18, v18, v79, vcc_lo
	v_lshlrev_b32_e32 v18, 21, v18
	v_or3_b32 v18, v75, v77, v18
.LBB6_16272:                            ;   in Loop: Header=BB6_15804 Depth=3
	s_or_b32 exec_lo, exec_lo, s16
	v_add_f32_e32 v75, v76, v18
	v_and_b32_e32 v18, 0x7f800000, v75
	v_cmp_ne_u32_e32 vcc_lo, 0x7f800000, v18
	v_mov_b32_e32 v18, 0x80
	s_and_saveexec_b32 s22, vcc_lo
	s_cbranch_execz .LBB6_16280
; %bb.16273:                            ;   in Loop: Header=BB6_15804 Depth=3
	v_mov_b32_e32 v18, 0
	s_mov_b32 s23, exec_lo
	v_cmpx_ne_u32_e32 0, v75
	s_cbranch_execz .LBB6_16279
; %bb.16274:                            ;   in Loop: Header=BB6_15804 Depth=3
	v_bfe_u32 v76, v75, 23, 8
	v_and_b32_e32 v18, 0x7fffff, v75
	v_cmp_gt_u32_e64 s16, 0x71, v76
	v_sub_nc_u32_e32 v77, 0x70, v76
	v_cmp_eq_u32_e32 vcc_lo, 0, v76
	v_or_b32_e32 v78, 0x800000, v18
	v_cndmask_b32_e64 v77, 0, v77, s16
	v_cndmask_b32_e32 v18, v78, v18, vcc_lo
	v_cndmask_b32_e64 v77, v77, 0x6f, vcc_lo
	v_lshl_add_u32 v78, 0x200000, v77, -1
	v_lshlrev_b32_e64 v79, v77, 0x100000
	v_and_b32_e32 v78, v78, v18
	v_cmp_eq_u32_e64 s16, v78, v79
	v_lshrrev_b32_e32 v78, v77, v18
	v_add_nc_u32_e32 v18, 0xffffff91, v76
	v_lshrrev_b32_e32 v76, 23, v78
	v_cndmask_b32_e64 v18, v18, 0xffffff92, vcc_lo
	v_xor_b32_e32 v76, 1, v76
	v_add_nc_u32_e32 v18, v77, v18
	v_bfe_u32 v77, v78, 21, 1
	v_add_nc_u32_e32 v77, -1, v77
	v_cndmask_b32_e64 v77, 0, v77, s16
	s_mov_b32 s16, exec_lo
	v_add_nc_u32_e32 v77, v77, v78
	v_and_b32_e32 v77, 0x1fffff, v77
	v_add_nc_u32_e32 v77, v77, v78
                                        ; implicit-def: $vgpr78
	v_cmpx_ne_u32_e64 v18, v76
	s_xor_b32 s16, exec_lo, s16
; %bb.16275:                            ;   in Loop: Header=BB6_15804 Depth=3
	v_cmp_lt_u32_e32 vcc_lo, 0xffffff, v77
	v_sub_nc_u32_e32 v18, v18, v76
	v_cndmask_b32_e64 v76, 0, 1, vcc_lo
	v_add_co_ci_u32_e64 v78, null, 0, v18, vcc_lo
	v_lshrrev_b32_e32 v77, v76, v77
; %bb.16276:                            ;   in Loop: Header=BB6_15804 Depth=3
	s_andn2_saveexec_b32 s16, s16
; %bb.16277:                            ;   in Loop: Header=BB6_15804 Depth=3
	v_bfe_u32 v78, v77, 23, 1
; %bb.16278:                            ;   in Loop: Header=BB6_15804 Depth=3
	s_or_b32 exec_lo, exec_lo, s16
	v_and_b32_sdwa v18, v75, v117 dst_sel:DWORD dst_unused:UNUSED_PAD src0_sel:BYTE_3 src1_sel:DWORD
	v_lshrrev_b32_e32 v75, 21, v77
	v_cmp_gt_i32_e32 vcc_lo, 32, v78
	v_min_i32_e32 v76, 31, v78
	v_cndmask_b32_e32 v75, 3, v75, vcc_lo
	v_lshlrev_b32_e32 v76, 2, v76
	v_or_b32_e32 v77, v78, v75
	v_and_b32_e32 v75, 3, v75
	v_cmp_ne_u32_e32 vcc_lo, 0, v77
	v_or3_b32 v18, v76, v18, v75
	v_cndmask_b32_e32 v18, 0, v18, vcc_lo
.LBB6_16279:                            ;   in Loop: Header=BB6_15804 Depth=3
	s_or_b32 exec_lo, exec_lo, s23
.LBB6_16280:                            ;   in Loop: Header=BB6_15804 Depth=3
	s_or_b32 exec_lo, exec_lo, s22
	v_cmp_gt_i16_sdwa s16, v22, v116 src0_sel:BYTE_0 src1_sel:DWORD
	s_mov_b32 s22, 0
	s_and_saveexec_b32 s23, s16
	s_xor_b32 s16, exec_lo, s23
	s_cbranch_execz .LBB6_16966
; %bb.16281:                            ;   in Loop: Header=BB6_15804 Depth=3
	v_cmp_eq_u16_sdwa s72, v22, v117 src0_sel:BYTE_0 src1_sel:DWORD
	s_mov_b32 s22, -1
	s_and_saveexec_b32 s23, s72
; %bb.16282:                            ;   in Loop: Header=BB6_15804 Depth=3
	s_xor_b32 s22, exec_lo, -1
; %bb.16283:                            ;   in Loop: Header=BB6_15804 Depth=3
	s_or_b32 exec_lo, exec_lo, s23
	s_and_b32 s22, s22, exec_lo
	s_or_saveexec_b32 s16, s16
	v_mov_b32_e32 v75, 0x7f800001
	s_xor_b32 exec_lo, exec_lo, s16
	s_cbranch_execnz .LBB6_16967
.LBB6_16284:                            ;   in Loop: Header=BB6_15804 Depth=3
	s_or_b32 exec_lo, exec_lo, s16
	s_and_saveexec_b32 s16, s22
	s_cbranch_execz .LBB6_16286
.LBB6_16285:                            ;   in Loop: Header=BB6_15804 Depth=3
	v_and_b32_e32 v75, 3, v22
	v_lshrrev_b16 v77, 2, v22
	v_ffbh_u32_e32 v76, v75
	v_and_b32_e32 v77, 31, v77
	v_min_u32_e32 v76, 32, v76
	v_cmp_eq_u32_e32 vcc_lo, 0, v77
	v_subrev_nc_u32_e32 v78, 29, v76
	v_sub_nc_u32_e32 v76, 30, v76
	v_lshlrev_b32_e32 v78, v78, v22
	v_lshlrev_b32_e32 v22, 24, v22
	v_cndmask_b32_e32 v76, v77, v76, vcc_lo
	v_and_b32_e32 v78, 3, v78
	v_and_b32_e32 v22, 0x80000000, v22
	v_lshl_add_u32 v76, v76, 23, 0x37800000
	v_cndmask_b32_e32 v75, v75, v78, vcc_lo
	v_lshlrev_b32_e32 v75, 21, v75
	v_or3_b32 v75, v22, v76, v75
.LBB6_16286:                            ;   in Loop: Header=BB6_15804 Depth=3
	s_or_b32 exec_lo, exec_lo, s16
	s_waitcnt vmcnt(30) lgkmcnt(30)
	v_cmp_gt_i16_sdwa s22, v74, v116 src0_sel:BYTE_0 src1_sel:DWORD
	s_mov_b32 s16, 0
	s_and_saveexec_b32 s23, s22
	s_xor_b32 s22, exec_lo, s23
	s_cbranch_execz .LBB6_16968
; %bb.16287:                            ;   in Loop: Header=BB6_15804 Depth=3
	v_cmp_eq_u16_sdwa s72, v74, v117 src0_sel:BYTE_0 src1_sel:DWORD
	s_mov_b32 s16, -1
	s_and_saveexec_b32 s23, s72
; %bb.16288:                            ;   in Loop: Header=BB6_15804 Depth=3
	s_xor_b32 s16, exec_lo, -1
; %bb.16289:                            ;   in Loop: Header=BB6_15804 Depth=3
	s_or_b32 exec_lo, exec_lo, s23
	s_and_b32 s16, s16, exec_lo
	s_or_saveexec_b32 s22, s22
	v_mov_b32_e32 v22, 0x7f800001
	s_xor_b32 exec_lo, exec_lo, s22
	s_cbranch_execnz .LBB6_16969
.LBB6_16290:                            ;   in Loop: Header=BB6_15804 Depth=3
	s_or_b32 exec_lo, exec_lo, s22
	s_and_saveexec_b32 s22, s16
	s_cbranch_execz .LBB6_16292
.LBB6_16291:                            ;   in Loop: Header=BB6_15804 Depth=3
	v_and_b32_e32 v22, 3, v74
	v_lshrrev_b16 v77, 2, v74
	v_ffbh_u32_e32 v76, v22
	v_and_b32_e32 v77, 31, v77
	v_min_u32_e32 v76, 32, v76
	v_cmp_eq_u32_e32 vcc_lo, 0, v77
	v_subrev_nc_u32_e32 v78, 29, v76
	v_sub_nc_u32_e32 v76, 30, v76
	v_lshlrev_b32_e32 v78, v78, v74
	v_lshlrev_b32_e32 v74, 24, v74
	v_cndmask_b32_e32 v76, v77, v76, vcc_lo
	v_and_b32_e32 v78, 3, v78
	v_and_b32_e32 v74, 0x80000000, v74
	v_lshl_add_u32 v76, v76, 23, 0x37800000
	v_cndmask_b32_e32 v22, v22, v78, vcc_lo
	v_lshlrev_b32_e32 v22, 21, v22
	v_or3_b32 v22, v74, v76, v22
.LBB6_16292:                            ;   in Loop: Header=BB6_15804 Depth=3
	s_or_b32 exec_lo, exec_lo, s22
	v_add_f32_e32 v74, v75, v22
	v_and_b32_e32 v22, 0x7f800000, v74
	v_cmp_ne_u32_e32 vcc_lo, 0x7f800000, v22
	v_mov_b32_e32 v22, 0x80
	s_and_saveexec_b32 s22, vcc_lo
	s_cbranch_execz .LBB6_16300
; %bb.16293:                            ;   in Loop: Header=BB6_15804 Depth=3
	v_mov_b32_e32 v22, 0
	s_mov_b32 s23, exec_lo
	v_cmpx_ne_u32_e32 0, v74
	s_cbranch_execz .LBB6_16299
; %bb.16294:                            ;   in Loop: Header=BB6_15804 Depth=3
	v_bfe_u32 v75, v74, 23, 8
	v_and_b32_e32 v22, 0x7fffff, v74
	v_cmp_gt_u32_e64 s16, 0x71, v75
	v_sub_nc_u32_e32 v76, 0x70, v75
	v_cmp_eq_u32_e32 vcc_lo, 0, v75
	v_or_b32_e32 v77, 0x800000, v22
	v_cndmask_b32_e64 v76, 0, v76, s16
	v_cndmask_b32_e32 v22, v77, v22, vcc_lo
	v_cndmask_b32_e64 v76, v76, 0x6f, vcc_lo
	v_lshl_add_u32 v77, 0x200000, v76, -1
	v_lshlrev_b32_e64 v78, v76, 0x100000
	v_and_b32_e32 v77, v77, v22
	v_cmp_eq_u32_e64 s16, v77, v78
	v_lshrrev_b32_e32 v77, v76, v22
	v_add_nc_u32_e32 v22, 0xffffff91, v75
	v_lshrrev_b32_e32 v75, 23, v77
	v_cndmask_b32_e64 v22, v22, 0xffffff92, vcc_lo
	v_xor_b32_e32 v75, 1, v75
	v_add_nc_u32_e32 v22, v76, v22
	v_bfe_u32 v76, v77, 21, 1
	v_add_nc_u32_e32 v76, -1, v76
	v_cndmask_b32_e64 v76, 0, v76, s16
	s_mov_b32 s16, exec_lo
	v_add_nc_u32_e32 v76, v76, v77
	v_and_b32_e32 v76, 0x1fffff, v76
	v_add_nc_u32_e32 v76, v76, v77
                                        ; implicit-def: $vgpr77
	v_cmpx_ne_u32_e64 v22, v75
	s_xor_b32 s16, exec_lo, s16
; %bb.16295:                            ;   in Loop: Header=BB6_15804 Depth=3
	v_cmp_lt_u32_e32 vcc_lo, 0xffffff, v76
	v_sub_nc_u32_e32 v22, v22, v75
	v_cndmask_b32_e64 v75, 0, 1, vcc_lo
	v_add_co_ci_u32_e64 v77, null, 0, v22, vcc_lo
	v_lshrrev_b32_e32 v76, v75, v76
; %bb.16296:                            ;   in Loop: Header=BB6_15804 Depth=3
	s_andn2_saveexec_b32 s16, s16
; %bb.16297:                            ;   in Loop: Header=BB6_15804 Depth=3
	v_bfe_u32 v77, v76, 23, 1
; %bb.16298:                            ;   in Loop: Header=BB6_15804 Depth=3
	s_or_b32 exec_lo, exec_lo, s16
	v_and_b32_sdwa v22, v74, v117 dst_sel:DWORD dst_unused:UNUSED_PAD src0_sel:BYTE_3 src1_sel:DWORD
	v_lshrrev_b32_e32 v74, 21, v76
	v_cmp_gt_i32_e32 vcc_lo, 32, v77
	v_min_i32_e32 v75, 31, v77
	v_cndmask_b32_e32 v74, 3, v74, vcc_lo
	v_lshlrev_b32_e32 v75, 2, v75
	v_or_b32_e32 v76, v77, v74
	v_and_b32_e32 v74, 3, v74
	v_cmp_ne_u32_e32 vcc_lo, 0, v76
	v_or3_b32 v22, v75, v22, v74
	v_cndmask_b32_e32 v22, 0, v22, vcc_lo
.LBB6_16299:                            ;   in Loop: Header=BB6_15804 Depth=3
	s_or_b32 exec_lo, exec_lo, s23
.LBB6_16300:                            ;   in Loop: Header=BB6_15804 Depth=3
	s_or_b32 exec_lo, exec_lo, s22
	v_cmp_gt_i16_sdwa s16, v27, v116 src0_sel:BYTE_0 src1_sel:DWORD
	s_mov_b32 s22, 0
	s_and_saveexec_b32 s23, s16
	s_xor_b32 s16, exec_lo, s23
	s_cbranch_execz .LBB6_16970
; %bb.16301:                            ;   in Loop: Header=BB6_15804 Depth=3
	v_cmp_eq_u16_sdwa s72, v27, v117 src0_sel:BYTE_0 src1_sel:DWORD
	s_mov_b32 s22, -1
	s_and_saveexec_b32 s23, s72
; %bb.16302:                            ;   in Loop: Header=BB6_15804 Depth=3
	s_xor_b32 s22, exec_lo, -1
; %bb.16303:                            ;   in Loop: Header=BB6_15804 Depth=3
	s_or_b32 exec_lo, exec_lo, s23
	s_and_b32 s22, s22, exec_lo
	s_or_saveexec_b32 s16, s16
	v_mov_b32_e32 v74, 0x7f800001
	s_xor_b32 exec_lo, exec_lo, s16
	s_cbranch_execnz .LBB6_16971
.LBB6_16304:                            ;   in Loop: Header=BB6_15804 Depth=3
	s_or_b32 exec_lo, exec_lo, s16
	s_and_saveexec_b32 s16, s22
	s_cbranch_execz .LBB6_16306
.LBB6_16305:                            ;   in Loop: Header=BB6_15804 Depth=3
	v_and_b32_e32 v74, 3, v27
	v_lshrrev_b16 v76, 2, v27
	v_ffbh_u32_e32 v75, v74
	v_and_b32_e32 v76, 31, v76
	v_min_u32_e32 v75, 32, v75
	v_cmp_eq_u32_e32 vcc_lo, 0, v76
	v_subrev_nc_u32_e32 v77, 29, v75
	v_sub_nc_u32_e32 v75, 30, v75
	v_lshlrev_b32_e32 v77, v77, v27
	v_lshlrev_b32_e32 v27, 24, v27
	v_cndmask_b32_e32 v75, v76, v75, vcc_lo
	v_and_b32_e32 v77, 3, v77
	v_and_b32_e32 v27, 0x80000000, v27
	v_lshl_add_u32 v75, v75, 23, 0x37800000
	v_cndmask_b32_e32 v74, v74, v77, vcc_lo
	v_lshlrev_b32_e32 v74, 21, v74
	v_or3_b32 v74, v27, v75, v74
.LBB6_16306:                            ;   in Loop: Header=BB6_15804 Depth=3
	s_or_b32 exec_lo, exec_lo, s16
	s_waitcnt vmcnt(29) lgkmcnt(29)
	v_cmp_gt_i16_sdwa s22, v73, v116 src0_sel:BYTE_0 src1_sel:DWORD
	s_mov_b32 s16, 0
	s_and_saveexec_b32 s23, s22
	s_xor_b32 s22, exec_lo, s23
	s_cbranch_execz .LBB6_16972
; %bb.16307:                            ;   in Loop: Header=BB6_15804 Depth=3
	v_cmp_eq_u16_sdwa s72, v73, v117 src0_sel:BYTE_0 src1_sel:DWORD
	s_mov_b32 s16, -1
	s_and_saveexec_b32 s23, s72
; %bb.16308:                            ;   in Loop: Header=BB6_15804 Depth=3
	s_xor_b32 s16, exec_lo, -1
; %bb.16309:                            ;   in Loop: Header=BB6_15804 Depth=3
	s_or_b32 exec_lo, exec_lo, s23
	s_and_b32 s16, s16, exec_lo
	s_or_saveexec_b32 s22, s22
	v_mov_b32_e32 v27, 0x7f800001
	s_xor_b32 exec_lo, exec_lo, s22
	s_cbranch_execnz .LBB6_16973
.LBB6_16310:                            ;   in Loop: Header=BB6_15804 Depth=3
	s_or_b32 exec_lo, exec_lo, s22
	s_and_saveexec_b32 s22, s16
	s_cbranch_execz .LBB6_16312
.LBB6_16311:                            ;   in Loop: Header=BB6_15804 Depth=3
	v_and_b32_e32 v27, 3, v73
	v_lshrrev_b16 v76, 2, v73
	v_ffbh_u32_e32 v75, v27
	v_and_b32_e32 v76, 31, v76
	v_min_u32_e32 v75, 32, v75
	v_cmp_eq_u32_e32 vcc_lo, 0, v76
	v_subrev_nc_u32_e32 v77, 29, v75
	v_sub_nc_u32_e32 v75, 30, v75
	v_lshlrev_b32_e32 v77, v77, v73
	v_lshlrev_b32_e32 v73, 24, v73
	v_cndmask_b32_e32 v75, v76, v75, vcc_lo
	v_and_b32_e32 v77, 3, v77
	v_and_b32_e32 v73, 0x80000000, v73
	v_lshl_add_u32 v75, v75, 23, 0x37800000
	v_cndmask_b32_e32 v27, v27, v77, vcc_lo
	v_lshlrev_b32_e32 v27, 21, v27
	v_or3_b32 v27, v73, v75, v27
.LBB6_16312:                            ;   in Loop: Header=BB6_15804 Depth=3
	s_or_b32 exec_lo, exec_lo, s22
	v_add_f32_e32 v73, v74, v27
	v_and_b32_e32 v27, 0x7f800000, v73
	v_cmp_ne_u32_e32 vcc_lo, 0x7f800000, v27
	v_mov_b32_e32 v27, 0x80
	s_and_saveexec_b32 s22, vcc_lo
	s_cbranch_execz .LBB6_16320
; %bb.16313:                            ;   in Loop: Header=BB6_15804 Depth=3
	v_mov_b32_e32 v27, 0
	s_mov_b32 s23, exec_lo
	v_cmpx_ne_u32_e32 0, v73
	s_cbranch_execz .LBB6_16319
; %bb.16314:                            ;   in Loop: Header=BB6_15804 Depth=3
	v_bfe_u32 v74, v73, 23, 8
	v_and_b32_e32 v27, 0x7fffff, v73
	v_cmp_gt_u32_e64 s16, 0x71, v74
	v_sub_nc_u32_e32 v75, 0x70, v74
	v_cmp_eq_u32_e32 vcc_lo, 0, v74
	v_or_b32_e32 v76, 0x800000, v27
	v_cndmask_b32_e64 v75, 0, v75, s16
	v_cndmask_b32_e32 v27, v76, v27, vcc_lo
	v_cndmask_b32_e64 v75, v75, 0x6f, vcc_lo
	v_lshl_add_u32 v76, 0x200000, v75, -1
	v_lshlrev_b32_e64 v77, v75, 0x100000
	v_and_b32_e32 v76, v76, v27
	v_cmp_eq_u32_e64 s16, v76, v77
	v_lshrrev_b32_e32 v76, v75, v27
	v_add_nc_u32_e32 v27, 0xffffff91, v74
	v_lshrrev_b32_e32 v74, 23, v76
	v_cndmask_b32_e64 v27, v27, 0xffffff92, vcc_lo
	v_xor_b32_e32 v74, 1, v74
	v_add_nc_u32_e32 v27, v75, v27
	v_bfe_u32 v75, v76, 21, 1
	v_add_nc_u32_e32 v75, -1, v75
	v_cndmask_b32_e64 v75, 0, v75, s16
	s_mov_b32 s16, exec_lo
	v_add_nc_u32_e32 v75, v75, v76
	v_and_b32_e32 v75, 0x1fffff, v75
	v_add_nc_u32_e32 v75, v75, v76
                                        ; implicit-def: $vgpr76
	v_cmpx_ne_u32_e64 v27, v74
	s_xor_b32 s16, exec_lo, s16
; %bb.16315:                            ;   in Loop: Header=BB6_15804 Depth=3
	v_cmp_lt_u32_e32 vcc_lo, 0xffffff, v75
	v_sub_nc_u32_e32 v27, v27, v74
	v_cndmask_b32_e64 v74, 0, 1, vcc_lo
	v_add_co_ci_u32_e64 v76, null, 0, v27, vcc_lo
	v_lshrrev_b32_e32 v75, v74, v75
; %bb.16316:                            ;   in Loop: Header=BB6_15804 Depth=3
	s_andn2_saveexec_b32 s16, s16
; %bb.16317:                            ;   in Loop: Header=BB6_15804 Depth=3
	v_bfe_u32 v76, v75, 23, 1
; %bb.16318:                            ;   in Loop: Header=BB6_15804 Depth=3
	s_or_b32 exec_lo, exec_lo, s16
	v_and_b32_sdwa v27, v73, v117 dst_sel:DWORD dst_unused:UNUSED_PAD src0_sel:BYTE_3 src1_sel:DWORD
	v_lshrrev_b32_e32 v73, 21, v75
	v_cmp_gt_i32_e32 vcc_lo, 32, v76
	v_min_i32_e32 v74, 31, v76
	v_cndmask_b32_e32 v73, 3, v73, vcc_lo
	v_lshlrev_b32_e32 v74, 2, v74
	v_or_b32_e32 v75, v76, v73
	v_and_b32_e32 v73, 3, v73
	v_cmp_ne_u32_e32 vcc_lo, 0, v75
	v_or3_b32 v27, v74, v27, v73
	v_cndmask_b32_e32 v27, 0, v27, vcc_lo
.LBB6_16319:                            ;   in Loop: Header=BB6_15804 Depth=3
	s_or_b32 exec_lo, exec_lo, s23
.LBB6_16320:                            ;   in Loop: Header=BB6_15804 Depth=3
	s_or_b32 exec_lo, exec_lo, s22
	v_cmp_gt_i16_sdwa s16, v31, v116 src0_sel:BYTE_0 src1_sel:DWORD
	s_mov_b32 s22, 0
	s_and_saveexec_b32 s23, s16
	s_xor_b32 s16, exec_lo, s23
	s_cbranch_execz .LBB6_16974
; %bb.16321:                            ;   in Loop: Header=BB6_15804 Depth=3
	v_cmp_eq_u16_sdwa s72, v31, v117 src0_sel:BYTE_0 src1_sel:DWORD
	s_mov_b32 s22, -1
	s_and_saveexec_b32 s23, s72
; %bb.16322:                            ;   in Loop: Header=BB6_15804 Depth=3
	s_xor_b32 s22, exec_lo, -1
; %bb.16323:                            ;   in Loop: Header=BB6_15804 Depth=3
	s_or_b32 exec_lo, exec_lo, s23
	s_and_b32 s22, s22, exec_lo
	s_or_saveexec_b32 s16, s16
	v_mov_b32_e32 v73, 0x7f800001
	s_xor_b32 exec_lo, exec_lo, s16
	s_cbranch_execnz .LBB6_16975
.LBB6_16324:                            ;   in Loop: Header=BB6_15804 Depth=3
	s_or_b32 exec_lo, exec_lo, s16
	s_and_saveexec_b32 s16, s22
	s_cbranch_execz .LBB6_16326
.LBB6_16325:                            ;   in Loop: Header=BB6_15804 Depth=3
	v_and_b32_e32 v73, 3, v31
	v_lshrrev_b16 v75, 2, v31
	v_ffbh_u32_e32 v74, v73
	v_and_b32_e32 v75, 31, v75
	v_min_u32_e32 v74, 32, v74
	v_cmp_eq_u32_e32 vcc_lo, 0, v75
	v_subrev_nc_u32_e32 v76, 29, v74
	v_sub_nc_u32_e32 v74, 30, v74
	v_lshlrev_b32_e32 v76, v76, v31
	v_lshlrev_b32_e32 v31, 24, v31
	v_cndmask_b32_e32 v74, v75, v74, vcc_lo
	v_and_b32_e32 v76, 3, v76
	v_and_b32_e32 v31, 0x80000000, v31
	v_lshl_add_u32 v74, v74, 23, 0x37800000
	v_cndmask_b32_e32 v73, v73, v76, vcc_lo
	v_lshlrev_b32_e32 v73, 21, v73
	v_or3_b32 v73, v31, v74, v73
.LBB6_16326:                            ;   in Loop: Header=BB6_15804 Depth=3
	s_or_b32 exec_lo, exec_lo, s16
	s_waitcnt vmcnt(28) lgkmcnt(28)
	v_cmp_gt_i16_sdwa s22, v72, v116 src0_sel:BYTE_0 src1_sel:DWORD
	s_mov_b32 s16, 0
	s_and_saveexec_b32 s23, s22
	s_xor_b32 s22, exec_lo, s23
	s_cbranch_execz .LBB6_16976
; %bb.16327:                            ;   in Loop: Header=BB6_15804 Depth=3
	v_cmp_eq_u16_sdwa s72, v72, v117 src0_sel:BYTE_0 src1_sel:DWORD
	s_mov_b32 s16, -1
	s_and_saveexec_b32 s23, s72
; %bb.16328:                            ;   in Loop: Header=BB6_15804 Depth=3
	s_xor_b32 s16, exec_lo, -1
; %bb.16329:                            ;   in Loop: Header=BB6_15804 Depth=3
	s_or_b32 exec_lo, exec_lo, s23
	s_and_b32 s16, s16, exec_lo
	s_or_saveexec_b32 s22, s22
	v_mov_b32_e32 v31, 0x7f800001
	s_xor_b32 exec_lo, exec_lo, s22
	s_cbranch_execnz .LBB6_16977
.LBB6_16330:                            ;   in Loop: Header=BB6_15804 Depth=3
	s_or_b32 exec_lo, exec_lo, s22
	s_and_saveexec_b32 s22, s16
	s_cbranch_execz .LBB6_16332
.LBB6_16331:                            ;   in Loop: Header=BB6_15804 Depth=3
	v_and_b32_e32 v31, 3, v72
	v_lshrrev_b16 v75, 2, v72
	v_ffbh_u32_e32 v74, v31
	v_and_b32_e32 v75, 31, v75
	v_min_u32_e32 v74, 32, v74
	v_cmp_eq_u32_e32 vcc_lo, 0, v75
	v_subrev_nc_u32_e32 v76, 29, v74
	v_sub_nc_u32_e32 v74, 30, v74
	v_lshlrev_b32_e32 v76, v76, v72
	v_lshlrev_b32_e32 v72, 24, v72
	v_cndmask_b32_e32 v74, v75, v74, vcc_lo
	v_and_b32_e32 v76, 3, v76
	v_and_b32_e32 v72, 0x80000000, v72
	v_lshl_add_u32 v74, v74, 23, 0x37800000
	v_cndmask_b32_e32 v31, v31, v76, vcc_lo
	v_lshlrev_b32_e32 v31, 21, v31
	v_or3_b32 v31, v72, v74, v31
.LBB6_16332:                            ;   in Loop: Header=BB6_15804 Depth=3
	s_or_b32 exec_lo, exec_lo, s22
	v_add_f32_e32 v72, v73, v31
	v_and_b32_e32 v31, 0x7f800000, v72
	v_cmp_ne_u32_e32 vcc_lo, 0x7f800000, v31
	v_mov_b32_e32 v31, 0x80
	s_and_saveexec_b32 s22, vcc_lo
	s_cbranch_execz .LBB6_16340
; %bb.16333:                            ;   in Loop: Header=BB6_15804 Depth=3
	v_mov_b32_e32 v31, 0
	s_mov_b32 s23, exec_lo
	v_cmpx_ne_u32_e32 0, v72
	s_cbranch_execz .LBB6_16339
; %bb.16334:                            ;   in Loop: Header=BB6_15804 Depth=3
	v_bfe_u32 v73, v72, 23, 8
	v_and_b32_e32 v31, 0x7fffff, v72
	v_cmp_gt_u32_e64 s16, 0x71, v73
	v_sub_nc_u32_e32 v74, 0x70, v73
	v_cmp_eq_u32_e32 vcc_lo, 0, v73
	v_or_b32_e32 v75, 0x800000, v31
	v_cndmask_b32_e64 v74, 0, v74, s16
	v_cndmask_b32_e32 v31, v75, v31, vcc_lo
	v_cndmask_b32_e64 v74, v74, 0x6f, vcc_lo
	v_lshl_add_u32 v75, 0x200000, v74, -1
	v_lshlrev_b32_e64 v76, v74, 0x100000
	v_and_b32_e32 v75, v75, v31
	v_cmp_eq_u32_e64 s16, v75, v76
	v_lshrrev_b32_e32 v75, v74, v31
	v_add_nc_u32_e32 v31, 0xffffff91, v73
	v_lshrrev_b32_e32 v73, 23, v75
	v_cndmask_b32_e64 v31, v31, 0xffffff92, vcc_lo
	v_xor_b32_e32 v73, 1, v73
	v_add_nc_u32_e32 v31, v74, v31
	v_bfe_u32 v74, v75, 21, 1
	v_add_nc_u32_e32 v74, -1, v74
	v_cndmask_b32_e64 v74, 0, v74, s16
	s_mov_b32 s16, exec_lo
	v_add_nc_u32_e32 v74, v74, v75
	v_and_b32_e32 v74, 0x1fffff, v74
	v_add_nc_u32_e32 v74, v74, v75
                                        ; implicit-def: $vgpr75
	v_cmpx_ne_u32_e64 v31, v73
	s_xor_b32 s16, exec_lo, s16
; %bb.16335:                            ;   in Loop: Header=BB6_15804 Depth=3
	v_cmp_lt_u32_e32 vcc_lo, 0xffffff, v74
	v_sub_nc_u32_e32 v31, v31, v73
	v_cndmask_b32_e64 v73, 0, 1, vcc_lo
	v_add_co_ci_u32_e64 v75, null, 0, v31, vcc_lo
	v_lshrrev_b32_e32 v74, v73, v74
; %bb.16336:                            ;   in Loop: Header=BB6_15804 Depth=3
	s_andn2_saveexec_b32 s16, s16
; %bb.16337:                            ;   in Loop: Header=BB6_15804 Depth=3
	v_bfe_u32 v75, v74, 23, 1
; %bb.16338:                            ;   in Loop: Header=BB6_15804 Depth=3
	s_or_b32 exec_lo, exec_lo, s16
	v_and_b32_sdwa v31, v72, v117 dst_sel:DWORD dst_unused:UNUSED_PAD src0_sel:BYTE_3 src1_sel:DWORD
	v_lshrrev_b32_e32 v72, 21, v74
	v_cmp_gt_i32_e32 vcc_lo, 32, v75
	v_min_i32_e32 v73, 31, v75
	v_cndmask_b32_e32 v72, 3, v72, vcc_lo
	v_lshlrev_b32_e32 v73, 2, v73
	v_or_b32_e32 v74, v75, v72
	v_and_b32_e32 v72, 3, v72
	v_cmp_ne_u32_e32 vcc_lo, 0, v74
	v_or3_b32 v31, v73, v31, v72
	v_cndmask_b32_e32 v31, 0, v31, vcc_lo
.LBB6_16339:                            ;   in Loop: Header=BB6_15804 Depth=3
	s_or_b32 exec_lo, exec_lo, s23
.LBB6_16340:                            ;   in Loop: Header=BB6_15804 Depth=3
	s_or_b32 exec_lo, exec_lo, s22
	v_cmp_gt_i16_sdwa s16, v52, v116 src0_sel:BYTE_0 src1_sel:DWORD
	s_mov_b32 s22, 0
	s_and_saveexec_b32 s23, s16
	s_xor_b32 s16, exec_lo, s23
	s_cbranch_execz .LBB6_16978
; %bb.16341:                            ;   in Loop: Header=BB6_15804 Depth=3
	v_cmp_eq_u16_sdwa s72, v52, v117 src0_sel:BYTE_0 src1_sel:DWORD
	s_mov_b32 s22, -1
	s_and_saveexec_b32 s23, s72
; %bb.16342:                            ;   in Loop: Header=BB6_15804 Depth=3
	s_xor_b32 s22, exec_lo, -1
; %bb.16343:                            ;   in Loop: Header=BB6_15804 Depth=3
	s_or_b32 exec_lo, exec_lo, s23
	s_and_b32 s22, s22, exec_lo
	s_or_saveexec_b32 s16, s16
	v_mov_b32_e32 v72, 0x7f800001
	s_xor_b32 exec_lo, exec_lo, s16
	s_cbranch_execnz .LBB6_16979
.LBB6_16344:                            ;   in Loop: Header=BB6_15804 Depth=3
	s_or_b32 exec_lo, exec_lo, s16
	s_and_saveexec_b32 s16, s22
	s_cbranch_execz .LBB6_16346
.LBB6_16345:                            ;   in Loop: Header=BB6_15804 Depth=3
	v_and_b32_e32 v72, 3, v52
	v_lshrrev_b16 v74, 2, v52
	v_ffbh_u32_e32 v73, v72
	v_and_b32_e32 v74, 31, v74
	v_min_u32_e32 v73, 32, v73
	v_cmp_eq_u32_e32 vcc_lo, 0, v74
	v_subrev_nc_u32_e32 v75, 29, v73
	v_sub_nc_u32_e32 v73, 30, v73
	v_lshlrev_b32_e32 v75, v75, v52
	v_lshlrev_b32_e32 v52, 24, v52
	v_cndmask_b32_e32 v73, v74, v73, vcc_lo
	v_and_b32_e32 v75, 3, v75
	v_and_b32_e32 v52, 0x80000000, v52
	v_lshl_add_u32 v73, v73, 23, 0x37800000
	v_cndmask_b32_e32 v72, v72, v75, vcc_lo
	v_lshlrev_b32_e32 v72, 21, v72
	v_or3_b32 v72, v52, v73, v72
.LBB6_16346:                            ;   in Loop: Header=BB6_15804 Depth=3
	s_or_b32 exec_lo, exec_lo, s16
	s_waitcnt vmcnt(27) lgkmcnt(27)
	v_cmp_gt_i16_sdwa s22, v63, v116 src0_sel:BYTE_0 src1_sel:DWORD
	s_mov_b32 s16, 0
	s_and_saveexec_b32 s23, s22
	s_xor_b32 s22, exec_lo, s23
	s_cbranch_execz .LBB6_16980
; %bb.16347:                            ;   in Loop: Header=BB6_15804 Depth=3
	v_cmp_eq_u16_sdwa s72, v63, v117 src0_sel:BYTE_0 src1_sel:DWORD
	s_mov_b32 s16, -1
	s_and_saveexec_b32 s23, s72
; %bb.16348:                            ;   in Loop: Header=BB6_15804 Depth=3
	s_xor_b32 s16, exec_lo, -1
; %bb.16349:                            ;   in Loop: Header=BB6_15804 Depth=3
	s_or_b32 exec_lo, exec_lo, s23
	s_and_b32 s16, s16, exec_lo
	s_or_saveexec_b32 s22, s22
	v_mov_b32_e32 v52, 0x7f800001
	s_xor_b32 exec_lo, exec_lo, s22
	s_cbranch_execnz .LBB6_16981
.LBB6_16350:                            ;   in Loop: Header=BB6_15804 Depth=3
	s_or_b32 exec_lo, exec_lo, s22
	s_and_saveexec_b32 s22, s16
	s_cbranch_execz .LBB6_16352
.LBB6_16351:                            ;   in Loop: Header=BB6_15804 Depth=3
	v_and_b32_e32 v52, 3, v63
	v_lshrrev_b16 v74, 2, v63
	v_ffbh_u32_e32 v73, v52
	v_and_b32_e32 v74, 31, v74
	v_min_u32_e32 v73, 32, v73
	v_cmp_eq_u32_e32 vcc_lo, 0, v74
	v_subrev_nc_u32_e32 v75, 29, v73
	v_sub_nc_u32_e32 v73, 30, v73
	v_lshlrev_b32_e32 v75, v75, v63
	v_lshlrev_b32_e32 v63, 24, v63
	v_cndmask_b32_e32 v73, v74, v73, vcc_lo
	v_and_b32_e32 v75, 3, v75
	v_and_b32_e32 v63, 0x80000000, v63
	v_lshl_add_u32 v73, v73, 23, 0x37800000
	v_cndmask_b32_e32 v52, v52, v75, vcc_lo
	v_lshlrev_b32_e32 v52, 21, v52
	v_or3_b32 v52, v63, v73, v52
.LBB6_16352:                            ;   in Loop: Header=BB6_15804 Depth=3
	s_or_b32 exec_lo, exec_lo, s22
	v_add_f32_e32 v63, v72, v52
	v_and_b32_e32 v52, 0x7f800000, v63
	v_cmp_ne_u32_e32 vcc_lo, 0x7f800000, v52
	v_mov_b32_e32 v52, 0x80
	s_and_saveexec_b32 s22, vcc_lo
	s_cbranch_execz .LBB6_16360
; %bb.16353:                            ;   in Loop: Header=BB6_15804 Depth=3
	v_mov_b32_e32 v52, 0
	s_mov_b32 s23, exec_lo
	v_cmpx_ne_u32_e32 0, v63
	s_cbranch_execz .LBB6_16359
; %bb.16354:                            ;   in Loop: Header=BB6_15804 Depth=3
	v_bfe_u32 v72, v63, 23, 8
	v_and_b32_e32 v52, 0x7fffff, v63
	v_cmp_gt_u32_e64 s16, 0x71, v72
	v_sub_nc_u32_e32 v73, 0x70, v72
	v_cmp_eq_u32_e32 vcc_lo, 0, v72
	v_or_b32_e32 v74, 0x800000, v52
	v_cndmask_b32_e64 v73, 0, v73, s16
	v_cndmask_b32_e32 v52, v74, v52, vcc_lo
	v_cndmask_b32_e64 v73, v73, 0x6f, vcc_lo
	v_lshl_add_u32 v74, 0x200000, v73, -1
	v_lshlrev_b32_e64 v75, v73, 0x100000
	v_and_b32_e32 v74, v74, v52
	v_cmp_eq_u32_e64 s16, v74, v75
	v_lshrrev_b32_e32 v74, v73, v52
	v_add_nc_u32_e32 v52, 0xffffff91, v72
	v_lshrrev_b32_e32 v72, 23, v74
	v_cndmask_b32_e64 v52, v52, 0xffffff92, vcc_lo
	v_xor_b32_e32 v72, 1, v72
	v_add_nc_u32_e32 v52, v73, v52
	v_bfe_u32 v73, v74, 21, 1
	v_add_nc_u32_e32 v73, -1, v73
	v_cndmask_b32_e64 v73, 0, v73, s16
	s_mov_b32 s16, exec_lo
	v_add_nc_u32_e32 v73, v73, v74
	v_and_b32_e32 v73, 0x1fffff, v73
	v_add_nc_u32_e32 v73, v73, v74
                                        ; implicit-def: $vgpr74
	v_cmpx_ne_u32_e64 v52, v72
	s_xor_b32 s16, exec_lo, s16
; %bb.16355:                            ;   in Loop: Header=BB6_15804 Depth=3
	v_cmp_lt_u32_e32 vcc_lo, 0xffffff, v73
	v_sub_nc_u32_e32 v52, v52, v72
	v_cndmask_b32_e64 v72, 0, 1, vcc_lo
	v_add_co_ci_u32_e64 v74, null, 0, v52, vcc_lo
	v_lshrrev_b32_e32 v73, v72, v73
; %bb.16356:                            ;   in Loop: Header=BB6_15804 Depth=3
	s_andn2_saveexec_b32 s16, s16
; %bb.16357:                            ;   in Loop: Header=BB6_15804 Depth=3
	v_bfe_u32 v74, v73, 23, 1
; %bb.16358:                            ;   in Loop: Header=BB6_15804 Depth=3
	s_or_b32 exec_lo, exec_lo, s16
	v_and_b32_sdwa v52, v63, v117 dst_sel:DWORD dst_unused:UNUSED_PAD src0_sel:BYTE_3 src1_sel:DWORD
	v_lshrrev_b32_e32 v63, 21, v73
	v_cmp_gt_i32_e32 vcc_lo, 32, v74
	v_min_i32_e32 v72, 31, v74
	v_cndmask_b32_e32 v63, 3, v63, vcc_lo
	v_lshlrev_b32_e32 v72, 2, v72
	v_or_b32_e32 v73, v74, v63
	v_and_b32_e32 v63, 3, v63
	v_cmp_ne_u32_e32 vcc_lo, 0, v73
	v_or3_b32 v52, v72, v52, v63
	v_cndmask_b32_e32 v52, 0, v52, vcc_lo
.LBB6_16359:                            ;   in Loop: Header=BB6_15804 Depth=3
	s_or_b32 exec_lo, exec_lo, s23
.LBB6_16360:                            ;   in Loop: Header=BB6_15804 Depth=3
	s_or_b32 exec_lo, exec_lo, s22
	v_cmp_gt_i16_sdwa s16, v66, v116 src0_sel:BYTE_0 src1_sel:DWORD
	s_mov_b32 s22, 0
	s_and_saveexec_b32 s23, s16
	s_xor_b32 s16, exec_lo, s23
	s_cbranch_execz .LBB6_16982
; %bb.16361:                            ;   in Loop: Header=BB6_15804 Depth=3
	v_cmp_eq_u16_sdwa s72, v66, v117 src0_sel:BYTE_0 src1_sel:DWORD
	s_mov_b32 s22, -1
	s_and_saveexec_b32 s23, s72
; %bb.16362:                            ;   in Loop: Header=BB6_15804 Depth=3
	s_xor_b32 s22, exec_lo, -1
; %bb.16363:                            ;   in Loop: Header=BB6_15804 Depth=3
	s_or_b32 exec_lo, exec_lo, s23
	s_and_b32 s22, s22, exec_lo
	s_or_saveexec_b32 s16, s16
	v_mov_b32_e32 v63, 0x7f800001
	s_xor_b32 exec_lo, exec_lo, s16
	s_cbranch_execnz .LBB6_16983
.LBB6_16364:                            ;   in Loop: Header=BB6_15804 Depth=3
	s_or_b32 exec_lo, exec_lo, s16
	s_and_saveexec_b32 s16, s22
	s_cbranch_execz .LBB6_16366
.LBB6_16365:                            ;   in Loop: Header=BB6_15804 Depth=3
	v_and_b32_e32 v63, 3, v66
	v_lshrrev_b16 v73, 2, v66
	v_ffbh_u32_e32 v72, v63
	v_and_b32_e32 v73, 31, v73
	v_min_u32_e32 v72, 32, v72
	v_cmp_eq_u32_e32 vcc_lo, 0, v73
	v_subrev_nc_u32_e32 v74, 29, v72
	v_sub_nc_u32_e32 v72, 30, v72
	v_lshlrev_b32_e32 v74, v74, v66
	v_lshlrev_b32_e32 v66, 24, v66
	v_cndmask_b32_e32 v72, v73, v72, vcc_lo
	v_and_b32_e32 v74, 3, v74
	v_and_b32_e32 v66, 0x80000000, v66
	v_lshl_add_u32 v72, v72, 23, 0x37800000
	v_cndmask_b32_e32 v63, v63, v74, vcc_lo
	v_lshlrev_b32_e32 v63, 21, v63
	v_or3_b32 v63, v66, v72, v63
.LBB6_16366:                            ;   in Loop: Header=BB6_15804 Depth=3
	s_or_b32 exec_lo, exec_lo, s16
	s_waitcnt vmcnt(26) lgkmcnt(26)
	v_cmp_gt_i16_sdwa s22, v62, v116 src0_sel:BYTE_0 src1_sel:DWORD
	s_mov_b32 s16, 0
	s_and_saveexec_b32 s23, s22
	s_xor_b32 s22, exec_lo, s23
	s_cbranch_execz .LBB6_16984
; %bb.16367:                            ;   in Loop: Header=BB6_15804 Depth=3
	v_cmp_eq_u16_sdwa s72, v62, v117 src0_sel:BYTE_0 src1_sel:DWORD
	s_mov_b32 s16, -1
	s_and_saveexec_b32 s23, s72
; %bb.16368:                            ;   in Loop: Header=BB6_15804 Depth=3
	s_xor_b32 s16, exec_lo, -1
; %bb.16369:                            ;   in Loop: Header=BB6_15804 Depth=3
	s_or_b32 exec_lo, exec_lo, s23
	s_and_b32 s16, s16, exec_lo
	s_or_saveexec_b32 s22, s22
	v_mov_b32_e32 v66, 0x7f800001
	s_xor_b32 exec_lo, exec_lo, s22
	s_cbranch_execnz .LBB6_16985
.LBB6_16370:                            ;   in Loop: Header=BB6_15804 Depth=3
	s_or_b32 exec_lo, exec_lo, s22
	s_and_saveexec_b32 s22, s16
	s_cbranch_execz .LBB6_16372
.LBB6_16371:                            ;   in Loop: Header=BB6_15804 Depth=3
	v_and_b32_e32 v66, 3, v62
	v_lshrrev_b16 v73, 2, v62
	v_ffbh_u32_e32 v72, v66
	v_and_b32_e32 v73, 31, v73
	v_min_u32_e32 v72, 32, v72
	v_cmp_eq_u32_e32 vcc_lo, 0, v73
	v_subrev_nc_u32_e32 v74, 29, v72
	v_sub_nc_u32_e32 v72, 30, v72
	v_lshlrev_b32_e32 v74, v74, v62
	v_lshlrev_b32_e32 v62, 24, v62
	v_cndmask_b32_e32 v72, v73, v72, vcc_lo
	v_and_b32_e32 v74, 3, v74
	v_and_b32_e32 v62, 0x80000000, v62
	v_lshl_add_u32 v72, v72, 23, 0x37800000
	v_cndmask_b32_e32 v66, v66, v74, vcc_lo
	v_lshlrev_b32_e32 v66, 21, v66
	v_or3_b32 v66, v62, v72, v66
.LBB6_16372:                            ;   in Loop: Header=BB6_15804 Depth=3
	s_or_b32 exec_lo, exec_lo, s22
	v_add_f32_e32 v62, v63, v66
	v_and_b32_e32 v66, 0x7f800000, v62
	v_cmp_ne_u32_e32 vcc_lo, 0x7f800000, v66
	v_mov_b32_e32 v66, 0x80
	s_and_saveexec_b32 s22, vcc_lo
	s_cbranch_execz .LBB6_16380
; %bb.16373:                            ;   in Loop: Header=BB6_15804 Depth=3
	v_mov_b32_e32 v66, 0
	s_mov_b32 s23, exec_lo
	v_cmpx_ne_u32_e32 0, v62
	s_cbranch_execz .LBB6_16379
; %bb.16374:                            ;   in Loop: Header=BB6_15804 Depth=3
	v_bfe_u32 v63, v62, 23, 8
	v_and_b32_e32 v66, 0x7fffff, v62
	v_cmp_gt_u32_e64 s16, 0x71, v63
	v_sub_nc_u32_e32 v72, 0x70, v63
	v_cmp_eq_u32_e32 vcc_lo, 0, v63
	v_or_b32_e32 v73, 0x800000, v66
	v_cndmask_b32_e64 v72, 0, v72, s16
	v_cndmask_b32_e32 v66, v73, v66, vcc_lo
	v_cndmask_b32_e64 v72, v72, 0x6f, vcc_lo
	v_lshl_add_u32 v73, 0x200000, v72, -1
	v_lshlrev_b32_e64 v74, v72, 0x100000
	v_and_b32_e32 v73, v73, v66
	v_cmp_eq_u32_e64 s16, v73, v74
	v_lshrrev_b32_e32 v73, v72, v66
	v_add_nc_u32_e32 v66, 0xffffff91, v63
	v_lshrrev_b32_e32 v63, 23, v73
	v_cndmask_b32_e64 v66, v66, 0xffffff92, vcc_lo
	v_xor_b32_e32 v63, 1, v63
	v_add_nc_u32_e32 v66, v72, v66
	v_bfe_u32 v72, v73, 21, 1
	v_add_nc_u32_e32 v72, -1, v72
	v_cndmask_b32_e64 v72, 0, v72, s16
	s_mov_b32 s16, exec_lo
	v_add_nc_u32_e32 v72, v72, v73
	v_and_b32_e32 v72, 0x1fffff, v72
	v_add_nc_u32_e32 v72, v72, v73
                                        ; implicit-def: $vgpr73
	v_cmpx_ne_u32_e64 v66, v63
	s_xor_b32 s16, exec_lo, s16
; %bb.16375:                            ;   in Loop: Header=BB6_15804 Depth=3
	v_cmp_lt_u32_e32 vcc_lo, 0xffffff, v72
	v_sub_nc_u32_e32 v66, v66, v63
	v_cndmask_b32_e64 v63, 0, 1, vcc_lo
	v_add_co_ci_u32_e64 v73, null, 0, v66, vcc_lo
	v_lshrrev_b32_e32 v72, v63, v72
; %bb.16376:                            ;   in Loop: Header=BB6_15804 Depth=3
	s_andn2_saveexec_b32 s16, s16
; %bb.16377:                            ;   in Loop: Header=BB6_15804 Depth=3
	v_bfe_u32 v73, v72, 23, 1
; %bb.16378:                            ;   in Loop: Header=BB6_15804 Depth=3
	s_or_b32 exec_lo, exec_lo, s16
	v_and_b32_sdwa v66, v62, v117 dst_sel:DWORD dst_unused:UNUSED_PAD src0_sel:BYTE_3 src1_sel:DWORD
	v_lshrrev_b32_e32 v62, 21, v72
	v_cmp_gt_i32_e32 vcc_lo, 32, v73
	v_min_i32_e32 v63, 31, v73
	v_cndmask_b32_e32 v62, 3, v62, vcc_lo
	v_lshlrev_b32_e32 v63, 2, v63
	v_or_b32_e32 v72, v73, v62
	v_and_b32_e32 v62, 3, v62
	v_cmp_ne_u32_e32 vcc_lo, 0, v72
	v_or3_b32 v66, v63, v66, v62
	v_cndmask_b32_e32 v66, 0, v66, vcc_lo
.LBB6_16379:                            ;   in Loop: Header=BB6_15804 Depth=3
	s_or_b32 exec_lo, exec_lo, s23
.LBB6_16380:                            ;   in Loop: Header=BB6_15804 Depth=3
	s_or_b32 exec_lo, exec_lo, s22
	v_cmp_gt_i16_sdwa s16, v80, v116 src0_sel:BYTE_0 src1_sel:DWORD
	s_mov_b32 s22, 0
	s_and_saveexec_b32 s23, s16
	s_xor_b32 s16, exec_lo, s23
	s_cbranch_execz .LBB6_16986
; %bb.16381:                            ;   in Loop: Header=BB6_15804 Depth=3
	v_cmp_eq_u16_sdwa s72, v80, v117 src0_sel:BYTE_0 src1_sel:DWORD
	s_mov_b32 s22, -1
	s_and_saveexec_b32 s23, s72
; %bb.16382:                            ;   in Loop: Header=BB6_15804 Depth=3
	s_xor_b32 s22, exec_lo, -1
; %bb.16383:                            ;   in Loop: Header=BB6_15804 Depth=3
	s_or_b32 exec_lo, exec_lo, s23
	s_and_b32 s22, s22, exec_lo
	s_or_saveexec_b32 s16, s16
	v_mov_b32_e32 v62, 0x7f800001
	s_xor_b32 exec_lo, exec_lo, s16
	s_cbranch_execnz .LBB6_16987
.LBB6_16384:                            ;   in Loop: Header=BB6_15804 Depth=3
	s_or_b32 exec_lo, exec_lo, s16
	s_and_saveexec_b32 s16, s22
	s_cbranch_execz .LBB6_16386
.LBB6_16385:                            ;   in Loop: Header=BB6_15804 Depth=3
	v_and_b32_e32 v62, 3, v80
	v_lshrrev_b16 v72, 2, v80
	v_ffbh_u32_e32 v63, v62
	v_and_b32_e32 v72, 31, v72
	v_min_u32_e32 v63, 32, v63
	v_cmp_eq_u32_e32 vcc_lo, 0, v72
	v_subrev_nc_u32_e32 v73, 29, v63
	v_sub_nc_u32_e32 v63, 30, v63
	v_lshlrev_b32_e32 v73, v73, v80
	v_lshlrev_b32_e32 v80, 24, v80
	v_cndmask_b32_e32 v63, v72, v63, vcc_lo
	v_and_b32_e32 v73, 3, v73
	v_and_b32_e32 v80, 0x80000000, v80
	v_lshl_add_u32 v63, v63, 23, 0x37800000
	v_cndmask_b32_e32 v62, v62, v73, vcc_lo
	v_lshlrev_b32_e32 v62, 21, v62
	v_or3_b32 v62, v80, v63, v62
.LBB6_16386:                            ;   in Loop: Header=BB6_15804 Depth=3
	s_or_b32 exec_lo, exec_lo, s16
	s_waitcnt vmcnt(25) lgkmcnt(25)
	v_cmp_gt_i16_sdwa s22, v61, v116 src0_sel:BYTE_0 src1_sel:DWORD
	s_mov_b32 s16, 0
	s_and_saveexec_b32 s23, s22
	s_xor_b32 s22, exec_lo, s23
	s_cbranch_execz .LBB6_16988
; %bb.16387:                            ;   in Loop: Header=BB6_15804 Depth=3
	v_cmp_eq_u16_sdwa s72, v61, v117 src0_sel:BYTE_0 src1_sel:DWORD
	s_mov_b32 s16, -1
	s_and_saveexec_b32 s23, s72
; %bb.16388:                            ;   in Loop: Header=BB6_15804 Depth=3
	s_xor_b32 s16, exec_lo, -1
; %bb.16389:                            ;   in Loop: Header=BB6_15804 Depth=3
	s_or_b32 exec_lo, exec_lo, s23
	s_and_b32 s16, s16, exec_lo
	s_or_saveexec_b32 s22, s22
	v_mov_b32_e32 v80, 0x7f800001
	s_xor_b32 exec_lo, exec_lo, s22
	s_cbranch_execnz .LBB6_16989
.LBB6_16390:                            ;   in Loop: Header=BB6_15804 Depth=3
	s_or_b32 exec_lo, exec_lo, s22
	s_and_saveexec_b32 s22, s16
	s_cbranch_execz .LBB6_16392
.LBB6_16391:                            ;   in Loop: Header=BB6_15804 Depth=3
	v_and_b32_e32 v80, 3, v61
	v_lshrrev_b16 v72, 2, v61
	v_ffbh_u32_e32 v63, v80
	v_and_b32_e32 v72, 31, v72
	v_min_u32_e32 v63, 32, v63
	v_cmp_eq_u32_e32 vcc_lo, 0, v72
	v_subrev_nc_u32_e32 v73, 29, v63
	v_sub_nc_u32_e32 v63, 30, v63
	v_lshlrev_b32_e32 v73, v73, v61
	v_lshlrev_b32_e32 v61, 24, v61
	v_cndmask_b32_e32 v63, v72, v63, vcc_lo
	v_and_b32_e32 v73, 3, v73
	v_and_b32_e32 v61, 0x80000000, v61
	v_lshl_add_u32 v63, v63, 23, 0x37800000
	v_cndmask_b32_e32 v80, v80, v73, vcc_lo
	v_lshlrev_b32_e32 v80, 21, v80
	v_or3_b32 v80, v61, v63, v80
.LBB6_16392:                            ;   in Loop: Header=BB6_15804 Depth=3
	s_or_b32 exec_lo, exec_lo, s22
	v_add_f32_e32 v61, v62, v80
	v_and_b32_e32 v80, 0x7f800000, v61
	v_cmp_ne_u32_e32 vcc_lo, 0x7f800000, v80
	v_mov_b32_e32 v80, 0x80
	s_and_saveexec_b32 s22, vcc_lo
	s_cbranch_execz .LBB6_16400
; %bb.16393:                            ;   in Loop: Header=BB6_15804 Depth=3
	v_mov_b32_e32 v80, 0
	s_mov_b32 s23, exec_lo
	v_cmpx_ne_u32_e32 0, v61
	s_cbranch_execz .LBB6_16399
; %bb.16394:                            ;   in Loop: Header=BB6_15804 Depth=3
	v_bfe_u32 v62, v61, 23, 8
	v_and_b32_e32 v80, 0x7fffff, v61
	v_cmp_gt_u32_e64 s16, 0x71, v62
	v_sub_nc_u32_e32 v63, 0x70, v62
	v_cmp_eq_u32_e32 vcc_lo, 0, v62
	v_or_b32_e32 v72, 0x800000, v80
	v_cndmask_b32_e64 v63, 0, v63, s16
	v_cndmask_b32_e32 v80, v72, v80, vcc_lo
	v_cndmask_b32_e64 v63, v63, 0x6f, vcc_lo
	v_lshl_add_u32 v72, 0x200000, v63, -1
	v_lshlrev_b32_e64 v73, v63, 0x100000
	v_and_b32_e32 v72, v72, v80
	v_cmp_eq_u32_e64 s16, v72, v73
	v_lshrrev_b32_e32 v72, v63, v80
	v_add_nc_u32_e32 v80, 0xffffff91, v62
	v_lshrrev_b32_e32 v62, 23, v72
	v_cndmask_b32_e64 v80, v80, 0xffffff92, vcc_lo
	v_xor_b32_e32 v62, 1, v62
	v_add_nc_u32_e32 v80, v63, v80
	v_bfe_u32 v63, v72, 21, 1
	v_add_nc_u32_e32 v63, -1, v63
	v_cndmask_b32_e64 v63, 0, v63, s16
	s_mov_b32 s16, exec_lo
	v_add_nc_u32_e32 v63, v63, v72
	v_and_b32_e32 v63, 0x1fffff, v63
	v_add_nc_u32_e32 v63, v63, v72
                                        ; implicit-def: $vgpr72
	v_cmpx_ne_u32_e64 v80, v62
	s_xor_b32 s16, exec_lo, s16
; %bb.16395:                            ;   in Loop: Header=BB6_15804 Depth=3
	v_cmp_lt_u32_e32 vcc_lo, 0xffffff, v63
	v_sub_nc_u32_e32 v80, v80, v62
	v_cndmask_b32_e64 v62, 0, 1, vcc_lo
	v_add_co_ci_u32_e64 v72, null, 0, v80, vcc_lo
	v_lshrrev_b32_e32 v63, v62, v63
; %bb.16396:                            ;   in Loop: Header=BB6_15804 Depth=3
	s_andn2_saveexec_b32 s16, s16
; %bb.16397:                            ;   in Loop: Header=BB6_15804 Depth=3
	v_bfe_u32 v72, v63, 23, 1
; %bb.16398:                            ;   in Loop: Header=BB6_15804 Depth=3
	s_or_b32 exec_lo, exec_lo, s16
	v_and_b32_sdwa v80, v61, v117 dst_sel:DWORD dst_unused:UNUSED_PAD src0_sel:BYTE_3 src1_sel:DWORD
	v_lshrrev_b32_e32 v61, 21, v63
	v_cmp_gt_i32_e32 vcc_lo, 32, v72
	v_min_i32_e32 v62, 31, v72
	v_cndmask_b32_e32 v61, 3, v61, vcc_lo
	v_lshlrev_b32_e32 v62, 2, v62
	v_or_b32_e32 v63, v72, v61
	v_and_b32_e32 v61, 3, v61
	v_cmp_ne_u32_e32 vcc_lo, 0, v63
	v_or3_b32 v80, v62, v80, v61
	v_cndmask_b32_e32 v80, 0, v80, vcc_lo
.LBB6_16399:                            ;   in Loop: Header=BB6_15804 Depth=3
	s_or_b32 exec_lo, exec_lo, s23
.LBB6_16400:                            ;   in Loop: Header=BB6_15804 Depth=3
	s_or_b32 exec_lo, exec_lo, s22
	v_cmp_gt_i16_sdwa s16, v84, v116 src0_sel:BYTE_0 src1_sel:DWORD
	s_mov_b32 s22, 0
	s_and_saveexec_b32 s23, s16
	s_xor_b32 s16, exec_lo, s23
	s_cbranch_execz .LBB6_16990
; %bb.16401:                            ;   in Loop: Header=BB6_15804 Depth=3
	v_cmp_eq_u16_sdwa s72, v84, v117 src0_sel:BYTE_0 src1_sel:DWORD
	s_mov_b32 s22, -1
	s_and_saveexec_b32 s23, s72
; %bb.16402:                            ;   in Loop: Header=BB6_15804 Depth=3
	s_xor_b32 s22, exec_lo, -1
; %bb.16403:                            ;   in Loop: Header=BB6_15804 Depth=3
	s_or_b32 exec_lo, exec_lo, s23
	s_and_b32 s22, s22, exec_lo
	s_or_saveexec_b32 s16, s16
	v_mov_b32_e32 v61, 0x7f800001
	s_xor_b32 exec_lo, exec_lo, s16
	s_cbranch_execnz .LBB6_16991
.LBB6_16404:                            ;   in Loop: Header=BB6_15804 Depth=3
	s_or_b32 exec_lo, exec_lo, s16
	s_and_saveexec_b32 s16, s22
	s_cbranch_execz .LBB6_16406
.LBB6_16405:                            ;   in Loop: Header=BB6_15804 Depth=3
	v_and_b32_e32 v61, 3, v84
	v_lshrrev_b16 v63, 2, v84
	v_ffbh_u32_e32 v62, v61
	v_and_b32_e32 v63, 31, v63
	v_min_u32_e32 v62, 32, v62
	v_cmp_eq_u32_e32 vcc_lo, 0, v63
	v_subrev_nc_u32_e32 v72, 29, v62
	v_sub_nc_u32_e32 v62, 30, v62
	v_lshlrev_b32_e32 v72, v72, v84
	v_lshlrev_b32_e32 v84, 24, v84
	v_cndmask_b32_e32 v62, v63, v62, vcc_lo
	v_and_b32_e32 v72, 3, v72
	v_and_b32_e32 v84, 0x80000000, v84
	v_lshl_add_u32 v62, v62, 23, 0x37800000
	v_cndmask_b32_e32 v61, v61, v72, vcc_lo
	v_lshlrev_b32_e32 v61, 21, v61
	v_or3_b32 v61, v84, v62, v61
.LBB6_16406:                            ;   in Loop: Header=BB6_15804 Depth=3
	s_or_b32 exec_lo, exec_lo, s16
	s_waitcnt vmcnt(24) lgkmcnt(24)
	v_cmp_gt_i16_sdwa s22, v60, v116 src0_sel:BYTE_0 src1_sel:DWORD
	s_mov_b32 s16, 0
	s_and_saveexec_b32 s23, s22
	s_xor_b32 s22, exec_lo, s23
	s_cbranch_execz .LBB6_16992
; %bb.16407:                            ;   in Loop: Header=BB6_15804 Depth=3
	v_cmp_eq_u16_sdwa s72, v60, v117 src0_sel:BYTE_0 src1_sel:DWORD
	s_mov_b32 s16, -1
	s_and_saveexec_b32 s23, s72
; %bb.16408:                            ;   in Loop: Header=BB6_15804 Depth=3
	s_xor_b32 s16, exec_lo, -1
; %bb.16409:                            ;   in Loop: Header=BB6_15804 Depth=3
	s_or_b32 exec_lo, exec_lo, s23
	s_and_b32 s16, s16, exec_lo
	s_or_saveexec_b32 s22, s22
	v_mov_b32_e32 v84, 0x7f800001
	s_xor_b32 exec_lo, exec_lo, s22
	s_cbranch_execnz .LBB6_16993
.LBB6_16410:                            ;   in Loop: Header=BB6_15804 Depth=3
	s_or_b32 exec_lo, exec_lo, s22
	s_and_saveexec_b32 s22, s16
	s_cbranch_execz .LBB6_16412
.LBB6_16411:                            ;   in Loop: Header=BB6_15804 Depth=3
	v_and_b32_e32 v84, 3, v60
	v_lshrrev_b16 v63, 2, v60
	v_ffbh_u32_e32 v62, v84
	v_and_b32_e32 v63, 31, v63
	v_min_u32_e32 v62, 32, v62
	v_cmp_eq_u32_e32 vcc_lo, 0, v63
	v_subrev_nc_u32_e32 v72, 29, v62
	v_sub_nc_u32_e32 v62, 30, v62
	v_lshlrev_b32_e32 v72, v72, v60
	v_lshlrev_b32_e32 v60, 24, v60
	v_cndmask_b32_e32 v62, v63, v62, vcc_lo
	v_and_b32_e32 v72, 3, v72
	v_and_b32_e32 v60, 0x80000000, v60
	v_lshl_add_u32 v62, v62, 23, 0x37800000
	v_cndmask_b32_e32 v84, v84, v72, vcc_lo
	v_lshlrev_b32_e32 v84, 21, v84
	v_or3_b32 v84, v60, v62, v84
.LBB6_16412:                            ;   in Loop: Header=BB6_15804 Depth=3
	s_or_b32 exec_lo, exec_lo, s22
	v_add_f32_e32 v60, v61, v84
	v_and_b32_e32 v84, 0x7f800000, v60
	v_cmp_ne_u32_e32 vcc_lo, 0x7f800000, v84
	v_mov_b32_e32 v84, 0x80
	s_and_saveexec_b32 s22, vcc_lo
	s_cbranch_execz .LBB6_16420
; %bb.16413:                            ;   in Loop: Header=BB6_15804 Depth=3
	v_mov_b32_e32 v84, 0
	s_mov_b32 s23, exec_lo
	v_cmpx_ne_u32_e32 0, v60
	s_cbranch_execz .LBB6_16419
; %bb.16414:                            ;   in Loop: Header=BB6_15804 Depth=3
	v_bfe_u32 v61, v60, 23, 8
	v_and_b32_e32 v84, 0x7fffff, v60
	v_cmp_gt_u32_e64 s16, 0x71, v61
	v_sub_nc_u32_e32 v62, 0x70, v61
	v_cmp_eq_u32_e32 vcc_lo, 0, v61
	v_or_b32_e32 v63, 0x800000, v84
	v_cndmask_b32_e64 v62, 0, v62, s16
	v_cndmask_b32_e32 v84, v63, v84, vcc_lo
	v_cndmask_b32_e64 v62, v62, 0x6f, vcc_lo
	v_lshl_add_u32 v63, 0x200000, v62, -1
	v_lshlrev_b32_e64 v72, v62, 0x100000
	v_and_b32_e32 v63, v63, v84
	v_cmp_eq_u32_e64 s16, v63, v72
	v_lshrrev_b32_e32 v63, v62, v84
	v_add_nc_u32_e32 v84, 0xffffff91, v61
	v_lshrrev_b32_e32 v61, 23, v63
	v_cndmask_b32_e64 v84, v84, 0xffffff92, vcc_lo
	v_xor_b32_e32 v61, 1, v61
	v_add_nc_u32_e32 v84, v62, v84
	v_bfe_u32 v62, v63, 21, 1
	v_add_nc_u32_e32 v62, -1, v62
	v_cndmask_b32_e64 v62, 0, v62, s16
	s_mov_b32 s16, exec_lo
	v_add_nc_u32_e32 v62, v62, v63
	v_and_b32_e32 v62, 0x1fffff, v62
	v_add_nc_u32_e32 v62, v62, v63
                                        ; implicit-def: $vgpr63
	v_cmpx_ne_u32_e64 v84, v61
	s_xor_b32 s16, exec_lo, s16
; %bb.16415:                            ;   in Loop: Header=BB6_15804 Depth=3
	v_cmp_lt_u32_e32 vcc_lo, 0xffffff, v62
	v_sub_nc_u32_e32 v84, v84, v61
	v_cndmask_b32_e64 v61, 0, 1, vcc_lo
	v_add_co_ci_u32_e64 v63, null, 0, v84, vcc_lo
	v_lshrrev_b32_e32 v62, v61, v62
; %bb.16416:                            ;   in Loop: Header=BB6_15804 Depth=3
	s_andn2_saveexec_b32 s16, s16
; %bb.16417:                            ;   in Loop: Header=BB6_15804 Depth=3
	v_bfe_u32 v63, v62, 23, 1
; %bb.16418:                            ;   in Loop: Header=BB6_15804 Depth=3
	s_or_b32 exec_lo, exec_lo, s16
	v_and_b32_sdwa v84, v60, v117 dst_sel:DWORD dst_unused:UNUSED_PAD src0_sel:BYTE_3 src1_sel:DWORD
	v_lshrrev_b32_e32 v60, 21, v62
	v_cmp_gt_i32_e32 vcc_lo, 32, v63
	v_min_i32_e32 v61, 31, v63
	v_cndmask_b32_e32 v60, 3, v60, vcc_lo
	v_lshlrev_b32_e32 v61, 2, v61
	v_or_b32_e32 v62, v63, v60
	v_and_b32_e32 v60, 3, v60
	v_cmp_ne_u32_e32 vcc_lo, 0, v62
	v_or3_b32 v84, v61, v84, v60
	v_cndmask_b32_e32 v84, 0, v84, vcc_lo
.LBB6_16419:                            ;   in Loop: Header=BB6_15804 Depth=3
	s_or_b32 exec_lo, exec_lo, s23
.LBB6_16420:                            ;   in Loop: Header=BB6_15804 Depth=3
	s_or_b32 exec_lo, exec_lo, s22
	v_cmp_gt_i16_sdwa s16, v96, v116 src0_sel:BYTE_0 src1_sel:DWORD
	s_mov_b32 s22, 0
	s_and_saveexec_b32 s23, s16
	s_xor_b32 s16, exec_lo, s23
	s_cbranch_execz .LBB6_16994
; %bb.16421:                            ;   in Loop: Header=BB6_15804 Depth=3
	v_cmp_eq_u16_sdwa s72, v96, v117 src0_sel:BYTE_0 src1_sel:DWORD
	s_mov_b32 s22, -1
	s_and_saveexec_b32 s23, s72
; %bb.16422:                            ;   in Loop: Header=BB6_15804 Depth=3
	s_xor_b32 s22, exec_lo, -1
; %bb.16423:                            ;   in Loop: Header=BB6_15804 Depth=3
	s_or_b32 exec_lo, exec_lo, s23
	s_and_b32 s22, s22, exec_lo
	s_or_saveexec_b32 s16, s16
	v_mov_b32_e32 v60, 0x7f800001
	s_xor_b32 exec_lo, exec_lo, s16
	s_cbranch_execnz .LBB6_16995
.LBB6_16424:                            ;   in Loop: Header=BB6_15804 Depth=3
	s_or_b32 exec_lo, exec_lo, s16
	s_and_saveexec_b32 s16, s22
	s_cbranch_execz .LBB6_16426
.LBB6_16425:                            ;   in Loop: Header=BB6_15804 Depth=3
	v_and_b32_e32 v60, 3, v96
	v_lshrrev_b16 v62, 2, v96
	v_ffbh_u32_e32 v61, v60
	v_and_b32_e32 v62, 31, v62
	v_min_u32_e32 v61, 32, v61
	v_cmp_eq_u32_e32 vcc_lo, 0, v62
	v_subrev_nc_u32_e32 v63, 29, v61
	v_sub_nc_u32_e32 v61, 30, v61
	v_lshlrev_b32_e32 v63, v63, v96
	v_lshlrev_b32_e32 v96, 24, v96
	v_cndmask_b32_e32 v61, v62, v61, vcc_lo
	v_and_b32_e32 v63, 3, v63
	v_and_b32_e32 v96, 0x80000000, v96
	v_lshl_add_u32 v61, v61, 23, 0x37800000
	v_cndmask_b32_e32 v60, v60, v63, vcc_lo
	v_lshlrev_b32_e32 v60, 21, v60
	v_or3_b32 v60, v96, v61, v60
.LBB6_16426:                            ;   in Loop: Header=BB6_15804 Depth=3
	s_or_b32 exec_lo, exec_lo, s16
	s_waitcnt vmcnt(23) lgkmcnt(23)
	v_cmp_gt_i16_sdwa s22, v59, v116 src0_sel:BYTE_0 src1_sel:DWORD
	s_mov_b32 s16, 0
	s_and_saveexec_b32 s23, s22
	s_xor_b32 s22, exec_lo, s23
	s_cbranch_execz .LBB6_16996
; %bb.16427:                            ;   in Loop: Header=BB6_15804 Depth=3
	v_cmp_eq_u16_sdwa s72, v59, v117 src0_sel:BYTE_0 src1_sel:DWORD
	s_mov_b32 s16, -1
	s_and_saveexec_b32 s23, s72
; %bb.16428:                            ;   in Loop: Header=BB6_15804 Depth=3
	s_xor_b32 s16, exec_lo, -1
; %bb.16429:                            ;   in Loop: Header=BB6_15804 Depth=3
	s_or_b32 exec_lo, exec_lo, s23
	s_and_b32 s16, s16, exec_lo
	s_or_saveexec_b32 s22, s22
	v_mov_b32_e32 v96, 0x7f800001
	s_xor_b32 exec_lo, exec_lo, s22
	s_cbranch_execnz .LBB6_16997
.LBB6_16430:                            ;   in Loop: Header=BB6_15804 Depth=3
	s_or_b32 exec_lo, exec_lo, s22
	s_and_saveexec_b32 s22, s16
	s_cbranch_execz .LBB6_16432
.LBB6_16431:                            ;   in Loop: Header=BB6_15804 Depth=3
	v_and_b32_e32 v96, 3, v59
	v_lshrrev_b16 v62, 2, v59
	v_ffbh_u32_e32 v61, v96
	v_and_b32_e32 v62, 31, v62
	v_min_u32_e32 v61, 32, v61
	v_cmp_eq_u32_e32 vcc_lo, 0, v62
	v_subrev_nc_u32_e32 v63, 29, v61
	v_sub_nc_u32_e32 v61, 30, v61
	v_lshlrev_b32_e32 v63, v63, v59
	v_lshlrev_b32_e32 v59, 24, v59
	v_cndmask_b32_e32 v61, v62, v61, vcc_lo
	v_and_b32_e32 v63, 3, v63
	v_and_b32_e32 v59, 0x80000000, v59
	v_lshl_add_u32 v61, v61, 23, 0x37800000
	v_cndmask_b32_e32 v96, v96, v63, vcc_lo
	v_lshlrev_b32_e32 v96, 21, v96
	v_or3_b32 v96, v59, v61, v96
.LBB6_16432:                            ;   in Loop: Header=BB6_15804 Depth=3
	s_or_b32 exec_lo, exec_lo, s22
	v_add_f32_e32 v59, v60, v96
	v_and_b32_e32 v96, 0x7f800000, v59
	v_cmp_ne_u32_e32 vcc_lo, 0x7f800000, v96
	v_mov_b32_e32 v96, 0x80
	s_and_saveexec_b32 s22, vcc_lo
	s_cbranch_execz .LBB6_16440
; %bb.16433:                            ;   in Loop: Header=BB6_15804 Depth=3
	v_mov_b32_e32 v96, 0
	s_mov_b32 s23, exec_lo
	v_cmpx_ne_u32_e32 0, v59
	s_cbranch_execz .LBB6_16439
; %bb.16434:                            ;   in Loop: Header=BB6_15804 Depth=3
	v_bfe_u32 v60, v59, 23, 8
	v_and_b32_e32 v96, 0x7fffff, v59
	v_cmp_gt_u32_e64 s16, 0x71, v60
	v_sub_nc_u32_e32 v61, 0x70, v60
	v_cmp_eq_u32_e32 vcc_lo, 0, v60
	v_or_b32_e32 v62, 0x800000, v96
	v_cndmask_b32_e64 v61, 0, v61, s16
	v_cndmask_b32_e32 v96, v62, v96, vcc_lo
	v_cndmask_b32_e64 v61, v61, 0x6f, vcc_lo
	v_lshl_add_u32 v62, 0x200000, v61, -1
	v_lshlrev_b32_e64 v63, v61, 0x100000
	v_and_b32_e32 v62, v62, v96
	v_cmp_eq_u32_e64 s16, v62, v63
	v_lshrrev_b32_e32 v62, v61, v96
	v_add_nc_u32_e32 v96, 0xffffff91, v60
	v_lshrrev_b32_e32 v60, 23, v62
	v_cndmask_b32_e64 v96, v96, 0xffffff92, vcc_lo
	v_xor_b32_e32 v60, 1, v60
	v_add_nc_u32_e32 v96, v61, v96
	v_bfe_u32 v61, v62, 21, 1
	v_add_nc_u32_e32 v61, -1, v61
	v_cndmask_b32_e64 v61, 0, v61, s16
	s_mov_b32 s16, exec_lo
	v_add_nc_u32_e32 v61, v61, v62
	v_and_b32_e32 v61, 0x1fffff, v61
	v_add_nc_u32_e32 v61, v61, v62
                                        ; implicit-def: $vgpr62
	v_cmpx_ne_u32_e64 v96, v60
	s_xor_b32 s16, exec_lo, s16
; %bb.16435:                            ;   in Loop: Header=BB6_15804 Depth=3
	v_cmp_lt_u32_e32 vcc_lo, 0xffffff, v61
	v_sub_nc_u32_e32 v96, v96, v60
	v_cndmask_b32_e64 v60, 0, 1, vcc_lo
	v_add_co_ci_u32_e64 v62, null, 0, v96, vcc_lo
	v_lshrrev_b32_e32 v61, v60, v61
; %bb.16436:                            ;   in Loop: Header=BB6_15804 Depth=3
	s_andn2_saveexec_b32 s16, s16
; %bb.16437:                            ;   in Loop: Header=BB6_15804 Depth=3
	v_bfe_u32 v62, v61, 23, 1
; %bb.16438:                            ;   in Loop: Header=BB6_15804 Depth=3
	s_or_b32 exec_lo, exec_lo, s16
	v_and_b32_sdwa v96, v59, v117 dst_sel:DWORD dst_unused:UNUSED_PAD src0_sel:BYTE_3 src1_sel:DWORD
	v_lshrrev_b32_e32 v59, 21, v61
	v_cmp_gt_i32_e32 vcc_lo, 32, v62
	v_min_i32_e32 v60, 31, v62
	v_cndmask_b32_e32 v59, 3, v59, vcc_lo
	v_lshlrev_b32_e32 v60, 2, v60
	v_or_b32_e32 v61, v62, v59
	v_and_b32_e32 v59, 3, v59
	v_cmp_ne_u32_e32 vcc_lo, 0, v61
	v_or3_b32 v96, v60, v96, v59
	v_cndmask_b32_e32 v96, 0, v96, vcc_lo
.LBB6_16439:                            ;   in Loop: Header=BB6_15804 Depth=3
	s_or_b32 exec_lo, exec_lo, s23
.LBB6_16440:                            ;   in Loop: Header=BB6_15804 Depth=3
	s_or_b32 exec_lo, exec_lo, s22
	v_cmp_gt_i16_sdwa s16, v101, v116 src0_sel:BYTE_0 src1_sel:DWORD
	s_mov_b32 s22, 0
	s_and_saveexec_b32 s23, s16
	s_xor_b32 s16, exec_lo, s23
	s_cbranch_execz .LBB6_16998
; %bb.16441:                            ;   in Loop: Header=BB6_15804 Depth=3
	v_cmp_eq_u16_sdwa s72, v101, v117 src0_sel:BYTE_0 src1_sel:DWORD
	s_mov_b32 s22, -1
	s_and_saveexec_b32 s23, s72
; %bb.16442:                            ;   in Loop: Header=BB6_15804 Depth=3
	s_xor_b32 s22, exec_lo, -1
; %bb.16443:                            ;   in Loop: Header=BB6_15804 Depth=3
	s_or_b32 exec_lo, exec_lo, s23
	s_and_b32 s22, s22, exec_lo
	s_or_saveexec_b32 s16, s16
	v_mov_b32_e32 v59, 0x7f800001
	s_xor_b32 exec_lo, exec_lo, s16
	s_cbranch_execnz .LBB6_16999
.LBB6_16444:                            ;   in Loop: Header=BB6_15804 Depth=3
	s_or_b32 exec_lo, exec_lo, s16
	s_and_saveexec_b32 s16, s22
	s_cbranch_execz .LBB6_16446
.LBB6_16445:                            ;   in Loop: Header=BB6_15804 Depth=3
	v_and_b32_e32 v59, 3, v101
	v_lshrrev_b16 v61, 2, v101
	v_ffbh_u32_e32 v60, v59
	v_and_b32_e32 v61, 31, v61
	v_min_u32_e32 v60, 32, v60
	v_cmp_eq_u32_e32 vcc_lo, 0, v61
	v_subrev_nc_u32_e32 v62, 29, v60
	v_sub_nc_u32_e32 v60, 30, v60
	v_lshlrev_b32_e32 v62, v62, v101
	v_lshlrev_b32_e32 v101, 24, v101
	v_cndmask_b32_e32 v60, v61, v60, vcc_lo
	v_and_b32_e32 v62, 3, v62
	v_and_b32_e32 v101, 0x80000000, v101
	v_lshl_add_u32 v60, v60, 23, 0x37800000
	v_cndmask_b32_e32 v59, v59, v62, vcc_lo
	v_lshlrev_b32_e32 v59, 21, v59
	v_or3_b32 v59, v101, v60, v59
.LBB6_16446:                            ;   in Loop: Header=BB6_15804 Depth=3
	s_or_b32 exec_lo, exec_lo, s16
	s_waitcnt vmcnt(22) lgkmcnt(22)
	v_cmp_gt_i16_sdwa s22, v58, v116 src0_sel:BYTE_0 src1_sel:DWORD
	s_mov_b32 s16, 0
	s_and_saveexec_b32 s23, s22
	s_xor_b32 s22, exec_lo, s23
	s_cbranch_execz .LBB6_17000
; %bb.16447:                            ;   in Loop: Header=BB6_15804 Depth=3
	v_cmp_eq_u16_sdwa s72, v58, v117 src0_sel:BYTE_0 src1_sel:DWORD
	s_mov_b32 s16, -1
	s_and_saveexec_b32 s23, s72
; %bb.16448:                            ;   in Loop: Header=BB6_15804 Depth=3
	s_xor_b32 s16, exec_lo, -1
; %bb.16449:                            ;   in Loop: Header=BB6_15804 Depth=3
	s_or_b32 exec_lo, exec_lo, s23
	s_and_b32 s16, s16, exec_lo
	s_or_saveexec_b32 s22, s22
	v_mov_b32_e32 v101, 0x7f800001
	s_xor_b32 exec_lo, exec_lo, s22
	s_cbranch_execnz .LBB6_17001
.LBB6_16450:                            ;   in Loop: Header=BB6_15804 Depth=3
	s_or_b32 exec_lo, exec_lo, s22
	s_and_saveexec_b32 s22, s16
	s_cbranch_execz .LBB6_16452
.LBB6_16451:                            ;   in Loop: Header=BB6_15804 Depth=3
	v_and_b32_e32 v101, 3, v58
	v_lshrrev_b16 v61, 2, v58
	v_ffbh_u32_e32 v60, v101
	v_and_b32_e32 v61, 31, v61
	v_min_u32_e32 v60, 32, v60
	v_cmp_eq_u32_e32 vcc_lo, 0, v61
	v_subrev_nc_u32_e32 v62, 29, v60
	v_sub_nc_u32_e32 v60, 30, v60
	v_lshlrev_b32_e32 v62, v62, v58
	v_lshlrev_b32_e32 v58, 24, v58
	v_cndmask_b32_e32 v60, v61, v60, vcc_lo
	v_and_b32_e32 v62, 3, v62
	v_and_b32_e32 v58, 0x80000000, v58
	v_lshl_add_u32 v60, v60, 23, 0x37800000
	v_cndmask_b32_e32 v101, v101, v62, vcc_lo
	v_lshlrev_b32_e32 v101, 21, v101
	v_or3_b32 v101, v58, v60, v101
.LBB6_16452:                            ;   in Loop: Header=BB6_15804 Depth=3
	s_or_b32 exec_lo, exec_lo, s22
	v_add_f32_e32 v58, v59, v101
	v_and_b32_e32 v101, 0x7f800000, v58
	v_cmp_ne_u32_e32 vcc_lo, 0x7f800000, v101
	v_mov_b32_e32 v101, 0x80
	s_and_saveexec_b32 s22, vcc_lo
	s_cbranch_execz .LBB6_16460
; %bb.16453:                            ;   in Loop: Header=BB6_15804 Depth=3
	v_mov_b32_e32 v101, 0
	s_mov_b32 s23, exec_lo
	v_cmpx_ne_u32_e32 0, v58
	s_cbranch_execz .LBB6_16459
; %bb.16454:                            ;   in Loop: Header=BB6_15804 Depth=3
	v_bfe_u32 v59, v58, 23, 8
	v_and_b32_e32 v101, 0x7fffff, v58
	v_cmp_gt_u32_e64 s16, 0x71, v59
	v_sub_nc_u32_e32 v60, 0x70, v59
	v_cmp_eq_u32_e32 vcc_lo, 0, v59
	v_or_b32_e32 v61, 0x800000, v101
	v_cndmask_b32_e64 v60, 0, v60, s16
	v_cndmask_b32_e32 v101, v61, v101, vcc_lo
	v_cndmask_b32_e64 v60, v60, 0x6f, vcc_lo
	v_lshl_add_u32 v61, 0x200000, v60, -1
	v_lshlrev_b32_e64 v62, v60, 0x100000
	v_and_b32_e32 v61, v61, v101
	v_cmp_eq_u32_e64 s16, v61, v62
	v_lshrrev_b32_e32 v61, v60, v101
	v_add_nc_u32_e32 v101, 0xffffff91, v59
	v_lshrrev_b32_e32 v59, 23, v61
	v_cndmask_b32_e64 v101, v101, 0xffffff92, vcc_lo
	v_xor_b32_e32 v59, 1, v59
	v_add_nc_u32_e32 v101, v60, v101
	v_bfe_u32 v60, v61, 21, 1
	v_add_nc_u32_e32 v60, -1, v60
	v_cndmask_b32_e64 v60, 0, v60, s16
	s_mov_b32 s16, exec_lo
	v_add_nc_u32_e32 v60, v60, v61
	v_and_b32_e32 v60, 0x1fffff, v60
	v_add_nc_u32_e32 v60, v60, v61
                                        ; implicit-def: $vgpr61
	v_cmpx_ne_u32_e64 v101, v59
	s_xor_b32 s16, exec_lo, s16
; %bb.16455:                            ;   in Loop: Header=BB6_15804 Depth=3
	v_cmp_lt_u32_e32 vcc_lo, 0xffffff, v60
	v_sub_nc_u32_e32 v101, v101, v59
	v_cndmask_b32_e64 v59, 0, 1, vcc_lo
	v_add_co_ci_u32_e64 v61, null, 0, v101, vcc_lo
	v_lshrrev_b32_e32 v60, v59, v60
; %bb.16456:                            ;   in Loop: Header=BB6_15804 Depth=3
	s_andn2_saveexec_b32 s16, s16
; %bb.16457:                            ;   in Loop: Header=BB6_15804 Depth=3
	v_bfe_u32 v61, v60, 23, 1
; %bb.16458:                            ;   in Loop: Header=BB6_15804 Depth=3
	s_or_b32 exec_lo, exec_lo, s16
	v_and_b32_sdwa v101, v58, v117 dst_sel:DWORD dst_unused:UNUSED_PAD src0_sel:BYTE_3 src1_sel:DWORD
	v_lshrrev_b32_e32 v58, 21, v60
	v_cmp_gt_i32_e32 vcc_lo, 32, v61
	v_min_i32_e32 v59, 31, v61
	v_cndmask_b32_e32 v58, 3, v58, vcc_lo
	v_lshlrev_b32_e32 v59, 2, v59
	v_or_b32_e32 v60, v61, v58
	v_and_b32_e32 v58, 3, v58
	v_cmp_ne_u32_e32 vcc_lo, 0, v60
	v_or3_b32 v101, v59, v101, v58
	v_cndmask_b32_e32 v101, 0, v101, vcc_lo
.LBB6_16459:                            ;   in Loop: Header=BB6_15804 Depth=3
	s_or_b32 exec_lo, exec_lo, s23
.LBB6_16460:                            ;   in Loop: Header=BB6_15804 Depth=3
	s_or_b32 exec_lo, exec_lo, s22
	v_cmp_gt_i16_sdwa s16, v98, v116 src0_sel:BYTE_0 src1_sel:DWORD
	s_mov_b32 s22, 0
	s_and_saveexec_b32 s23, s16
	s_xor_b32 s16, exec_lo, s23
	s_cbranch_execz .LBB6_17002
; %bb.16461:                            ;   in Loop: Header=BB6_15804 Depth=3
	v_cmp_eq_u16_sdwa s72, v98, v117 src0_sel:BYTE_0 src1_sel:DWORD
	s_mov_b32 s22, -1
	s_and_saveexec_b32 s23, s72
; %bb.16462:                            ;   in Loop: Header=BB6_15804 Depth=3
	s_xor_b32 s22, exec_lo, -1
; %bb.16463:                            ;   in Loop: Header=BB6_15804 Depth=3
	s_or_b32 exec_lo, exec_lo, s23
	s_and_b32 s22, s22, exec_lo
	s_or_saveexec_b32 s16, s16
	v_mov_b32_e32 v58, 0x7f800001
	s_xor_b32 exec_lo, exec_lo, s16
	s_cbranch_execnz .LBB6_17003
.LBB6_16464:                            ;   in Loop: Header=BB6_15804 Depth=3
	s_or_b32 exec_lo, exec_lo, s16
	s_and_saveexec_b32 s16, s22
	s_cbranch_execz .LBB6_16466
.LBB6_16465:                            ;   in Loop: Header=BB6_15804 Depth=3
	v_and_b32_e32 v58, 3, v98
	v_lshrrev_b16 v60, 2, v98
	v_ffbh_u32_e32 v59, v58
	v_and_b32_e32 v60, 31, v60
	v_min_u32_e32 v59, 32, v59
	v_cmp_eq_u32_e32 vcc_lo, 0, v60
	v_subrev_nc_u32_e32 v61, 29, v59
	v_sub_nc_u32_e32 v59, 30, v59
	v_lshlrev_b32_e32 v61, v61, v98
	v_lshlrev_b32_e32 v98, 24, v98
	v_cndmask_b32_e32 v59, v60, v59, vcc_lo
	v_and_b32_e32 v61, 3, v61
	v_and_b32_e32 v98, 0x80000000, v98
	v_lshl_add_u32 v59, v59, 23, 0x37800000
	v_cndmask_b32_e32 v58, v58, v61, vcc_lo
	v_lshlrev_b32_e32 v58, 21, v58
	v_or3_b32 v58, v98, v59, v58
.LBB6_16466:                            ;   in Loop: Header=BB6_15804 Depth=3
	s_or_b32 exec_lo, exec_lo, s16
	s_waitcnt vmcnt(21) lgkmcnt(21)
	v_cmp_gt_i16_sdwa s22, v57, v116 src0_sel:BYTE_0 src1_sel:DWORD
	s_mov_b32 s16, 0
	s_and_saveexec_b32 s23, s22
	s_xor_b32 s22, exec_lo, s23
	s_cbranch_execz .LBB6_17004
; %bb.16467:                            ;   in Loop: Header=BB6_15804 Depth=3
	v_cmp_eq_u16_sdwa s72, v57, v117 src0_sel:BYTE_0 src1_sel:DWORD
	s_mov_b32 s16, -1
	s_and_saveexec_b32 s23, s72
; %bb.16468:                            ;   in Loop: Header=BB6_15804 Depth=3
	s_xor_b32 s16, exec_lo, -1
; %bb.16469:                            ;   in Loop: Header=BB6_15804 Depth=3
	s_or_b32 exec_lo, exec_lo, s23
	s_and_b32 s16, s16, exec_lo
	s_or_saveexec_b32 s22, s22
	v_mov_b32_e32 v98, 0x7f800001
	s_xor_b32 exec_lo, exec_lo, s22
	s_cbranch_execnz .LBB6_17005
.LBB6_16470:                            ;   in Loop: Header=BB6_15804 Depth=3
	s_or_b32 exec_lo, exec_lo, s22
	s_and_saveexec_b32 s22, s16
	s_cbranch_execz .LBB6_16472
.LBB6_16471:                            ;   in Loop: Header=BB6_15804 Depth=3
	v_and_b32_e32 v98, 3, v57
	v_lshrrev_b16 v60, 2, v57
	v_ffbh_u32_e32 v59, v98
	v_and_b32_e32 v60, 31, v60
	v_min_u32_e32 v59, 32, v59
	v_cmp_eq_u32_e32 vcc_lo, 0, v60
	v_subrev_nc_u32_e32 v61, 29, v59
	v_sub_nc_u32_e32 v59, 30, v59
	v_lshlrev_b32_e32 v61, v61, v57
	v_lshlrev_b32_e32 v57, 24, v57
	v_cndmask_b32_e32 v59, v60, v59, vcc_lo
	v_and_b32_e32 v61, 3, v61
	v_and_b32_e32 v57, 0x80000000, v57
	v_lshl_add_u32 v59, v59, 23, 0x37800000
	v_cndmask_b32_e32 v98, v98, v61, vcc_lo
	v_lshlrev_b32_e32 v98, 21, v98
	v_or3_b32 v98, v57, v59, v98
.LBB6_16472:                            ;   in Loop: Header=BB6_15804 Depth=3
	s_or_b32 exec_lo, exec_lo, s22
	v_add_f32_e32 v57, v58, v98
	v_and_b32_e32 v98, 0x7f800000, v57
	v_cmp_ne_u32_e32 vcc_lo, 0x7f800000, v98
	v_mov_b32_e32 v98, 0x80
	s_and_saveexec_b32 s22, vcc_lo
	s_cbranch_execz .LBB6_16480
; %bb.16473:                            ;   in Loop: Header=BB6_15804 Depth=3
	v_mov_b32_e32 v98, 0
	s_mov_b32 s23, exec_lo
	v_cmpx_ne_u32_e32 0, v57
	s_cbranch_execz .LBB6_16479
; %bb.16474:                            ;   in Loop: Header=BB6_15804 Depth=3
	v_bfe_u32 v58, v57, 23, 8
	v_and_b32_e32 v98, 0x7fffff, v57
	v_cmp_gt_u32_e64 s16, 0x71, v58
	v_sub_nc_u32_e32 v59, 0x70, v58
	v_cmp_eq_u32_e32 vcc_lo, 0, v58
	v_or_b32_e32 v60, 0x800000, v98
	v_cndmask_b32_e64 v59, 0, v59, s16
	v_cndmask_b32_e32 v98, v60, v98, vcc_lo
	v_cndmask_b32_e64 v59, v59, 0x6f, vcc_lo
	v_lshl_add_u32 v60, 0x200000, v59, -1
	v_lshlrev_b32_e64 v61, v59, 0x100000
	v_and_b32_e32 v60, v60, v98
	v_cmp_eq_u32_e64 s16, v60, v61
	v_lshrrev_b32_e32 v60, v59, v98
	v_add_nc_u32_e32 v98, 0xffffff91, v58
	v_lshrrev_b32_e32 v58, 23, v60
	v_cndmask_b32_e64 v98, v98, 0xffffff92, vcc_lo
	v_xor_b32_e32 v58, 1, v58
	v_add_nc_u32_e32 v98, v59, v98
	v_bfe_u32 v59, v60, 21, 1
	v_add_nc_u32_e32 v59, -1, v59
	v_cndmask_b32_e64 v59, 0, v59, s16
	s_mov_b32 s16, exec_lo
	v_add_nc_u32_e32 v59, v59, v60
	v_and_b32_e32 v59, 0x1fffff, v59
	v_add_nc_u32_e32 v59, v59, v60
                                        ; implicit-def: $vgpr60
	v_cmpx_ne_u32_e64 v98, v58
	s_xor_b32 s16, exec_lo, s16
; %bb.16475:                            ;   in Loop: Header=BB6_15804 Depth=3
	v_cmp_lt_u32_e32 vcc_lo, 0xffffff, v59
	v_sub_nc_u32_e32 v98, v98, v58
	v_cndmask_b32_e64 v58, 0, 1, vcc_lo
	v_add_co_ci_u32_e64 v60, null, 0, v98, vcc_lo
	v_lshrrev_b32_e32 v59, v58, v59
; %bb.16476:                            ;   in Loop: Header=BB6_15804 Depth=3
	s_andn2_saveexec_b32 s16, s16
; %bb.16477:                            ;   in Loop: Header=BB6_15804 Depth=3
	v_bfe_u32 v60, v59, 23, 1
; %bb.16478:                            ;   in Loop: Header=BB6_15804 Depth=3
	s_or_b32 exec_lo, exec_lo, s16
	v_and_b32_sdwa v98, v57, v117 dst_sel:DWORD dst_unused:UNUSED_PAD src0_sel:BYTE_3 src1_sel:DWORD
	v_lshrrev_b32_e32 v57, 21, v59
	v_cmp_gt_i32_e32 vcc_lo, 32, v60
	v_min_i32_e32 v58, 31, v60
	v_cndmask_b32_e32 v57, 3, v57, vcc_lo
	v_lshlrev_b32_e32 v58, 2, v58
	v_or_b32_e32 v59, v60, v57
	v_and_b32_e32 v57, 3, v57
	v_cmp_ne_u32_e32 vcc_lo, 0, v59
	v_or3_b32 v98, v58, v98, v57
	v_cndmask_b32_e32 v98, 0, v98, vcc_lo
.LBB6_16479:                            ;   in Loop: Header=BB6_15804 Depth=3
	s_or_b32 exec_lo, exec_lo, s23
.LBB6_16480:                            ;   in Loop: Header=BB6_15804 Depth=3
	s_or_b32 exec_lo, exec_lo, s22
	v_cmp_gt_i16_sdwa s16, v97, v116 src0_sel:BYTE_0 src1_sel:DWORD
	s_mov_b32 s22, 0
	s_and_saveexec_b32 s23, s16
	s_xor_b32 s16, exec_lo, s23
	s_cbranch_execz .LBB6_17006
; %bb.16481:                            ;   in Loop: Header=BB6_15804 Depth=3
	v_cmp_eq_u16_sdwa s72, v97, v117 src0_sel:BYTE_0 src1_sel:DWORD
	s_mov_b32 s22, -1
	s_and_saveexec_b32 s23, s72
; %bb.16482:                            ;   in Loop: Header=BB6_15804 Depth=3
	s_xor_b32 s22, exec_lo, -1
; %bb.16483:                            ;   in Loop: Header=BB6_15804 Depth=3
	s_or_b32 exec_lo, exec_lo, s23
	s_and_b32 s22, s22, exec_lo
	s_or_saveexec_b32 s16, s16
	v_mov_b32_e32 v57, 0x7f800001
	s_xor_b32 exec_lo, exec_lo, s16
	s_cbranch_execnz .LBB6_17007
.LBB6_16484:                            ;   in Loop: Header=BB6_15804 Depth=3
	s_or_b32 exec_lo, exec_lo, s16
	s_and_saveexec_b32 s16, s22
	s_cbranch_execz .LBB6_16486
.LBB6_16485:                            ;   in Loop: Header=BB6_15804 Depth=3
	v_and_b32_e32 v57, 3, v97
	v_lshrrev_b16 v59, 2, v97
	v_ffbh_u32_e32 v58, v57
	v_and_b32_e32 v59, 31, v59
	v_min_u32_e32 v58, 32, v58
	v_cmp_eq_u32_e32 vcc_lo, 0, v59
	v_subrev_nc_u32_e32 v60, 29, v58
	v_sub_nc_u32_e32 v58, 30, v58
	v_lshlrev_b32_e32 v60, v60, v97
	v_lshlrev_b32_e32 v97, 24, v97
	v_cndmask_b32_e32 v58, v59, v58, vcc_lo
	v_and_b32_e32 v60, 3, v60
	v_and_b32_e32 v97, 0x80000000, v97
	v_lshl_add_u32 v58, v58, 23, 0x37800000
	v_cndmask_b32_e32 v57, v57, v60, vcc_lo
	v_lshlrev_b32_e32 v57, 21, v57
	v_or3_b32 v57, v97, v58, v57
.LBB6_16486:                            ;   in Loop: Header=BB6_15804 Depth=3
	s_or_b32 exec_lo, exec_lo, s16
	s_waitcnt vmcnt(20) lgkmcnt(20)
	v_cmp_gt_i16_sdwa s22, v56, v116 src0_sel:BYTE_0 src1_sel:DWORD
	s_mov_b32 s16, 0
	s_and_saveexec_b32 s23, s22
	s_xor_b32 s22, exec_lo, s23
	s_cbranch_execz .LBB6_17008
; %bb.16487:                            ;   in Loop: Header=BB6_15804 Depth=3
	v_cmp_eq_u16_sdwa s72, v56, v117 src0_sel:BYTE_0 src1_sel:DWORD
	s_mov_b32 s16, -1
	s_and_saveexec_b32 s23, s72
; %bb.16488:                            ;   in Loop: Header=BB6_15804 Depth=3
	s_xor_b32 s16, exec_lo, -1
; %bb.16489:                            ;   in Loop: Header=BB6_15804 Depth=3
	s_or_b32 exec_lo, exec_lo, s23
	s_and_b32 s16, s16, exec_lo
	s_or_saveexec_b32 s22, s22
	v_mov_b32_e32 v97, 0x7f800001
	s_xor_b32 exec_lo, exec_lo, s22
	s_cbranch_execnz .LBB6_17009
.LBB6_16490:                            ;   in Loop: Header=BB6_15804 Depth=3
	s_or_b32 exec_lo, exec_lo, s22
	s_and_saveexec_b32 s22, s16
	s_cbranch_execz .LBB6_16492
.LBB6_16491:                            ;   in Loop: Header=BB6_15804 Depth=3
	v_and_b32_e32 v97, 3, v56
	v_lshrrev_b16 v59, 2, v56
	v_ffbh_u32_e32 v58, v97
	v_and_b32_e32 v59, 31, v59
	v_min_u32_e32 v58, 32, v58
	v_cmp_eq_u32_e32 vcc_lo, 0, v59
	v_subrev_nc_u32_e32 v60, 29, v58
	v_sub_nc_u32_e32 v58, 30, v58
	v_lshlrev_b32_e32 v60, v60, v56
	v_lshlrev_b32_e32 v56, 24, v56
	v_cndmask_b32_e32 v58, v59, v58, vcc_lo
	v_and_b32_e32 v60, 3, v60
	v_and_b32_e32 v56, 0x80000000, v56
	v_lshl_add_u32 v58, v58, 23, 0x37800000
	v_cndmask_b32_e32 v97, v97, v60, vcc_lo
	v_lshlrev_b32_e32 v97, 21, v97
	v_or3_b32 v97, v56, v58, v97
.LBB6_16492:                            ;   in Loop: Header=BB6_15804 Depth=3
	s_or_b32 exec_lo, exec_lo, s22
	v_add_f32_e32 v56, v57, v97
	v_and_b32_e32 v97, 0x7f800000, v56
	v_cmp_ne_u32_e32 vcc_lo, 0x7f800000, v97
	v_mov_b32_e32 v97, 0x80
	s_and_saveexec_b32 s22, vcc_lo
	s_cbranch_execz .LBB6_16500
; %bb.16493:                            ;   in Loop: Header=BB6_15804 Depth=3
	v_mov_b32_e32 v97, 0
	s_mov_b32 s23, exec_lo
	v_cmpx_ne_u32_e32 0, v56
	s_cbranch_execz .LBB6_16499
; %bb.16494:                            ;   in Loop: Header=BB6_15804 Depth=3
	v_bfe_u32 v57, v56, 23, 8
	v_and_b32_e32 v97, 0x7fffff, v56
	v_cmp_gt_u32_e64 s16, 0x71, v57
	v_sub_nc_u32_e32 v58, 0x70, v57
	v_cmp_eq_u32_e32 vcc_lo, 0, v57
	v_or_b32_e32 v59, 0x800000, v97
	v_cndmask_b32_e64 v58, 0, v58, s16
	v_cndmask_b32_e32 v97, v59, v97, vcc_lo
	v_cndmask_b32_e64 v58, v58, 0x6f, vcc_lo
	v_lshl_add_u32 v59, 0x200000, v58, -1
	v_lshlrev_b32_e64 v60, v58, 0x100000
	v_and_b32_e32 v59, v59, v97
	v_cmp_eq_u32_e64 s16, v59, v60
	v_lshrrev_b32_e32 v59, v58, v97
	v_add_nc_u32_e32 v97, 0xffffff91, v57
	v_lshrrev_b32_e32 v57, 23, v59
	v_cndmask_b32_e64 v97, v97, 0xffffff92, vcc_lo
	v_xor_b32_e32 v57, 1, v57
	v_add_nc_u32_e32 v97, v58, v97
	v_bfe_u32 v58, v59, 21, 1
	v_add_nc_u32_e32 v58, -1, v58
	v_cndmask_b32_e64 v58, 0, v58, s16
	s_mov_b32 s16, exec_lo
	v_add_nc_u32_e32 v58, v58, v59
	v_and_b32_e32 v58, 0x1fffff, v58
	v_add_nc_u32_e32 v58, v58, v59
                                        ; implicit-def: $vgpr59
	v_cmpx_ne_u32_e64 v97, v57
	s_xor_b32 s16, exec_lo, s16
; %bb.16495:                            ;   in Loop: Header=BB6_15804 Depth=3
	v_cmp_lt_u32_e32 vcc_lo, 0xffffff, v58
	v_sub_nc_u32_e32 v97, v97, v57
	v_cndmask_b32_e64 v57, 0, 1, vcc_lo
	v_add_co_ci_u32_e64 v59, null, 0, v97, vcc_lo
	v_lshrrev_b32_e32 v58, v57, v58
; %bb.16496:                            ;   in Loop: Header=BB6_15804 Depth=3
	s_andn2_saveexec_b32 s16, s16
; %bb.16497:                            ;   in Loop: Header=BB6_15804 Depth=3
	v_bfe_u32 v59, v58, 23, 1
; %bb.16498:                            ;   in Loop: Header=BB6_15804 Depth=3
	s_or_b32 exec_lo, exec_lo, s16
	v_and_b32_sdwa v97, v56, v117 dst_sel:DWORD dst_unused:UNUSED_PAD src0_sel:BYTE_3 src1_sel:DWORD
	v_lshrrev_b32_e32 v56, 21, v58
	v_cmp_gt_i32_e32 vcc_lo, 32, v59
	v_min_i32_e32 v57, 31, v59
	v_cndmask_b32_e32 v56, 3, v56, vcc_lo
	v_lshlrev_b32_e32 v57, 2, v57
	v_or_b32_e32 v58, v59, v56
	v_and_b32_e32 v56, 3, v56
	v_cmp_ne_u32_e32 vcc_lo, 0, v58
	v_or3_b32 v97, v57, v97, v56
	v_cndmask_b32_e32 v97, 0, v97, vcc_lo
.LBB6_16499:                            ;   in Loop: Header=BB6_15804 Depth=3
	s_or_b32 exec_lo, exec_lo, s23
.LBB6_16500:                            ;   in Loop: Header=BB6_15804 Depth=3
	s_or_b32 exec_lo, exec_lo, s22
	v_cmp_gt_i16_sdwa s16, v86, v116 src0_sel:BYTE_0 src1_sel:DWORD
	s_mov_b32 s22, 0
	s_and_saveexec_b32 s23, s16
	s_xor_b32 s16, exec_lo, s23
	s_cbranch_execz .LBB6_17010
; %bb.16501:                            ;   in Loop: Header=BB6_15804 Depth=3
	v_cmp_eq_u16_sdwa s72, v86, v117 src0_sel:BYTE_0 src1_sel:DWORD
	s_mov_b32 s22, -1
	s_and_saveexec_b32 s23, s72
; %bb.16502:                            ;   in Loop: Header=BB6_15804 Depth=3
	s_xor_b32 s22, exec_lo, -1
; %bb.16503:                            ;   in Loop: Header=BB6_15804 Depth=3
	s_or_b32 exec_lo, exec_lo, s23
	s_and_b32 s22, s22, exec_lo
	s_or_saveexec_b32 s16, s16
	v_mov_b32_e32 v56, 0x7f800001
	s_xor_b32 exec_lo, exec_lo, s16
	s_cbranch_execnz .LBB6_17011
.LBB6_16504:                            ;   in Loop: Header=BB6_15804 Depth=3
	s_or_b32 exec_lo, exec_lo, s16
	s_and_saveexec_b32 s16, s22
	s_cbranch_execz .LBB6_16506
.LBB6_16505:                            ;   in Loop: Header=BB6_15804 Depth=3
	v_and_b32_e32 v56, 3, v86
	v_lshrrev_b16 v58, 2, v86
	v_ffbh_u32_e32 v57, v56
	v_and_b32_e32 v58, 31, v58
	v_min_u32_e32 v57, 32, v57
	v_cmp_eq_u32_e32 vcc_lo, 0, v58
	v_subrev_nc_u32_e32 v59, 29, v57
	v_sub_nc_u32_e32 v57, 30, v57
	v_lshlrev_b32_e32 v59, v59, v86
	v_lshlrev_b32_e32 v86, 24, v86
	v_cndmask_b32_e32 v57, v58, v57, vcc_lo
	v_and_b32_e32 v59, 3, v59
	v_and_b32_e32 v86, 0x80000000, v86
	v_lshl_add_u32 v57, v57, 23, 0x37800000
	v_cndmask_b32_e32 v56, v56, v59, vcc_lo
	v_lshlrev_b32_e32 v56, 21, v56
	v_or3_b32 v56, v86, v57, v56
.LBB6_16506:                            ;   in Loop: Header=BB6_15804 Depth=3
	s_or_b32 exec_lo, exec_lo, s16
	s_waitcnt vmcnt(19) lgkmcnt(19)
	v_cmp_gt_i16_sdwa s22, v45, v116 src0_sel:BYTE_0 src1_sel:DWORD
	s_mov_b32 s16, 0
	s_and_saveexec_b32 s23, s22
	s_xor_b32 s22, exec_lo, s23
	s_cbranch_execz .LBB6_17012
; %bb.16507:                            ;   in Loop: Header=BB6_15804 Depth=3
	v_cmp_eq_u16_sdwa s72, v45, v117 src0_sel:BYTE_0 src1_sel:DWORD
	s_mov_b32 s16, -1
	s_and_saveexec_b32 s23, s72
; %bb.16508:                            ;   in Loop: Header=BB6_15804 Depth=3
	s_xor_b32 s16, exec_lo, -1
; %bb.16509:                            ;   in Loop: Header=BB6_15804 Depth=3
	s_or_b32 exec_lo, exec_lo, s23
	s_and_b32 s16, s16, exec_lo
	s_or_saveexec_b32 s22, s22
	v_mov_b32_e32 v86, 0x7f800001
	s_xor_b32 exec_lo, exec_lo, s22
	s_cbranch_execnz .LBB6_17013
.LBB6_16510:                            ;   in Loop: Header=BB6_15804 Depth=3
	s_or_b32 exec_lo, exec_lo, s22
	s_and_saveexec_b32 s22, s16
	s_cbranch_execz .LBB6_16512
.LBB6_16511:                            ;   in Loop: Header=BB6_15804 Depth=3
	v_and_b32_e32 v86, 3, v45
	v_lshrrev_b16 v58, 2, v45
	v_ffbh_u32_e32 v57, v86
	v_and_b32_e32 v58, 31, v58
	v_min_u32_e32 v57, 32, v57
	v_cmp_eq_u32_e32 vcc_lo, 0, v58
	v_subrev_nc_u32_e32 v59, 29, v57
	v_sub_nc_u32_e32 v57, 30, v57
	v_lshlrev_b32_e32 v59, v59, v45
	v_lshlrev_b32_e32 v45, 24, v45
	v_cndmask_b32_e32 v57, v58, v57, vcc_lo
	v_and_b32_e32 v59, 3, v59
	v_and_b32_e32 v45, 0x80000000, v45
	v_lshl_add_u32 v57, v57, 23, 0x37800000
	v_cndmask_b32_e32 v86, v86, v59, vcc_lo
	v_lshlrev_b32_e32 v86, 21, v86
	v_or3_b32 v86, v45, v57, v86
.LBB6_16512:                            ;   in Loop: Header=BB6_15804 Depth=3
	s_or_b32 exec_lo, exec_lo, s22
	v_add_f32_e32 v45, v56, v86
	v_and_b32_e32 v86, 0x7f800000, v45
	v_cmp_ne_u32_e32 vcc_lo, 0x7f800000, v86
	v_mov_b32_e32 v86, 0x80
	s_and_saveexec_b32 s22, vcc_lo
	s_cbranch_execz .LBB6_16520
; %bb.16513:                            ;   in Loop: Header=BB6_15804 Depth=3
	v_mov_b32_e32 v86, 0
	s_mov_b32 s23, exec_lo
	v_cmpx_ne_u32_e32 0, v45
	s_cbranch_execz .LBB6_16519
; %bb.16514:                            ;   in Loop: Header=BB6_15804 Depth=3
	v_bfe_u32 v56, v45, 23, 8
	v_and_b32_e32 v86, 0x7fffff, v45
	v_cmp_gt_u32_e64 s16, 0x71, v56
	v_sub_nc_u32_e32 v57, 0x70, v56
	v_cmp_eq_u32_e32 vcc_lo, 0, v56
	v_or_b32_e32 v58, 0x800000, v86
	v_cndmask_b32_e64 v57, 0, v57, s16
	v_cndmask_b32_e32 v86, v58, v86, vcc_lo
	v_cndmask_b32_e64 v57, v57, 0x6f, vcc_lo
	v_lshl_add_u32 v58, 0x200000, v57, -1
	v_lshlrev_b32_e64 v59, v57, 0x100000
	v_and_b32_e32 v58, v58, v86
	v_cmp_eq_u32_e64 s16, v58, v59
	v_lshrrev_b32_e32 v58, v57, v86
	v_add_nc_u32_e32 v86, 0xffffff91, v56
	v_lshrrev_b32_e32 v56, 23, v58
	v_cndmask_b32_e64 v86, v86, 0xffffff92, vcc_lo
	v_xor_b32_e32 v56, 1, v56
	v_add_nc_u32_e32 v86, v57, v86
	v_bfe_u32 v57, v58, 21, 1
	v_add_nc_u32_e32 v57, -1, v57
	v_cndmask_b32_e64 v57, 0, v57, s16
	s_mov_b32 s16, exec_lo
	v_add_nc_u32_e32 v57, v57, v58
	v_and_b32_e32 v57, 0x1fffff, v57
	v_add_nc_u32_e32 v57, v57, v58
                                        ; implicit-def: $vgpr58
	v_cmpx_ne_u32_e64 v86, v56
	s_xor_b32 s16, exec_lo, s16
; %bb.16515:                            ;   in Loop: Header=BB6_15804 Depth=3
	v_cmp_lt_u32_e32 vcc_lo, 0xffffff, v57
	v_sub_nc_u32_e32 v86, v86, v56
	v_cndmask_b32_e64 v56, 0, 1, vcc_lo
	v_add_co_ci_u32_e64 v58, null, 0, v86, vcc_lo
	v_lshrrev_b32_e32 v57, v56, v57
; %bb.16516:                            ;   in Loop: Header=BB6_15804 Depth=3
	s_andn2_saveexec_b32 s16, s16
; %bb.16517:                            ;   in Loop: Header=BB6_15804 Depth=3
	v_bfe_u32 v58, v57, 23, 1
; %bb.16518:                            ;   in Loop: Header=BB6_15804 Depth=3
	s_or_b32 exec_lo, exec_lo, s16
	v_and_b32_sdwa v86, v45, v117 dst_sel:DWORD dst_unused:UNUSED_PAD src0_sel:BYTE_3 src1_sel:DWORD
	v_lshrrev_b32_e32 v45, 21, v57
	v_cmp_gt_i32_e32 vcc_lo, 32, v58
	v_min_i32_e32 v56, 31, v58
	v_cndmask_b32_e32 v45, 3, v45, vcc_lo
	v_lshlrev_b32_e32 v56, 2, v56
	v_or_b32_e32 v57, v58, v45
	v_and_b32_e32 v45, 3, v45
	v_cmp_ne_u32_e32 vcc_lo, 0, v57
	v_or3_b32 v86, v56, v86, v45
	v_cndmask_b32_e32 v86, 0, v86, vcc_lo
.LBB6_16519:                            ;   in Loop: Header=BB6_15804 Depth=3
	s_or_b32 exec_lo, exec_lo, s23
.LBB6_16520:                            ;   in Loop: Header=BB6_15804 Depth=3
	s_or_b32 exec_lo, exec_lo, s22
	v_cmp_gt_i16_sdwa s16, v85, v116 src0_sel:BYTE_0 src1_sel:DWORD
	s_mov_b32 s22, 0
	s_and_saveexec_b32 s23, s16
	s_xor_b32 s16, exec_lo, s23
	s_cbranch_execz .LBB6_17014
; %bb.16521:                            ;   in Loop: Header=BB6_15804 Depth=3
	v_cmp_eq_u16_sdwa s72, v85, v117 src0_sel:BYTE_0 src1_sel:DWORD
	s_mov_b32 s22, -1
	s_and_saveexec_b32 s23, s72
; %bb.16522:                            ;   in Loop: Header=BB6_15804 Depth=3
	s_xor_b32 s22, exec_lo, -1
; %bb.16523:                            ;   in Loop: Header=BB6_15804 Depth=3
	s_or_b32 exec_lo, exec_lo, s23
	s_and_b32 s22, s22, exec_lo
	s_or_saveexec_b32 s16, s16
	v_mov_b32_e32 v45, 0x7f800001
	s_xor_b32 exec_lo, exec_lo, s16
	s_cbranch_execnz .LBB6_17015
.LBB6_16524:                            ;   in Loop: Header=BB6_15804 Depth=3
	s_or_b32 exec_lo, exec_lo, s16
	s_and_saveexec_b32 s16, s22
	s_cbranch_execz .LBB6_16526
.LBB6_16525:                            ;   in Loop: Header=BB6_15804 Depth=3
	v_and_b32_e32 v45, 3, v85
	v_lshrrev_b16 v57, 2, v85
	v_ffbh_u32_e32 v56, v45
	v_and_b32_e32 v57, 31, v57
	v_min_u32_e32 v56, 32, v56
	v_cmp_eq_u32_e32 vcc_lo, 0, v57
	v_subrev_nc_u32_e32 v58, 29, v56
	v_sub_nc_u32_e32 v56, 30, v56
	v_lshlrev_b32_e32 v58, v58, v85
	v_lshlrev_b32_e32 v85, 24, v85
	v_cndmask_b32_e32 v56, v57, v56, vcc_lo
	v_and_b32_e32 v58, 3, v58
	v_and_b32_e32 v85, 0x80000000, v85
	v_lshl_add_u32 v56, v56, 23, 0x37800000
	v_cndmask_b32_e32 v45, v45, v58, vcc_lo
	v_lshlrev_b32_e32 v45, 21, v45
	v_or3_b32 v45, v85, v56, v45
.LBB6_16526:                            ;   in Loop: Header=BB6_15804 Depth=3
	s_or_b32 exec_lo, exec_lo, s16
	s_waitcnt vmcnt(18) lgkmcnt(18)
	v_cmp_gt_i16_sdwa s22, v44, v116 src0_sel:BYTE_0 src1_sel:DWORD
	s_mov_b32 s16, 0
	s_and_saveexec_b32 s23, s22
	s_xor_b32 s22, exec_lo, s23
	s_cbranch_execz .LBB6_17016
; %bb.16527:                            ;   in Loop: Header=BB6_15804 Depth=3
	v_cmp_eq_u16_sdwa s72, v44, v117 src0_sel:BYTE_0 src1_sel:DWORD
	s_mov_b32 s16, -1
	s_and_saveexec_b32 s23, s72
; %bb.16528:                            ;   in Loop: Header=BB6_15804 Depth=3
	s_xor_b32 s16, exec_lo, -1
; %bb.16529:                            ;   in Loop: Header=BB6_15804 Depth=3
	s_or_b32 exec_lo, exec_lo, s23
	s_and_b32 s16, s16, exec_lo
	s_or_saveexec_b32 s22, s22
	v_mov_b32_e32 v85, 0x7f800001
	s_xor_b32 exec_lo, exec_lo, s22
	s_cbranch_execnz .LBB6_17017
.LBB6_16530:                            ;   in Loop: Header=BB6_15804 Depth=3
	s_or_b32 exec_lo, exec_lo, s22
	s_and_saveexec_b32 s22, s16
	s_cbranch_execz .LBB6_16532
.LBB6_16531:                            ;   in Loop: Header=BB6_15804 Depth=3
	v_and_b32_e32 v85, 3, v44
	v_lshrrev_b16 v57, 2, v44
	v_ffbh_u32_e32 v56, v85
	v_and_b32_e32 v57, 31, v57
	v_min_u32_e32 v56, 32, v56
	v_cmp_eq_u32_e32 vcc_lo, 0, v57
	v_subrev_nc_u32_e32 v58, 29, v56
	v_sub_nc_u32_e32 v56, 30, v56
	v_lshlrev_b32_e32 v58, v58, v44
	v_lshlrev_b32_e32 v44, 24, v44
	v_cndmask_b32_e32 v56, v57, v56, vcc_lo
	v_and_b32_e32 v58, 3, v58
	v_and_b32_e32 v44, 0x80000000, v44
	v_lshl_add_u32 v56, v56, 23, 0x37800000
	v_cndmask_b32_e32 v85, v85, v58, vcc_lo
	v_lshlrev_b32_e32 v85, 21, v85
	v_or3_b32 v85, v44, v56, v85
.LBB6_16532:                            ;   in Loop: Header=BB6_15804 Depth=3
	s_or_b32 exec_lo, exec_lo, s22
	v_add_f32_e32 v44, v45, v85
	v_and_b32_e32 v85, 0x7f800000, v44
	v_cmp_ne_u32_e32 vcc_lo, 0x7f800000, v85
	v_mov_b32_e32 v85, 0x80
	s_and_saveexec_b32 s22, vcc_lo
	s_cbranch_execz .LBB6_16540
; %bb.16533:                            ;   in Loop: Header=BB6_15804 Depth=3
	v_mov_b32_e32 v85, 0
	s_mov_b32 s23, exec_lo
	v_cmpx_ne_u32_e32 0, v44
	s_cbranch_execz .LBB6_16539
; %bb.16534:                            ;   in Loop: Header=BB6_15804 Depth=3
	v_bfe_u32 v45, v44, 23, 8
	v_and_b32_e32 v85, 0x7fffff, v44
	v_cmp_gt_u32_e64 s16, 0x71, v45
	v_sub_nc_u32_e32 v56, 0x70, v45
	v_cmp_eq_u32_e32 vcc_lo, 0, v45
	v_or_b32_e32 v57, 0x800000, v85
	v_cndmask_b32_e64 v56, 0, v56, s16
	v_cndmask_b32_e32 v85, v57, v85, vcc_lo
	v_cndmask_b32_e64 v56, v56, 0x6f, vcc_lo
	v_lshl_add_u32 v57, 0x200000, v56, -1
	v_lshlrev_b32_e64 v58, v56, 0x100000
	v_and_b32_e32 v57, v57, v85
	v_cmp_eq_u32_e64 s16, v57, v58
	v_lshrrev_b32_e32 v57, v56, v85
	v_add_nc_u32_e32 v85, 0xffffff91, v45
	v_lshrrev_b32_e32 v45, 23, v57
	v_cndmask_b32_e64 v85, v85, 0xffffff92, vcc_lo
	v_xor_b32_e32 v45, 1, v45
	v_add_nc_u32_e32 v85, v56, v85
	v_bfe_u32 v56, v57, 21, 1
	v_add_nc_u32_e32 v56, -1, v56
	v_cndmask_b32_e64 v56, 0, v56, s16
	s_mov_b32 s16, exec_lo
	v_add_nc_u32_e32 v56, v56, v57
	v_and_b32_e32 v56, 0x1fffff, v56
	v_add_nc_u32_e32 v56, v56, v57
                                        ; implicit-def: $vgpr57
	v_cmpx_ne_u32_e64 v85, v45
	s_xor_b32 s16, exec_lo, s16
; %bb.16535:                            ;   in Loop: Header=BB6_15804 Depth=3
	v_cmp_lt_u32_e32 vcc_lo, 0xffffff, v56
	v_sub_nc_u32_e32 v85, v85, v45
	v_cndmask_b32_e64 v45, 0, 1, vcc_lo
	v_add_co_ci_u32_e64 v57, null, 0, v85, vcc_lo
	v_lshrrev_b32_e32 v56, v45, v56
; %bb.16536:                            ;   in Loop: Header=BB6_15804 Depth=3
	s_andn2_saveexec_b32 s16, s16
; %bb.16537:                            ;   in Loop: Header=BB6_15804 Depth=3
	v_bfe_u32 v57, v56, 23, 1
; %bb.16538:                            ;   in Loop: Header=BB6_15804 Depth=3
	s_or_b32 exec_lo, exec_lo, s16
	v_and_b32_sdwa v85, v44, v117 dst_sel:DWORD dst_unused:UNUSED_PAD src0_sel:BYTE_3 src1_sel:DWORD
	v_lshrrev_b32_e32 v44, 21, v56
	v_cmp_gt_i32_e32 vcc_lo, 32, v57
	v_min_i32_e32 v45, 31, v57
	v_cndmask_b32_e32 v44, 3, v44, vcc_lo
	v_lshlrev_b32_e32 v45, 2, v45
	v_or_b32_e32 v56, v57, v44
	v_and_b32_e32 v44, 3, v44
	v_cmp_ne_u32_e32 vcc_lo, 0, v56
	v_or3_b32 v85, v45, v85, v44
	v_cndmask_b32_e32 v85, 0, v85, vcc_lo
.LBB6_16539:                            ;   in Loop: Header=BB6_15804 Depth=3
	s_or_b32 exec_lo, exec_lo, s23
.LBB6_16540:                            ;   in Loop: Header=BB6_15804 Depth=3
	s_or_b32 exec_lo, exec_lo, s22
	v_cmp_gt_i16_sdwa s16, v82, v116 src0_sel:BYTE_0 src1_sel:DWORD
	s_mov_b32 s22, 0
	s_and_saveexec_b32 s23, s16
	s_xor_b32 s16, exec_lo, s23
	s_cbranch_execz .LBB6_17018
; %bb.16541:                            ;   in Loop: Header=BB6_15804 Depth=3
	v_cmp_eq_u16_sdwa s72, v82, v117 src0_sel:BYTE_0 src1_sel:DWORD
	s_mov_b32 s22, -1
	s_and_saveexec_b32 s23, s72
; %bb.16542:                            ;   in Loop: Header=BB6_15804 Depth=3
	s_xor_b32 s22, exec_lo, -1
; %bb.16543:                            ;   in Loop: Header=BB6_15804 Depth=3
	s_or_b32 exec_lo, exec_lo, s23
	s_and_b32 s22, s22, exec_lo
	s_or_saveexec_b32 s16, s16
	v_mov_b32_e32 v44, 0x7f800001
	s_xor_b32 exec_lo, exec_lo, s16
	s_cbranch_execnz .LBB6_17019
.LBB6_16544:                            ;   in Loop: Header=BB6_15804 Depth=3
	s_or_b32 exec_lo, exec_lo, s16
	s_and_saveexec_b32 s16, s22
	s_cbranch_execz .LBB6_16546
.LBB6_16545:                            ;   in Loop: Header=BB6_15804 Depth=3
	v_and_b32_e32 v44, 3, v82
	v_lshrrev_b16 v56, 2, v82
	v_ffbh_u32_e32 v45, v44
	v_and_b32_e32 v56, 31, v56
	v_min_u32_e32 v45, 32, v45
	v_cmp_eq_u32_e32 vcc_lo, 0, v56
	v_subrev_nc_u32_e32 v57, 29, v45
	v_sub_nc_u32_e32 v45, 30, v45
	v_lshlrev_b32_e32 v57, v57, v82
	v_lshlrev_b32_e32 v82, 24, v82
	v_cndmask_b32_e32 v45, v56, v45, vcc_lo
	v_and_b32_e32 v57, 3, v57
	v_and_b32_e32 v82, 0x80000000, v82
	v_lshl_add_u32 v45, v45, 23, 0x37800000
	v_cndmask_b32_e32 v44, v44, v57, vcc_lo
	v_lshlrev_b32_e32 v44, 21, v44
	v_or3_b32 v44, v82, v45, v44
.LBB6_16546:                            ;   in Loop: Header=BB6_15804 Depth=3
	s_or_b32 exec_lo, exec_lo, s16
	s_waitcnt vmcnt(17) lgkmcnt(17)
	v_cmp_gt_i16_sdwa s22, v43, v116 src0_sel:BYTE_0 src1_sel:DWORD
	s_mov_b32 s16, 0
	s_and_saveexec_b32 s23, s22
	s_xor_b32 s22, exec_lo, s23
	s_cbranch_execz .LBB6_17020
; %bb.16547:                            ;   in Loop: Header=BB6_15804 Depth=3
	v_cmp_eq_u16_sdwa s72, v43, v117 src0_sel:BYTE_0 src1_sel:DWORD
	s_mov_b32 s16, -1
	s_and_saveexec_b32 s23, s72
; %bb.16548:                            ;   in Loop: Header=BB6_15804 Depth=3
	s_xor_b32 s16, exec_lo, -1
; %bb.16549:                            ;   in Loop: Header=BB6_15804 Depth=3
	s_or_b32 exec_lo, exec_lo, s23
	s_and_b32 s16, s16, exec_lo
	s_or_saveexec_b32 s22, s22
	v_mov_b32_e32 v82, 0x7f800001
	s_xor_b32 exec_lo, exec_lo, s22
	s_cbranch_execnz .LBB6_17021
.LBB6_16550:                            ;   in Loop: Header=BB6_15804 Depth=3
	s_or_b32 exec_lo, exec_lo, s22
	s_and_saveexec_b32 s22, s16
	s_cbranch_execz .LBB6_16552
.LBB6_16551:                            ;   in Loop: Header=BB6_15804 Depth=3
	v_and_b32_e32 v82, 3, v43
	v_lshrrev_b16 v56, 2, v43
	v_ffbh_u32_e32 v45, v82
	v_and_b32_e32 v56, 31, v56
	v_min_u32_e32 v45, 32, v45
	v_cmp_eq_u32_e32 vcc_lo, 0, v56
	v_subrev_nc_u32_e32 v57, 29, v45
	v_sub_nc_u32_e32 v45, 30, v45
	v_lshlrev_b32_e32 v57, v57, v43
	v_lshlrev_b32_e32 v43, 24, v43
	v_cndmask_b32_e32 v45, v56, v45, vcc_lo
	v_and_b32_e32 v57, 3, v57
	v_and_b32_e32 v43, 0x80000000, v43
	v_lshl_add_u32 v45, v45, 23, 0x37800000
	v_cndmask_b32_e32 v82, v82, v57, vcc_lo
	v_lshlrev_b32_e32 v82, 21, v82
	v_or3_b32 v82, v43, v45, v82
.LBB6_16552:                            ;   in Loop: Header=BB6_15804 Depth=3
	s_or_b32 exec_lo, exec_lo, s22
	v_add_f32_e32 v43, v44, v82
	v_and_b32_e32 v82, 0x7f800000, v43
	v_cmp_ne_u32_e32 vcc_lo, 0x7f800000, v82
	v_mov_b32_e32 v82, 0x80
	s_and_saveexec_b32 s22, vcc_lo
	s_cbranch_execz .LBB6_16560
; %bb.16553:                            ;   in Loop: Header=BB6_15804 Depth=3
	v_mov_b32_e32 v82, 0
	s_mov_b32 s23, exec_lo
	v_cmpx_ne_u32_e32 0, v43
	s_cbranch_execz .LBB6_16559
; %bb.16554:                            ;   in Loop: Header=BB6_15804 Depth=3
	v_bfe_u32 v44, v43, 23, 8
	v_and_b32_e32 v82, 0x7fffff, v43
	v_cmp_gt_u32_e64 s16, 0x71, v44
	v_sub_nc_u32_e32 v45, 0x70, v44
	v_cmp_eq_u32_e32 vcc_lo, 0, v44
	v_or_b32_e32 v56, 0x800000, v82
	v_cndmask_b32_e64 v45, 0, v45, s16
	v_cndmask_b32_e32 v82, v56, v82, vcc_lo
	v_cndmask_b32_e64 v45, v45, 0x6f, vcc_lo
	v_lshl_add_u32 v56, 0x200000, v45, -1
	v_lshlrev_b32_e64 v57, v45, 0x100000
	v_and_b32_e32 v56, v56, v82
	v_cmp_eq_u32_e64 s16, v56, v57
	v_lshrrev_b32_e32 v56, v45, v82
	v_add_nc_u32_e32 v82, 0xffffff91, v44
	v_lshrrev_b32_e32 v44, 23, v56
	v_cndmask_b32_e64 v82, v82, 0xffffff92, vcc_lo
	v_xor_b32_e32 v44, 1, v44
	v_add_nc_u32_e32 v82, v45, v82
	v_bfe_u32 v45, v56, 21, 1
	v_add_nc_u32_e32 v45, -1, v45
	v_cndmask_b32_e64 v45, 0, v45, s16
	s_mov_b32 s16, exec_lo
	v_add_nc_u32_e32 v45, v45, v56
	v_and_b32_e32 v45, 0x1fffff, v45
	v_add_nc_u32_e32 v45, v45, v56
                                        ; implicit-def: $vgpr56
	v_cmpx_ne_u32_e64 v82, v44
	s_xor_b32 s16, exec_lo, s16
; %bb.16555:                            ;   in Loop: Header=BB6_15804 Depth=3
	v_cmp_lt_u32_e32 vcc_lo, 0xffffff, v45
	v_sub_nc_u32_e32 v82, v82, v44
	v_cndmask_b32_e64 v44, 0, 1, vcc_lo
	v_add_co_ci_u32_e64 v56, null, 0, v82, vcc_lo
	v_lshrrev_b32_e32 v45, v44, v45
; %bb.16556:                            ;   in Loop: Header=BB6_15804 Depth=3
	s_andn2_saveexec_b32 s16, s16
; %bb.16557:                            ;   in Loop: Header=BB6_15804 Depth=3
	v_bfe_u32 v56, v45, 23, 1
; %bb.16558:                            ;   in Loop: Header=BB6_15804 Depth=3
	s_or_b32 exec_lo, exec_lo, s16
	v_and_b32_sdwa v82, v43, v117 dst_sel:DWORD dst_unused:UNUSED_PAD src0_sel:BYTE_3 src1_sel:DWORD
	v_lshrrev_b32_e32 v43, 21, v45
	v_cmp_gt_i32_e32 vcc_lo, 32, v56
	v_min_i32_e32 v44, 31, v56
	v_cndmask_b32_e32 v43, 3, v43, vcc_lo
	v_lshlrev_b32_e32 v44, 2, v44
	v_or_b32_e32 v45, v56, v43
	v_and_b32_e32 v43, 3, v43
	v_cmp_ne_u32_e32 vcc_lo, 0, v45
	v_or3_b32 v82, v44, v82, v43
	v_cndmask_b32_e32 v82, 0, v82, vcc_lo
.LBB6_16559:                            ;   in Loop: Header=BB6_15804 Depth=3
	s_or_b32 exec_lo, exec_lo, s23
.LBB6_16560:                            ;   in Loop: Header=BB6_15804 Depth=3
	s_or_b32 exec_lo, exec_lo, s22
	v_cmp_gt_i16_sdwa s16, v81, v116 src0_sel:BYTE_0 src1_sel:DWORD
	s_mov_b32 s22, 0
	s_and_saveexec_b32 s23, s16
	s_xor_b32 s16, exec_lo, s23
	s_cbranch_execz .LBB6_17022
; %bb.16561:                            ;   in Loop: Header=BB6_15804 Depth=3
	v_cmp_eq_u16_sdwa s72, v81, v117 src0_sel:BYTE_0 src1_sel:DWORD
	s_mov_b32 s22, -1
	s_and_saveexec_b32 s23, s72
; %bb.16562:                            ;   in Loop: Header=BB6_15804 Depth=3
	s_xor_b32 s22, exec_lo, -1
; %bb.16563:                            ;   in Loop: Header=BB6_15804 Depth=3
	s_or_b32 exec_lo, exec_lo, s23
	s_and_b32 s22, s22, exec_lo
	s_or_saveexec_b32 s16, s16
	v_mov_b32_e32 v43, 0x7f800001
	s_xor_b32 exec_lo, exec_lo, s16
	s_cbranch_execnz .LBB6_17023
.LBB6_16564:                            ;   in Loop: Header=BB6_15804 Depth=3
	s_or_b32 exec_lo, exec_lo, s16
	s_and_saveexec_b32 s16, s22
	s_cbranch_execz .LBB6_16566
.LBB6_16565:                            ;   in Loop: Header=BB6_15804 Depth=3
	v_and_b32_e32 v43, 3, v81
	v_lshrrev_b16 v45, 2, v81
	v_ffbh_u32_e32 v44, v43
	v_and_b32_e32 v45, 31, v45
	v_min_u32_e32 v44, 32, v44
	v_cmp_eq_u32_e32 vcc_lo, 0, v45
	v_subrev_nc_u32_e32 v56, 29, v44
	v_sub_nc_u32_e32 v44, 30, v44
	v_lshlrev_b32_e32 v56, v56, v81
	v_lshlrev_b32_e32 v81, 24, v81
	v_cndmask_b32_e32 v44, v45, v44, vcc_lo
	v_and_b32_e32 v56, 3, v56
	v_and_b32_e32 v81, 0x80000000, v81
	v_lshl_add_u32 v44, v44, 23, 0x37800000
	v_cndmask_b32_e32 v43, v43, v56, vcc_lo
	v_lshlrev_b32_e32 v43, 21, v43
	v_or3_b32 v43, v81, v44, v43
.LBB6_16566:                            ;   in Loop: Header=BB6_15804 Depth=3
	s_or_b32 exec_lo, exec_lo, s16
	s_waitcnt vmcnt(16) lgkmcnt(16)
	v_cmp_gt_i16_sdwa s22, v42, v116 src0_sel:BYTE_0 src1_sel:DWORD
	s_mov_b32 s16, 0
	s_and_saveexec_b32 s23, s22
	s_xor_b32 s22, exec_lo, s23
	s_cbranch_execz .LBB6_17024
; %bb.16567:                            ;   in Loop: Header=BB6_15804 Depth=3
	v_cmp_eq_u16_sdwa s72, v42, v117 src0_sel:BYTE_0 src1_sel:DWORD
	s_mov_b32 s16, -1
	s_and_saveexec_b32 s23, s72
; %bb.16568:                            ;   in Loop: Header=BB6_15804 Depth=3
	s_xor_b32 s16, exec_lo, -1
; %bb.16569:                            ;   in Loop: Header=BB6_15804 Depth=3
	s_or_b32 exec_lo, exec_lo, s23
	s_and_b32 s16, s16, exec_lo
	s_or_saveexec_b32 s22, s22
	v_mov_b32_e32 v81, 0x7f800001
	s_xor_b32 exec_lo, exec_lo, s22
	s_cbranch_execnz .LBB6_17025
.LBB6_16570:                            ;   in Loop: Header=BB6_15804 Depth=3
	s_or_b32 exec_lo, exec_lo, s22
	s_and_saveexec_b32 s22, s16
	s_cbranch_execz .LBB6_16572
.LBB6_16571:                            ;   in Loop: Header=BB6_15804 Depth=3
	v_and_b32_e32 v81, 3, v42
	v_lshrrev_b16 v45, 2, v42
	v_ffbh_u32_e32 v44, v81
	v_and_b32_e32 v45, 31, v45
	v_min_u32_e32 v44, 32, v44
	v_cmp_eq_u32_e32 vcc_lo, 0, v45
	v_subrev_nc_u32_e32 v56, 29, v44
	v_sub_nc_u32_e32 v44, 30, v44
	v_lshlrev_b32_e32 v56, v56, v42
	v_lshlrev_b32_e32 v42, 24, v42
	v_cndmask_b32_e32 v44, v45, v44, vcc_lo
	v_and_b32_e32 v56, 3, v56
	v_and_b32_e32 v42, 0x80000000, v42
	v_lshl_add_u32 v44, v44, 23, 0x37800000
	v_cndmask_b32_e32 v81, v81, v56, vcc_lo
	v_lshlrev_b32_e32 v81, 21, v81
	v_or3_b32 v81, v42, v44, v81
.LBB6_16572:                            ;   in Loop: Header=BB6_15804 Depth=3
	s_or_b32 exec_lo, exec_lo, s22
	v_add_f32_e32 v42, v43, v81
	v_and_b32_e32 v81, 0x7f800000, v42
	v_cmp_ne_u32_e32 vcc_lo, 0x7f800000, v81
	v_mov_b32_e32 v81, 0x80
	s_and_saveexec_b32 s22, vcc_lo
	s_cbranch_execz .LBB6_16580
; %bb.16573:                            ;   in Loop: Header=BB6_15804 Depth=3
	v_mov_b32_e32 v81, 0
	s_mov_b32 s23, exec_lo
	v_cmpx_ne_u32_e32 0, v42
	s_cbranch_execz .LBB6_16579
; %bb.16574:                            ;   in Loop: Header=BB6_15804 Depth=3
	v_bfe_u32 v43, v42, 23, 8
	v_and_b32_e32 v81, 0x7fffff, v42
	v_cmp_gt_u32_e64 s16, 0x71, v43
	v_sub_nc_u32_e32 v44, 0x70, v43
	v_cmp_eq_u32_e32 vcc_lo, 0, v43
	v_or_b32_e32 v45, 0x800000, v81
	v_cndmask_b32_e64 v44, 0, v44, s16
	v_cndmask_b32_e32 v81, v45, v81, vcc_lo
	v_cndmask_b32_e64 v44, v44, 0x6f, vcc_lo
	v_lshl_add_u32 v45, 0x200000, v44, -1
	v_lshlrev_b32_e64 v56, v44, 0x100000
	v_and_b32_e32 v45, v45, v81
	v_cmp_eq_u32_e64 s16, v45, v56
	v_lshrrev_b32_e32 v45, v44, v81
	v_add_nc_u32_e32 v81, 0xffffff91, v43
	v_lshrrev_b32_e32 v43, 23, v45
	v_cndmask_b32_e64 v81, v81, 0xffffff92, vcc_lo
	v_xor_b32_e32 v43, 1, v43
	v_add_nc_u32_e32 v81, v44, v81
	v_bfe_u32 v44, v45, 21, 1
	v_add_nc_u32_e32 v44, -1, v44
	v_cndmask_b32_e64 v44, 0, v44, s16
	s_mov_b32 s16, exec_lo
	v_add_nc_u32_e32 v44, v44, v45
	v_and_b32_e32 v44, 0x1fffff, v44
	v_add_nc_u32_e32 v44, v44, v45
                                        ; implicit-def: $vgpr45
	v_cmpx_ne_u32_e64 v81, v43
	s_xor_b32 s16, exec_lo, s16
; %bb.16575:                            ;   in Loop: Header=BB6_15804 Depth=3
	v_cmp_lt_u32_e32 vcc_lo, 0xffffff, v44
	v_sub_nc_u32_e32 v81, v81, v43
	v_cndmask_b32_e64 v43, 0, 1, vcc_lo
	v_add_co_ci_u32_e64 v45, null, 0, v81, vcc_lo
	v_lshrrev_b32_e32 v44, v43, v44
; %bb.16576:                            ;   in Loop: Header=BB6_15804 Depth=3
	s_andn2_saveexec_b32 s16, s16
; %bb.16577:                            ;   in Loop: Header=BB6_15804 Depth=3
	v_bfe_u32 v45, v44, 23, 1
; %bb.16578:                            ;   in Loop: Header=BB6_15804 Depth=3
	s_or_b32 exec_lo, exec_lo, s16
	v_and_b32_sdwa v81, v42, v117 dst_sel:DWORD dst_unused:UNUSED_PAD src0_sel:BYTE_3 src1_sel:DWORD
	v_lshrrev_b32_e32 v42, 21, v44
	v_cmp_gt_i32_e32 vcc_lo, 32, v45
	v_min_i32_e32 v43, 31, v45
	v_cndmask_b32_e32 v42, 3, v42, vcc_lo
	v_lshlrev_b32_e32 v43, 2, v43
	v_or_b32_e32 v44, v45, v42
	v_and_b32_e32 v42, 3, v42
	v_cmp_ne_u32_e32 vcc_lo, 0, v44
	v_or3_b32 v81, v43, v81, v42
	v_cndmask_b32_e32 v81, 0, v81, vcc_lo
.LBB6_16579:                            ;   in Loop: Header=BB6_15804 Depth=3
	s_or_b32 exec_lo, exec_lo, s23
.LBB6_16580:                            ;   in Loop: Header=BB6_15804 Depth=3
	s_or_b32 exec_lo, exec_lo, s22
	v_cmp_gt_i16_sdwa s16, v69, v116 src0_sel:BYTE_0 src1_sel:DWORD
	s_mov_b32 s22, 0
	s_and_saveexec_b32 s23, s16
	s_xor_b32 s16, exec_lo, s23
	s_cbranch_execz .LBB6_17026
; %bb.16581:                            ;   in Loop: Header=BB6_15804 Depth=3
	v_cmp_eq_u16_sdwa s72, v69, v117 src0_sel:BYTE_0 src1_sel:DWORD
	s_mov_b32 s22, -1
	s_and_saveexec_b32 s23, s72
; %bb.16582:                            ;   in Loop: Header=BB6_15804 Depth=3
	s_xor_b32 s22, exec_lo, -1
; %bb.16583:                            ;   in Loop: Header=BB6_15804 Depth=3
	s_or_b32 exec_lo, exec_lo, s23
	s_and_b32 s22, s22, exec_lo
	s_or_saveexec_b32 s16, s16
	v_mov_b32_e32 v42, 0x7f800001
	s_xor_b32 exec_lo, exec_lo, s16
	s_cbranch_execnz .LBB6_17027
.LBB6_16584:                            ;   in Loop: Header=BB6_15804 Depth=3
	s_or_b32 exec_lo, exec_lo, s16
	s_and_saveexec_b32 s16, s22
	s_cbranch_execz .LBB6_16586
.LBB6_16585:                            ;   in Loop: Header=BB6_15804 Depth=3
	v_and_b32_e32 v42, 3, v69
	v_lshrrev_b16 v44, 2, v69
	v_ffbh_u32_e32 v43, v42
	v_and_b32_e32 v44, 31, v44
	v_min_u32_e32 v43, 32, v43
	v_cmp_eq_u32_e32 vcc_lo, 0, v44
	v_subrev_nc_u32_e32 v45, 29, v43
	v_sub_nc_u32_e32 v43, 30, v43
	v_lshlrev_b32_e32 v45, v45, v69
	v_lshlrev_b32_e32 v69, 24, v69
	v_cndmask_b32_e32 v43, v44, v43, vcc_lo
	v_and_b32_e32 v45, 3, v45
	v_and_b32_e32 v69, 0x80000000, v69
	v_lshl_add_u32 v43, v43, 23, 0x37800000
	v_cndmask_b32_e32 v42, v42, v45, vcc_lo
	v_lshlrev_b32_e32 v42, 21, v42
	v_or3_b32 v42, v69, v43, v42
.LBB6_16586:                            ;   in Loop: Header=BB6_15804 Depth=3
	s_or_b32 exec_lo, exec_lo, s16
	s_waitcnt vmcnt(15) lgkmcnt(15)
	v_cmp_gt_i16_sdwa s22, v41, v116 src0_sel:BYTE_0 src1_sel:DWORD
	s_mov_b32 s16, 0
	s_and_saveexec_b32 s23, s22
	s_xor_b32 s22, exec_lo, s23
	s_cbranch_execz .LBB6_17028
; %bb.16587:                            ;   in Loop: Header=BB6_15804 Depth=3
	v_cmp_eq_u16_sdwa s72, v41, v117 src0_sel:BYTE_0 src1_sel:DWORD
	s_mov_b32 s16, -1
	s_and_saveexec_b32 s23, s72
; %bb.16588:                            ;   in Loop: Header=BB6_15804 Depth=3
	s_xor_b32 s16, exec_lo, -1
; %bb.16589:                            ;   in Loop: Header=BB6_15804 Depth=3
	s_or_b32 exec_lo, exec_lo, s23
	s_and_b32 s16, s16, exec_lo
	s_or_saveexec_b32 s22, s22
	v_mov_b32_e32 v69, 0x7f800001
	s_xor_b32 exec_lo, exec_lo, s22
	s_cbranch_execnz .LBB6_17029
.LBB6_16590:                            ;   in Loop: Header=BB6_15804 Depth=3
	s_or_b32 exec_lo, exec_lo, s22
	s_and_saveexec_b32 s22, s16
	s_cbranch_execz .LBB6_16592
.LBB6_16591:                            ;   in Loop: Header=BB6_15804 Depth=3
	v_and_b32_e32 v69, 3, v41
	v_lshrrev_b16 v44, 2, v41
	v_ffbh_u32_e32 v43, v69
	v_and_b32_e32 v44, 31, v44
	v_min_u32_e32 v43, 32, v43
	v_cmp_eq_u32_e32 vcc_lo, 0, v44
	v_subrev_nc_u32_e32 v45, 29, v43
	v_sub_nc_u32_e32 v43, 30, v43
	v_lshlrev_b32_e32 v45, v45, v41
	v_lshlrev_b32_e32 v41, 24, v41
	v_cndmask_b32_e32 v43, v44, v43, vcc_lo
	v_and_b32_e32 v45, 3, v45
	v_and_b32_e32 v41, 0x80000000, v41
	v_lshl_add_u32 v43, v43, 23, 0x37800000
	v_cndmask_b32_e32 v69, v69, v45, vcc_lo
	v_lshlrev_b32_e32 v69, 21, v69
	v_or3_b32 v69, v41, v43, v69
.LBB6_16592:                            ;   in Loop: Header=BB6_15804 Depth=3
	s_or_b32 exec_lo, exec_lo, s22
	v_add_f32_e32 v41, v42, v69
	v_and_b32_e32 v69, 0x7f800000, v41
	v_cmp_ne_u32_e32 vcc_lo, 0x7f800000, v69
	v_mov_b32_e32 v69, 0x80
	s_and_saveexec_b32 s22, vcc_lo
	s_cbranch_execz .LBB6_16600
; %bb.16593:                            ;   in Loop: Header=BB6_15804 Depth=3
	v_mov_b32_e32 v69, 0
	s_mov_b32 s23, exec_lo
	v_cmpx_ne_u32_e32 0, v41
	s_cbranch_execz .LBB6_16599
; %bb.16594:                            ;   in Loop: Header=BB6_15804 Depth=3
	v_bfe_u32 v42, v41, 23, 8
	v_and_b32_e32 v69, 0x7fffff, v41
	v_cmp_gt_u32_e64 s16, 0x71, v42
	v_sub_nc_u32_e32 v43, 0x70, v42
	v_cmp_eq_u32_e32 vcc_lo, 0, v42
	v_or_b32_e32 v44, 0x800000, v69
	v_cndmask_b32_e64 v43, 0, v43, s16
	v_cndmask_b32_e32 v69, v44, v69, vcc_lo
	v_cndmask_b32_e64 v43, v43, 0x6f, vcc_lo
	v_lshl_add_u32 v44, 0x200000, v43, -1
	v_lshlrev_b32_e64 v45, v43, 0x100000
	v_and_b32_e32 v44, v44, v69
	v_cmp_eq_u32_e64 s16, v44, v45
	v_lshrrev_b32_e32 v44, v43, v69
	v_add_nc_u32_e32 v69, 0xffffff91, v42
	v_lshrrev_b32_e32 v42, 23, v44
	v_cndmask_b32_e64 v69, v69, 0xffffff92, vcc_lo
	v_xor_b32_e32 v42, 1, v42
	v_add_nc_u32_e32 v69, v43, v69
	v_bfe_u32 v43, v44, 21, 1
	v_add_nc_u32_e32 v43, -1, v43
	v_cndmask_b32_e64 v43, 0, v43, s16
	s_mov_b32 s16, exec_lo
	v_add_nc_u32_e32 v43, v43, v44
	v_and_b32_e32 v43, 0x1fffff, v43
	v_add_nc_u32_e32 v43, v43, v44
                                        ; implicit-def: $vgpr44
	v_cmpx_ne_u32_e64 v69, v42
	s_xor_b32 s16, exec_lo, s16
; %bb.16595:                            ;   in Loop: Header=BB6_15804 Depth=3
	v_cmp_lt_u32_e32 vcc_lo, 0xffffff, v43
	v_sub_nc_u32_e32 v69, v69, v42
	v_cndmask_b32_e64 v42, 0, 1, vcc_lo
	v_add_co_ci_u32_e64 v44, null, 0, v69, vcc_lo
	v_lshrrev_b32_e32 v43, v42, v43
; %bb.16596:                            ;   in Loop: Header=BB6_15804 Depth=3
	s_andn2_saveexec_b32 s16, s16
; %bb.16597:                            ;   in Loop: Header=BB6_15804 Depth=3
	v_bfe_u32 v44, v43, 23, 1
; %bb.16598:                            ;   in Loop: Header=BB6_15804 Depth=3
	s_or_b32 exec_lo, exec_lo, s16
	v_and_b32_sdwa v69, v41, v117 dst_sel:DWORD dst_unused:UNUSED_PAD src0_sel:BYTE_3 src1_sel:DWORD
	v_lshrrev_b32_e32 v41, 21, v43
	v_cmp_gt_i32_e32 vcc_lo, 32, v44
	v_min_i32_e32 v42, 31, v44
	v_cndmask_b32_e32 v41, 3, v41, vcc_lo
	v_lshlrev_b32_e32 v42, 2, v42
	v_or_b32_e32 v43, v44, v41
	v_and_b32_e32 v41, 3, v41
	v_cmp_ne_u32_e32 vcc_lo, 0, v43
	v_or3_b32 v69, v42, v69, v41
	v_cndmask_b32_e32 v69, 0, v69, vcc_lo
.LBB6_16599:                            ;   in Loop: Header=BB6_15804 Depth=3
	s_or_b32 exec_lo, exec_lo, s23
.LBB6_16600:                            ;   in Loop: Header=BB6_15804 Depth=3
	s_or_b32 exec_lo, exec_lo, s22
	v_cmp_gt_i16_sdwa s16, v67, v116 src0_sel:BYTE_0 src1_sel:DWORD
	s_mov_b32 s22, 0
	s_and_saveexec_b32 s23, s16
	s_xor_b32 s16, exec_lo, s23
	s_cbranch_execz .LBB6_17030
; %bb.16601:                            ;   in Loop: Header=BB6_15804 Depth=3
	v_cmp_eq_u16_sdwa s72, v67, v117 src0_sel:BYTE_0 src1_sel:DWORD
	s_mov_b32 s22, -1
	s_and_saveexec_b32 s23, s72
; %bb.16602:                            ;   in Loop: Header=BB6_15804 Depth=3
	s_xor_b32 s22, exec_lo, -1
; %bb.16603:                            ;   in Loop: Header=BB6_15804 Depth=3
	s_or_b32 exec_lo, exec_lo, s23
	s_and_b32 s22, s22, exec_lo
	s_or_saveexec_b32 s16, s16
	v_mov_b32_e32 v41, 0x7f800001
	s_xor_b32 exec_lo, exec_lo, s16
	s_cbranch_execnz .LBB6_17031
.LBB6_16604:                            ;   in Loop: Header=BB6_15804 Depth=3
	s_or_b32 exec_lo, exec_lo, s16
	s_and_saveexec_b32 s16, s22
	s_cbranch_execz .LBB6_16606
.LBB6_16605:                            ;   in Loop: Header=BB6_15804 Depth=3
	v_and_b32_e32 v41, 3, v67
	v_lshrrev_b16 v43, 2, v67
	v_ffbh_u32_e32 v42, v41
	v_and_b32_e32 v43, 31, v43
	v_min_u32_e32 v42, 32, v42
	v_cmp_eq_u32_e32 vcc_lo, 0, v43
	v_subrev_nc_u32_e32 v44, 29, v42
	v_sub_nc_u32_e32 v42, 30, v42
	v_lshlrev_b32_e32 v44, v44, v67
	v_lshlrev_b32_e32 v67, 24, v67
	v_cndmask_b32_e32 v42, v43, v42, vcc_lo
	v_and_b32_e32 v44, 3, v44
	v_and_b32_e32 v67, 0x80000000, v67
	v_lshl_add_u32 v42, v42, 23, 0x37800000
	v_cndmask_b32_e32 v41, v41, v44, vcc_lo
	v_lshlrev_b32_e32 v41, 21, v41
	v_or3_b32 v41, v67, v42, v41
.LBB6_16606:                            ;   in Loop: Header=BB6_15804 Depth=3
	s_or_b32 exec_lo, exec_lo, s16
	s_waitcnt vmcnt(14) lgkmcnt(14)
	v_cmp_gt_i16_sdwa s22, v115, v116 src0_sel:BYTE_0 src1_sel:DWORD
	s_mov_b32 s16, 0
	s_and_saveexec_b32 s23, s22
	s_xor_b32 s22, exec_lo, s23
	s_cbranch_execz .LBB6_17032
; %bb.16607:                            ;   in Loop: Header=BB6_15804 Depth=3
	v_cmp_eq_u16_sdwa s72, v115, v117 src0_sel:BYTE_0 src1_sel:DWORD
	s_mov_b32 s16, -1
	s_and_saveexec_b32 s23, s72
; %bb.16608:                            ;   in Loop: Header=BB6_15804 Depth=3
	s_xor_b32 s16, exec_lo, -1
; %bb.16609:                            ;   in Loop: Header=BB6_15804 Depth=3
	s_or_b32 exec_lo, exec_lo, s23
	s_and_b32 s16, s16, exec_lo
	s_or_saveexec_b32 s22, s22
	v_mov_b32_e32 v67, 0x7f800001
	s_xor_b32 exec_lo, exec_lo, s22
	s_cbranch_execnz .LBB6_17033
.LBB6_16610:                            ;   in Loop: Header=BB6_15804 Depth=3
	s_or_b32 exec_lo, exec_lo, s22
	s_and_saveexec_b32 s22, s16
	s_cbranch_execz .LBB6_16612
.LBB6_16611:                            ;   in Loop: Header=BB6_15804 Depth=3
	v_and_b32_e32 v67, 3, v115
	v_lshrrev_b16 v43, 2, v115
	v_ffbh_u32_e32 v42, v67
	v_and_b32_e32 v43, 31, v43
	v_min_u32_e32 v42, 32, v42
	v_cmp_eq_u32_e32 vcc_lo, 0, v43
	v_subrev_nc_u32_e32 v44, 29, v42
	v_sub_nc_u32_e32 v42, 30, v42
	v_lshlrev_b32_e32 v44, v44, v115
	v_lshlrev_b32_e32 v115, 24, v115
	v_cndmask_b32_e32 v42, v43, v42, vcc_lo
	v_and_b32_e32 v44, 3, v44
	v_and_b32_e32 v115, 0x80000000, v115
	v_lshl_add_u32 v42, v42, 23, 0x37800000
	v_cndmask_b32_e32 v67, v67, v44, vcc_lo
	v_lshlrev_b32_e32 v67, 21, v67
	v_or3_b32 v67, v115, v42, v67
.LBB6_16612:                            ;   in Loop: Header=BB6_15804 Depth=3
	s_or_b32 exec_lo, exec_lo, s22
	v_add_f32_e32 v115, v41, v67
	v_and_b32_e32 v67, 0x7f800000, v115
	v_cmp_ne_u32_e32 vcc_lo, 0x7f800000, v67
	v_mov_b32_e32 v67, 0x80
	s_and_saveexec_b32 s22, vcc_lo
	s_cbranch_execz .LBB6_16620
; %bb.16613:                            ;   in Loop: Header=BB6_15804 Depth=3
	v_mov_b32_e32 v67, 0
	s_mov_b32 s23, exec_lo
	v_cmpx_ne_u32_e32 0, v115
	s_cbranch_execz .LBB6_16619
; %bb.16614:                            ;   in Loop: Header=BB6_15804 Depth=3
	v_bfe_u32 v41, v115, 23, 8
	v_and_b32_e32 v67, 0x7fffff, v115
	v_cmp_gt_u32_e64 s16, 0x71, v41
	v_sub_nc_u32_e32 v42, 0x70, v41
	v_cmp_eq_u32_e32 vcc_lo, 0, v41
	v_or_b32_e32 v43, 0x800000, v67
	v_cndmask_b32_e64 v42, 0, v42, s16
	v_cndmask_b32_e32 v67, v43, v67, vcc_lo
	v_cndmask_b32_e64 v42, v42, 0x6f, vcc_lo
	v_lshl_add_u32 v43, 0x200000, v42, -1
	v_lshlrev_b32_e64 v44, v42, 0x100000
	v_and_b32_e32 v43, v43, v67
	v_cmp_eq_u32_e64 s16, v43, v44
	v_lshrrev_b32_e32 v43, v42, v67
	v_add_nc_u32_e32 v67, 0xffffff91, v41
	v_lshrrev_b32_e32 v41, 23, v43
	v_cndmask_b32_e64 v67, v67, 0xffffff92, vcc_lo
	v_xor_b32_e32 v41, 1, v41
	v_add_nc_u32_e32 v67, v42, v67
	v_bfe_u32 v42, v43, 21, 1
	v_add_nc_u32_e32 v42, -1, v42
	v_cndmask_b32_e64 v42, 0, v42, s16
	s_mov_b32 s16, exec_lo
	v_add_nc_u32_e32 v42, v42, v43
	v_and_b32_e32 v42, 0x1fffff, v42
	v_add_nc_u32_e32 v42, v42, v43
                                        ; implicit-def: $vgpr43
	v_cmpx_ne_u32_e64 v67, v41
	s_xor_b32 s16, exec_lo, s16
; %bb.16615:                            ;   in Loop: Header=BB6_15804 Depth=3
	v_cmp_lt_u32_e32 vcc_lo, 0xffffff, v42
	v_sub_nc_u32_e32 v67, v67, v41
	v_cndmask_b32_e64 v41, 0, 1, vcc_lo
	v_add_co_ci_u32_e64 v43, null, 0, v67, vcc_lo
	v_lshrrev_b32_e32 v42, v41, v42
; %bb.16616:                            ;   in Loop: Header=BB6_15804 Depth=3
	s_andn2_saveexec_b32 s16, s16
; %bb.16617:                            ;   in Loop: Header=BB6_15804 Depth=3
	v_bfe_u32 v43, v42, 23, 1
; %bb.16618:                            ;   in Loop: Header=BB6_15804 Depth=3
	s_or_b32 exec_lo, exec_lo, s16
	v_and_b32_sdwa v67, v115, v117 dst_sel:DWORD dst_unused:UNUSED_PAD src0_sel:BYTE_3 src1_sel:DWORD
	v_lshrrev_b32_e32 v115, 21, v42
	v_cmp_gt_i32_e32 vcc_lo, 32, v43
	v_min_i32_e32 v41, 31, v43
	v_cndmask_b32_e32 v115, 3, v115, vcc_lo
	v_lshlrev_b32_e32 v41, 2, v41
	v_or_b32_e32 v42, v43, v115
	v_and_b32_e32 v115, 3, v115
	v_cmp_ne_u32_e32 vcc_lo, 0, v42
	v_or3_b32 v67, v41, v67, v115
	v_cndmask_b32_e32 v67, 0, v67, vcc_lo
.LBB6_16619:                            ;   in Loop: Header=BB6_15804 Depth=3
	s_or_b32 exec_lo, exec_lo, s23
.LBB6_16620:                            ;   in Loop: Header=BB6_15804 Depth=3
	s_or_b32 exec_lo, exec_lo, s22
	v_cmp_gt_i16_sdwa s16, v55, v116 src0_sel:BYTE_0 src1_sel:DWORD
	s_mov_b32 s22, 0
	s_and_saveexec_b32 s23, s16
	s_xor_b32 s16, exec_lo, s23
	s_cbranch_execz .LBB6_17034
; %bb.16621:                            ;   in Loop: Header=BB6_15804 Depth=3
	v_cmp_eq_u16_sdwa s72, v55, v117 src0_sel:BYTE_0 src1_sel:DWORD
	s_mov_b32 s22, -1
	s_and_saveexec_b32 s23, s72
; %bb.16622:                            ;   in Loop: Header=BB6_15804 Depth=3
	s_xor_b32 s22, exec_lo, -1
; %bb.16623:                            ;   in Loop: Header=BB6_15804 Depth=3
	s_or_b32 exec_lo, exec_lo, s23
	s_and_b32 s22, s22, exec_lo
	s_or_saveexec_b32 s16, s16
	v_mov_b32_e32 v115, 0x7f800001
	s_xor_b32 exec_lo, exec_lo, s16
	s_cbranch_execnz .LBB6_17035
.LBB6_16624:                            ;   in Loop: Header=BB6_15804 Depth=3
	s_or_b32 exec_lo, exec_lo, s16
	s_and_saveexec_b32 s16, s22
	s_cbranch_execz .LBB6_16626
.LBB6_16625:                            ;   in Loop: Header=BB6_15804 Depth=3
	v_and_b32_e32 v115, 3, v55
	v_lshrrev_b16 v42, 2, v55
	v_ffbh_u32_e32 v41, v115
	v_and_b32_e32 v42, 31, v42
	v_min_u32_e32 v41, 32, v41
	v_cmp_eq_u32_e32 vcc_lo, 0, v42
	v_subrev_nc_u32_e32 v43, 29, v41
	v_sub_nc_u32_e32 v41, 30, v41
	v_lshlrev_b32_e32 v43, v43, v55
	v_lshlrev_b32_e32 v55, 24, v55
	v_cndmask_b32_e32 v41, v42, v41, vcc_lo
	v_and_b32_e32 v43, 3, v43
	v_and_b32_e32 v55, 0x80000000, v55
	v_lshl_add_u32 v41, v41, 23, 0x37800000
	v_cndmask_b32_e32 v115, v115, v43, vcc_lo
	v_lshlrev_b32_e32 v115, 21, v115
	v_or3_b32 v115, v55, v41, v115
.LBB6_16626:                            ;   in Loop: Header=BB6_15804 Depth=3
	s_or_b32 exec_lo, exec_lo, s16
	s_waitcnt vmcnt(13) lgkmcnt(13)
	v_cmp_gt_i16_sdwa s22, v113, v116 src0_sel:BYTE_0 src1_sel:DWORD
	s_mov_b32 s16, 0
	s_and_saveexec_b32 s23, s22
	s_xor_b32 s22, exec_lo, s23
	s_cbranch_execz .LBB6_17036
; %bb.16627:                            ;   in Loop: Header=BB6_15804 Depth=3
	v_cmp_eq_u16_sdwa s72, v113, v117 src0_sel:BYTE_0 src1_sel:DWORD
	s_mov_b32 s16, -1
	s_and_saveexec_b32 s23, s72
; %bb.16628:                            ;   in Loop: Header=BB6_15804 Depth=3
	s_xor_b32 s16, exec_lo, -1
; %bb.16629:                            ;   in Loop: Header=BB6_15804 Depth=3
	s_or_b32 exec_lo, exec_lo, s23
	s_and_b32 s16, s16, exec_lo
	s_or_saveexec_b32 s22, s22
	v_mov_b32_e32 v55, 0x7f800001
	s_xor_b32 exec_lo, exec_lo, s22
	s_cbranch_execnz .LBB6_17037
.LBB6_16630:                            ;   in Loop: Header=BB6_15804 Depth=3
	s_or_b32 exec_lo, exec_lo, s22
	s_and_saveexec_b32 s22, s16
	s_cbranch_execz .LBB6_16632
.LBB6_16631:                            ;   in Loop: Header=BB6_15804 Depth=3
	v_and_b32_e32 v55, 3, v113
	v_lshrrev_b16 v42, 2, v113
	v_ffbh_u32_e32 v41, v55
	v_and_b32_e32 v42, 31, v42
	v_min_u32_e32 v41, 32, v41
	v_cmp_eq_u32_e32 vcc_lo, 0, v42
	v_subrev_nc_u32_e32 v43, 29, v41
	v_sub_nc_u32_e32 v41, 30, v41
	v_lshlrev_b32_e32 v43, v43, v113
	v_lshlrev_b32_e32 v113, 24, v113
	v_cndmask_b32_e32 v41, v42, v41, vcc_lo
	v_and_b32_e32 v43, 3, v43
	v_and_b32_e32 v113, 0x80000000, v113
	v_lshl_add_u32 v41, v41, 23, 0x37800000
	v_cndmask_b32_e32 v55, v55, v43, vcc_lo
	v_lshlrev_b32_e32 v55, 21, v55
	v_or3_b32 v55, v113, v41, v55
.LBB6_16632:                            ;   in Loop: Header=BB6_15804 Depth=3
	s_or_b32 exec_lo, exec_lo, s22
	v_add_f32_e32 v113, v115, v55
	v_and_b32_e32 v55, 0x7f800000, v113
	v_cmp_ne_u32_e32 vcc_lo, 0x7f800000, v55
	v_mov_b32_e32 v55, 0x80
	s_and_saveexec_b32 s22, vcc_lo
	s_cbranch_execz .LBB6_16640
; %bb.16633:                            ;   in Loop: Header=BB6_15804 Depth=3
	v_mov_b32_e32 v55, 0
	s_mov_b32 s23, exec_lo
	v_cmpx_ne_u32_e32 0, v113
	s_cbranch_execz .LBB6_16639
; %bb.16634:                            ;   in Loop: Header=BB6_15804 Depth=3
	v_bfe_u32 v115, v113, 23, 8
	v_and_b32_e32 v55, 0x7fffff, v113
	v_cmp_gt_u32_e64 s16, 0x71, v115
	v_sub_nc_u32_e32 v41, 0x70, v115
	v_cmp_eq_u32_e32 vcc_lo, 0, v115
	v_or_b32_e32 v42, 0x800000, v55
	v_cndmask_b32_e64 v41, 0, v41, s16
	v_cndmask_b32_e32 v55, v42, v55, vcc_lo
	v_cndmask_b32_e64 v41, v41, 0x6f, vcc_lo
	v_lshl_add_u32 v42, 0x200000, v41, -1
	v_lshlrev_b32_e64 v43, v41, 0x100000
	v_and_b32_e32 v42, v42, v55
	v_cmp_eq_u32_e64 s16, v42, v43
	v_lshrrev_b32_e32 v42, v41, v55
	v_add_nc_u32_e32 v55, 0xffffff91, v115
	v_lshrrev_b32_e32 v115, 23, v42
	v_cndmask_b32_e64 v55, v55, 0xffffff92, vcc_lo
	v_xor_b32_e32 v115, 1, v115
	v_add_nc_u32_e32 v55, v41, v55
	v_bfe_u32 v41, v42, 21, 1
	v_add_nc_u32_e32 v41, -1, v41
	v_cndmask_b32_e64 v41, 0, v41, s16
	s_mov_b32 s16, exec_lo
	v_add_nc_u32_e32 v41, v41, v42
	v_and_b32_e32 v41, 0x1fffff, v41
	v_add_nc_u32_e32 v41, v41, v42
                                        ; implicit-def: $vgpr42
	v_cmpx_ne_u32_e64 v55, v115
	s_xor_b32 s16, exec_lo, s16
; %bb.16635:                            ;   in Loop: Header=BB6_15804 Depth=3
	v_cmp_lt_u32_e32 vcc_lo, 0xffffff, v41
	v_sub_nc_u32_e32 v55, v55, v115
	v_cndmask_b32_e64 v115, 0, 1, vcc_lo
	v_add_co_ci_u32_e64 v42, null, 0, v55, vcc_lo
	v_lshrrev_b32_e32 v41, v115, v41
; %bb.16636:                            ;   in Loop: Header=BB6_15804 Depth=3
	s_andn2_saveexec_b32 s16, s16
; %bb.16637:                            ;   in Loop: Header=BB6_15804 Depth=3
	v_bfe_u32 v42, v41, 23, 1
; %bb.16638:                            ;   in Loop: Header=BB6_15804 Depth=3
	s_or_b32 exec_lo, exec_lo, s16
	v_and_b32_sdwa v55, v113, v117 dst_sel:DWORD dst_unused:UNUSED_PAD src0_sel:BYTE_3 src1_sel:DWORD
	v_lshrrev_b32_e32 v113, 21, v41
	v_cmp_gt_i32_e32 vcc_lo, 32, v42
	v_min_i32_e32 v115, 31, v42
	v_cndmask_b32_e32 v113, 3, v113, vcc_lo
	v_lshlrev_b32_e32 v115, 2, v115
	v_or_b32_e32 v41, v42, v113
	v_and_b32_e32 v113, 3, v113
	v_cmp_ne_u32_e32 vcc_lo, 0, v41
	v_or3_b32 v55, v115, v55, v113
	v_cndmask_b32_e32 v55, 0, v55, vcc_lo
.LBB6_16639:                            ;   in Loop: Header=BB6_15804 Depth=3
	s_or_b32 exec_lo, exec_lo, s23
.LBB6_16640:                            ;   in Loop: Header=BB6_15804 Depth=3
	s_or_b32 exec_lo, exec_lo, s22
	v_cmp_gt_i16_sdwa s16, v53, v116 src0_sel:BYTE_0 src1_sel:DWORD
	s_mov_b32 s22, 0
	s_and_saveexec_b32 s23, s16
	s_xor_b32 s16, exec_lo, s23
	s_cbranch_execz .LBB6_17038
; %bb.16641:                            ;   in Loop: Header=BB6_15804 Depth=3
	v_cmp_eq_u16_sdwa s72, v53, v117 src0_sel:BYTE_0 src1_sel:DWORD
	s_mov_b32 s22, -1
	s_and_saveexec_b32 s23, s72
; %bb.16642:                            ;   in Loop: Header=BB6_15804 Depth=3
	s_xor_b32 s22, exec_lo, -1
; %bb.16643:                            ;   in Loop: Header=BB6_15804 Depth=3
	s_or_b32 exec_lo, exec_lo, s23
	s_and_b32 s22, s22, exec_lo
	s_or_saveexec_b32 s16, s16
	v_mov_b32_e32 v113, 0x7f800001
	s_xor_b32 exec_lo, exec_lo, s16
	s_cbranch_execnz .LBB6_17039
.LBB6_16644:                            ;   in Loop: Header=BB6_15804 Depth=3
	s_or_b32 exec_lo, exec_lo, s16
	s_and_saveexec_b32 s16, s22
	s_cbranch_execz .LBB6_16646
.LBB6_16645:                            ;   in Loop: Header=BB6_15804 Depth=3
	v_and_b32_e32 v113, 3, v53
	v_lshrrev_b16 v41, 2, v53
	v_ffbh_u32_e32 v115, v113
	v_and_b32_e32 v41, 31, v41
	v_min_u32_e32 v115, 32, v115
	v_cmp_eq_u32_e32 vcc_lo, 0, v41
	v_subrev_nc_u32_e32 v42, 29, v115
	v_sub_nc_u32_e32 v115, 30, v115
	v_lshlrev_b32_e32 v42, v42, v53
	v_lshlrev_b32_e32 v53, 24, v53
	v_cndmask_b32_e32 v115, v41, v115, vcc_lo
	v_and_b32_e32 v42, 3, v42
	v_and_b32_e32 v53, 0x80000000, v53
	v_lshl_add_u32 v115, v115, 23, 0x37800000
	v_cndmask_b32_e32 v113, v113, v42, vcc_lo
	v_lshlrev_b32_e32 v113, 21, v113
	v_or3_b32 v113, v53, v115, v113
.LBB6_16646:                            ;   in Loop: Header=BB6_15804 Depth=3
	s_or_b32 exec_lo, exec_lo, s16
	s_waitcnt vmcnt(12) lgkmcnt(12)
	v_cmp_gt_i16_sdwa s22, v112, v116 src0_sel:BYTE_0 src1_sel:DWORD
	s_mov_b32 s16, 0
	s_and_saveexec_b32 s23, s22
	s_xor_b32 s22, exec_lo, s23
	s_cbranch_execz .LBB6_17040
; %bb.16647:                            ;   in Loop: Header=BB6_15804 Depth=3
	v_cmp_eq_u16_sdwa s72, v112, v117 src0_sel:BYTE_0 src1_sel:DWORD
	s_mov_b32 s16, -1
	s_and_saveexec_b32 s23, s72
; %bb.16648:                            ;   in Loop: Header=BB6_15804 Depth=3
	s_xor_b32 s16, exec_lo, -1
; %bb.16649:                            ;   in Loop: Header=BB6_15804 Depth=3
	s_or_b32 exec_lo, exec_lo, s23
	s_and_b32 s16, s16, exec_lo
	s_or_saveexec_b32 s22, s22
	v_mov_b32_e32 v53, 0x7f800001
	s_xor_b32 exec_lo, exec_lo, s22
	s_cbranch_execnz .LBB6_17041
.LBB6_16650:                            ;   in Loop: Header=BB6_15804 Depth=3
	s_or_b32 exec_lo, exec_lo, s22
	s_and_saveexec_b32 s22, s16
	s_cbranch_execz .LBB6_16652
.LBB6_16651:                            ;   in Loop: Header=BB6_15804 Depth=3
	v_and_b32_e32 v53, 3, v112
	v_lshrrev_b16 v41, 2, v112
	v_ffbh_u32_e32 v115, v53
	v_and_b32_e32 v41, 31, v41
	v_min_u32_e32 v115, 32, v115
	v_cmp_eq_u32_e32 vcc_lo, 0, v41
	v_subrev_nc_u32_e32 v42, 29, v115
	v_sub_nc_u32_e32 v115, 30, v115
	v_lshlrev_b32_e32 v42, v42, v112
	v_lshlrev_b32_e32 v112, 24, v112
	v_cndmask_b32_e32 v115, v41, v115, vcc_lo
	v_and_b32_e32 v42, 3, v42
	v_and_b32_e32 v112, 0x80000000, v112
	v_lshl_add_u32 v115, v115, 23, 0x37800000
	v_cndmask_b32_e32 v53, v53, v42, vcc_lo
	v_lshlrev_b32_e32 v53, 21, v53
	v_or3_b32 v53, v112, v115, v53
.LBB6_16652:                            ;   in Loop: Header=BB6_15804 Depth=3
	s_or_b32 exec_lo, exec_lo, s22
	v_add_f32_e32 v112, v113, v53
	v_and_b32_e32 v53, 0x7f800000, v112
	v_cmp_ne_u32_e32 vcc_lo, 0x7f800000, v53
	v_mov_b32_e32 v53, 0x80
	s_and_saveexec_b32 s22, vcc_lo
	s_cbranch_execz .LBB6_16660
; %bb.16653:                            ;   in Loop: Header=BB6_15804 Depth=3
	v_mov_b32_e32 v53, 0
	s_mov_b32 s23, exec_lo
	v_cmpx_ne_u32_e32 0, v112
	s_cbranch_execz .LBB6_16659
; %bb.16654:                            ;   in Loop: Header=BB6_15804 Depth=3
	v_bfe_u32 v113, v112, 23, 8
	v_and_b32_e32 v53, 0x7fffff, v112
	v_cmp_gt_u32_e64 s16, 0x71, v113
	v_sub_nc_u32_e32 v115, 0x70, v113
	v_cmp_eq_u32_e32 vcc_lo, 0, v113
	v_or_b32_e32 v41, 0x800000, v53
	v_cndmask_b32_e64 v115, 0, v115, s16
	v_cndmask_b32_e32 v53, v41, v53, vcc_lo
	v_cndmask_b32_e64 v115, v115, 0x6f, vcc_lo
	v_lshl_add_u32 v41, 0x200000, v115, -1
	v_lshlrev_b32_e64 v42, v115, 0x100000
	v_and_b32_e32 v41, v41, v53
	v_cmp_eq_u32_e64 s16, v41, v42
	v_lshrrev_b32_e32 v41, v115, v53
	v_add_nc_u32_e32 v53, 0xffffff91, v113
	v_lshrrev_b32_e32 v113, 23, v41
	v_cndmask_b32_e64 v53, v53, 0xffffff92, vcc_lo
	v_xor_b32_e32 v113, 1, v113
	v_add_nc_u32_e32 v53, v115, v53
	v_bfe_u32 v115, v41, 21, 1
	v_add_nc_u32_e32 v115, -1, v115
	v_cndmask_b32_e64 v115, 0, v115, s16
	s_mov_b32 s16, exec_lo
	v_add_nc_u32_e32 v115, v115, v41
	v_and_b32_e32 v115, 0x1fffff, v115
	v_add_nc_u32_e32 v115, v115, v41
                                        ; implicit-def: $vgpr41
	v_cmpx_ne_u32_e64 v53, v113
	s_xor_b32 s16, exec_lo, s16
; %bb.16655:                            ;   in Loop: Header=BB6_15804 Depth=3
	v_cmp_lt_u32_e32 vcc_lo, 0xffffff, v115
	v_sub_nc_u32_e32 v53, v53, v113
	v_cndmask_b32_e64 v113, 0, 1, vcc_lo
	v_add_co_ci_u32_e64 v41, null, 0, v53, vcc_lo
	v_lshrrev_b32_e32 v115, v113, v115
; %bb.16656:                            ;   in Loop: Header=BB6_15804 Depth=3
	s_andn2_saveexec_b32 s16, s16
; %bb.16657:                            ;   in Loop: Header=BB6_15804 Depth=3
	v_bfe_u32 v41, v115, 23, 1
; %bb.16658:                            ;   in Loop: Header=BB6_15804 Depth=3
	s_or_b32 exec_lo, exec_lo, s16
	v_and_b32_sdwa v53, v112, v117 dst_sel:DWORD dst_unused:UNUSED_PAD src0_sel:BYTE_3 src1_sel:DWORD
	v_lshrrev_b32_e32 v112, 21, v115
	v_cmp_gt_i32_e32 vcc_lo, 32, v41
	v_min_i32_e32 v113, 31, v41
	v_cndmask_b32_e32 v112, 3, v112, vcc_lo
	v_lshlrev_b32_e32 v113, 2, v113
	v_or_b32_e32 v115, v41, v112
	v_and_b32_e32 v112, 3, v112
	v_cmp_ne_u32_e32 vcc_lo, 0, v115
	v_or3_b32 v53, v113, v53, v112
	v_cndmask_b32_e32 v53, 0, v53, vcc_lo
.LBB6_16659:                            ;   in Loop: Header=BB6_15804 Depth=3
	s_or_b32 exec_lo, exec_lo, s23
.LBB6_16660:                            ;   in Loop: Header=BB6_15804 Depth=3
	s_or_b32 exec_lo, exec_lo, s22
	v_cmp_gt_i16_sdwa s16, v51, v116 src0_sel:BYTE_0 src1_sel:DWORD
	s_mov_b32 s22, 0
	s_and_saveexec_b32 s23, s16
	s_xor_b32 s16, exec_lo, s23
	s_cbranch_execz .LBB6_17042
; %bb.16661:                            ;   in Loop: Header=BB6_15804 Depth=3
	v_cmp_eq_u16_sdwa s72, v51, v117 src0_sel:BYTE_0 src1_sel:DWORD
	s_mov_b32 s22, -1
	s_and_saveexec_b32 s23, s72
; %bb.16662:                            ;   in Loop: Header=BB6_15804 Depth=3
	s_xor_b32 s22, exec_lo, -1
; %bb.16663:                            ;   in Loop: Header=BB6_15804 Depth=3
	s_or_b32 exec_lo, exec_lo, s23
	s_and_b32 s22, s22, exec_lo
	s_or_saveexec_b32 s16, s16
	v_mov_b32_e32 v112, 0x7f800001
	s_xor_b32 exec_lo, exec_lo, s16
	s_cbranch_execnz .LBB6_17043
.LBB6_16664:                            ;   in Loop: Header=BB6_15804 Depth=3
	s_or_b32 exec_lo, exec_lo, s16
	s_and_saveexec_b32 s16, s22
	s_cbranch_execz .LBB6_16666
.LBB6_16665:                            ;   in Loop: Header=BB6_15804 Depth=3
	v_and_b32_e32 v112, 3, v51
	v_lshrrev_b16 v115, 2, v51
	v_ffbh_u32_e32 v113, v112
	v_and_b32_e32 v115, 31, v115
	v_min_u32_e32 v113, 32, v113
	v_cmp_eq_u32_e32 vcc_lo, 0, v115
	v_subrev_nc_u32_e32 v41, 29, v113
	v_sub_nc_u32_e32 v113, 30, v113
	v_lshlrev_b32_e32 v41, v41, v51
	v_lshlrev_b32_e32 v51, 24, v51
	v_cndmask_b32_e32 v113, v115, v113, vcc_lo
	v_and_b32_e32 v41, 3, v41
	v_and_b32_e32 v51, 0x80000000, v51
	v_lshl_add_u32 v113, v113, 23, 0x37800000
	v_cndmask_b32_e32 v112, v112, v41, vcc_lo
	v_lshlrev_b32_e32 v112, 21, v112
	v_or3_b32 v112, v51, v113, v112
.LBB6_16666:                            ;   in Loop: Header=BB6_15804 Depth=3
	s_or_b32 exec_lo, exec_lo, s16
	s_waitcnt vmcnt(11) lgkmcnt(11)
	v_cmp_gt_i16_sdwa s22, v102, v116 src0_sel:BYTE_0 src1_sel:DWORD
	s_mov_b32 s16, 0
	s_and_saveexec_b32 s23, s22
	s_xor_b32 s22, exec_lo, s23
	s_cbranch_execz .LBB6_17044
; %bb.16667:                            ;   in Loop: Header=BB6_15804 Depth=3
	v_cmp_eq_u16_sdwa s72, v102, v117 src0_sel:BYTE_0 src1_sel:DWORD
	s_mov_b32 s16, -1
	s_and_saveexec_b32 s23, s72
; %bb.16668:                            ;   in Loop: Header=BB6_15804 Depth=3
	s_xor_b32 s16, exec_lo, -1
; %bb.16669:                            ;   in Loop: Header=BB6_15804 Depth=3
	s_or_b32 exec_lo, exec_lo, s23
	s_and_b32 s16, s16, exec_lo
	s_or_saveexec_b32 s22, s22
	v_mov_b32_e32 v51, 0x7f800001
	s_xor_b32 exec_lo, exec_lo, s22
	s_cbranch_execnz .LBB6_17045
.LBB6_16670:                            ;   in Loop: Header=BB6_15804 Depth=3
	s_or_b32 exec_lo, exec_lo, s22
	s_and_saveexec_b32 s22, s16
	s_cbranch_execz .LBB6_16672
.LBB6_16671:                            ;   in Loop: Header=BB6_15804 Depth=3
	v_and_b32_e32 v51, 3, v102
	v_lshrrev_b16 v115, 2, v102
	v_ffbh_u32_e32 v113, v51
	v_and_b32_e32 v115, 31, v115
	v_min_u32_e32 v113, 32, v113
	v_cmp_eq_u32_e32 vcc_lo, 0, v115
	v_subrev_nc_u32_e32 v41, 29, v113
	v_sub_nc_u32_e32 v113, 30, v113
	v_lshlrev_b32_e32 v41, v41, v102
	v_lshlrev_b32_e32 v102, 24, v102
	v_cndmask_b32_e32 v113, v115, v113, vcc_lo
	v_and_b32_e32 v41, 3, v41
	v_and_b32_e32 v102, 0x80000000, v102
	v_lshl_add_u32 v113, v113, 23, 0x37800000
	v_cndmask_b32_e32 v51, v51, v41, vcc_lo
	v_lshlrev_b32_e32 v51, 21, v51
	v_or3_b32 v51, v102, v113, v51
.LBB6_16672:                            ;   in Loop: Header=BB6_15804 Depth=3
	s_or_b32 exec_lo, exec_lo, s22
	v_add_f32_e32 v102, v112, v51
	v_and_b32_e32 v51, 0x7f800000, v102
	v_cmp_ne_u32_e32 vcc_lo, 0x7f800000, v51
	v_mov_b32_e32 v51, 0x80
	s_and_saveexec_b32 s22, vcc_lo
	s_cbranch_execz .LBB6_16680
; %bb.16673:                            ;   in Loop: Header=BB6_15804 Depth=3
	v_mov_b32_e32 v51, 0
	s_mov_b32 s23, exec_lo
	v_cmpx_ne_u32_e32 0, v102
	s_cbranch_execz .LBB6_16679
; %bb.16674:                            ;   in Loop: Header=BB6_15804 Depth=3
	v_bfe_u32 v112, v102, 23, 8
	v_and_b32_e32 v51, 0x7fffff, v102
	v_cmp_gt_u32_e64 s16, 0x71, v112
	v_sub_nc_u32_e32 v113, 0x70, v112
	v_cmp_eq_u32_e32 vcc_lo, 0, v112
	v_or_b32_e32 v115, 0x800000, v51
	v_cndmask_b32_e64 v113, 0, v113, s16
	v_cndmask_b32_e32 v51, v115, v51, vcc_lo
	v_cndmask_b32_e64 v113, v113, 0x6f, vcc_lo
	v_lshl_add_u32 v115, 0x200000, v113, -1
	v_lshlrev_b32_e64 v41, v113, 0x100000
	v_and_b32_e32 v115, v115, v51
	v_cmp_eq_u32_e64 s16, v115, v41
	v_lshrrev_b32_e32 v115, v113, v51
	v_add_nc_u32_e32 v51, 0xffffff91, v112
	v_lshrrev_b32_e32 v112, 23, v115
	v_cndmask_b32_e64 v51, v51, 0xffffff92, vcc_lo
	v_xor_b32_e32 v112, 1, v112
	v_add_nc_u32_e32 v51, v113, v51
	v_bfe_u32 v113, v115, 21, 1
	v_add_nc_u32_e32 v113, -1, v113
	v_cndmask_b32_e64 v113, 0, v113, s16
	s_mov_b32 s16, exec_lo
	v_add_nc_u32_e32 v113, v113, v115
	v_and_b32_e32 v113, 0x1fffff, v113
	v_add_nc_u32_e32 v113, v113, v115
                                        ; implicit-def: $vgpr115
	v_cmpx_ne_u32_e64 v51, v112
	s_xor_b32 s16, exec_lo, s16
; %bb.16675:                            ;   in Loop: Header=BB6_15804 Depth=3
	v_cmp_lt_u32_e32 vcc_lo, 0xffffff, v113
	v_sub_nc_u32_e32 v51, v51, v112
	v_cndmask_b32_e64 v112, 0, 1, vcc_lo
	v_add_co_ci_u32_e64 v115, null, 0, v51, vcc_lo
	v_lshrrev_b32_e32 v113, v112, v113
; %bb.16676:                            ;   in Loop: Header=BB6_15804 Depth=3
	s_andn2_saveexec_b32 s16, s16
; %bb.16677:                            ;   in Loop: Header=BB6_15804 Depth=3
	v_bfe_u32 v115, v113, 23, 1
; %bb.16678:                            ;   in Loop: Header=BB6_15804 Depth=3
	s_or_b32 exec_lo, exec_lo, s16
	v_and_b32_sdwa v51, v102, v117 dst_sel:DWORD dst_unused:UNUSED_PAD src0_sel:BYTE_3 src1_sel:DWORD
	v_lshrrev_b32_e32 v102, 21, v113
	v_cmp_gt_i32_e32 vcc_lo, 32, v115
	v_min_i32_e32 v112, 31, v115
	v_cndmask_b32_e32 v102, 3, v102, vcc_lo
	v_lshlrev_b32_e32 v112, 2, v112
	v_or_b32_e32 v113, v115, v102
	v_and_b32_e32 v102, 3, v102
	v_cmp_ne_u32_e32 vcc_lo, 0, v113
	v_or3_b32 v51, v112, v51, v102
	v_cndmask_b32_e32 v51, 0, v51, vcc_lo
.LBB6_16679:                            ;   in Loop: Header=BB6_15804 Depth=3
	s_or_b32 exec_lo, exec_lo, s23
.LBB6_16680:                            ;   in Loop: Header=BB6_15804 Depth=3
	s_or_b32 exec_lo, exec_lo, s22
	v_cmp_gt_i16_sdwa s16, v37, v116 src0_sel:BYTE_0 src1_sel:DWORD
	s_mov_b32 s22, 0
	s_and_saveexec_b32 s23, s16
	s_xor_b32 s16, exec_lo, s23
	s_cbranch_execz .LBB6_17046
; %bb.16681:                            ;   in Loop: Header=BB6_15804 Depth=3
	v_cmp_eq_u16_sdwa s72, v37, v117 src0_sel:BYTE_0 src1_sel:DWORD
	s_mov_b32 s22, -1
	s_and_saveexec_b32 s23, s72
; %bb.16682:                            ;   in Loop: Header=BB6_15804 Depth=3
	s_xor_b32 s22, exec_lo, -1
; %bb.16683:                            ;   in Loop: Header=BB6_15804 Depth=3
	s_or_b32 exec_lo, exec_lo, s23
	s_and_b32 s22, s22, exec_lo
	s_or_saveexec_b32 s16, s16
	v_mov_b32_e32 v102, 0x7f800001
	s_xor_b32 exec_lo, exec_lo, s16
	s_cbranch_execnz .LBB6_17047
.LBB6_16684:                            ;   in Loop: Header=BB6_15804 Depth=3
	s_or_b32 exec_lo, exec_lo, s16
	s_and_saveexec_b32 s16, s22
	s_cbranch_execz .LBB6_16686
.LBB6_16685:                            ;   in Loop: Header=BB6_15804 Depth=3
	v_and_b32_e32 v102, 3, v37
	v_lshrrev_b16 v113, 2, v37
	v_ffbh_u32_e32 v112, v102
	v_and_b32_e32 v113, 31, v113
	v_min_u32_e32 v112, 32, v112
	v_cmp_eq_u32_e32 vcc_lo, 0, v113
	v_subrev_nc_u32_e32 v115, 29, v112
	v_sub_nc_u32_e32 v112, 30, v112
	v_lshlrev_b32_e32 v115, v115, v37
	v_lshlrev_b32_e32 v37, 24, v37
	v_cndmask_b32_e32 v112, v113, v112, vcc_lo
	v_and_b32_e32 v115, 3, v115
	v_and_b32_e32 v37, 0x80000000, v37
	v_lshl_add_u32 v112, v112, 23, 0x37800000
	v_cndmask_b32_e32 v102, v102, v115, vcc_lo
	v_lshlrev_b32_e32 v102, 21, v102
	v_or3_b32 v102, v37, v112, v102
.LBB6_16686:                            ;   in Loop: Header=BB6_15804 Depth=3
	s_or_b32 exec_lo, exec_lo, s16
	s_waitcnt vmcnt(10) lgkmcnt(10)
	v_cmp_gt_i16_sdwa s22, v99, v116 src0_sel:BYTE_0 src1_sel:DWORD
	s_mov_b32 s16, 0
	s_and_saveexec_b32 s23, s22
	s_xor_b32 s22, exec_lo, s23
	s_cbranch_execz .LBB6_17048
; %bb.16687:                            ;   in Loop: Header=BB6_15804 Depth=3
	v_cmp_eq_u16_sdwa s72, v99, v117 src0_sel:BYTE_0 src1_sel:DWORD
	s_mov_b32 s16, -1
	s_and_saveexec_b32 s23, s72
; %bb.16688:                            ;   in Loop: Header=BB6_15804 Depth=3
	s_xor_b32 s16, exec_lo, -1
; %bb.16689:                            ;   in Loop: Header=BB6_15804 Depth=3
	s_or_b32 exec_lo, exec_lo, s23
	s_and_b32 s16, s16, exec_lo
	s_or_saveexec_b32 s22, s22
	v_mov_b32_e32 v37, 0x7f800001
	s_xor_b32 exec_lo, exec_lo, s22
	s_cbranch_execnz .LBB6_17049
.LBB6_16690:                            ;   in Loop: Header=BB6_15804 Depth=3
	s_or_b32 exec_lo, exec_lo, s22
	s_and_saveexec_b32 s22, s16
	s_cbranch_execz .LBB6_16692
.LBB6_16691:                            ;   in Loop: Header=BB6_15804 Depth=3
	v_and_b32_e32 v37, 3, v99
	v_lshrrev_b16 v113, 2, v99
	v_ffbh_u32_e32 v112, v37
	v_and_b32_e32 v113, 31, v113
	v_min_u32_e32 v112, 32, v112
	v_cmp_eq_u32_e32 vcc_lo, 0, v113
	v_subrev_nc_u32_e32 v115, 29, v112
	v_sub_nc_u32_e32 v112, 30, v112
	v_lshlrev_b32_e32 v115, v115, v99
	v_lshlrev_b32_e32 v99, 24, v99
	v_cndmask_b32_e32 v112, v113, v112, vcc_lo
	v_and_b32_e32 v115, 3, v115
	v_and_b32_e32 v99, 0x80000000, v99
	v_lshl_add_u32 v112, v112, 23, 0x37800000
	v_cndmask_b32_e32 v37, v37, v115, vcc_lo
	v_lshlrev_b32_e32 v37, 21, v37
	v_or3_b32 v37, v99, v112, v37
.LBB6_16692:                            ;   in Loop: Header=BB6_15804 Depth=3
	s_or_b32 exec_lo, exec_lo, s22
	v_add_f32_e32 v99, v102, v37
	v_and_b32_e32 v37, 0x7f800000, v99
	v_cmp_ne_u32_e32 vcc_lo, 0x7f800000, v37
	v_mov_b32_e32 v37, 0x80
	s_and_saveexec_b32 s22, vcc_lo
	s_cbranch_execz .LBB6_16700
; %bb.16693:                            ;   in Loop: Header=BB6_15804 Depth=3
	v_mov_b32_e32 v37, 0
	s_mov_b32 s23, exec_lo
	v_cmpx_ne_u32_e32 0, v99
	s_cbranch_execz .LBB6_16699
; %bb.16694:                            ;   in Loop: Header=BB6_15804 Depth=3
	v_bfe_u32 v102, v99, 23, 8
	v_and_b32_e32 v37, 0x7fffff, v99
	v_cmp_gt_u32_e64 s16, 0x71, v102
	v_sub_nc_u32_e32 v112, 0x70, v102
	v_cmp_eq_u32_e32 vcc_lo, 0, v102
	v_or_b32_e32 v113, 0x800000, v37
	v_cndmask_b32_e64 v112, 0, v112, s16
	v_cndmask_b32_e32 v37, v113, v37, vcc_lo
	v_cndmask_b32_e64 v112, v112, 0x6f, vcc_lo
	v_lshl_add_u32 v113, 0x200000, v112, -1
	v_lshlrev_b32_e64 v115, v112, 0x100000
	v_and_b32_e32 v113, v113, v37
	v_cmp_eq_u32_e64 s16, v113, v115
	v_lshrrev_b32_e32 v113, v112, v37
	v_add_nc_u32_e32 v37, 0xffffff91, v102
	v_lshrrev_b32_e32 v102, 23, v113
	v_cndmask_b32_e64 v37, v37, 0xffffff92, vcc_lo
	v_xor_b32_e32 v102, 1, v102
	v_add_nc_u32_e32 v37, v112, v37
	v_bfe_u32 v112, v113, 21, 1
	v_add_nc_u32_e32 v112, -1, v112
	v_cndmask_b32_e64 v112, 0, v112, s16
	s_mov_b32 s16, exec_lo
	v_add_nc_u32_e32 v112, v112, v113
	v_and_b32_e32 v112, 0x1fffff, v112
	v_add_nc_u32_e32 v112, v112, v113
                                        ; implicit-def: $vgpr113
	v_cmpx_ne_u32_e64 v37, v102
	s_xor_b32 s16, exec_lo, s16
; %bb.16695:                            ;   in Loop: Header=BB6_15804 Depth=3
	v_cmp_lt_u32_e32 vcc_lo, 0xffffff, v112
	v_sub_nc_u32_e32 v37, v37, v102
	v_cndmask_b32_e64 v102, 0, 1, vcc_lo
	v_add_co_ci_u32_e64 v113, null, 0, v37, vcc_lo
	v_lshrrev_b32_e32 v112, v102, v112
; %bb.16696:                            ;   in Loop: Header=BB6_15804 Depth=3
	s_andn2_saveexec_b32 s16, s16
; %bb.16697:                            ;   in Loop: Header=BB6_15804 Depth=3
	v_bfe_u32 v113, v112, 23, 1
; %bb.16698:                            ;   in Loop: Header=BB6_15804 Depth=3
	s_or_b32 exec_lo, exec_lo, s16
	v_and_b32_sdwa v37, v99, v117 dst_sel:DWORD dst_unused:UNUSED_PAD src0_sel:BYTE_3 src1_sel:DWORD
	v_lshrrev_b32_e32 v99, 21, v112
	v_cmp_gt_i32_e32 vcc_lo, 32, v113
	v_min_i32_e32 v102, 31, v113
	v_cndmask_b32_e32 v99, 3, v99, vcc_lo
	v_lshlrev_b32_e32 v102, 2, v102
	v_or_b32_e32 v112, v113, v99
	v_and_b32_e32 v99, 3, v99
	v_cmp_ne_u32_e32 vcc_lo, 0, v112
	v_or3_b32 v37, v102, v37, v99
	v_cndmask_b32_e32 v37, 0, v37, vcc_lo
.LBB6_16699:                            ;   in Loop: Header=BB6_15804 Depth=3
	s_or_b32 exec_lo, exec_lo, s23
.LBB6_16700:                            ;   in Loop: Header=BB6_15804 Depth=3
	s_or_b32 exec_lo, exec_lo, s22
	v_cmp_gt_i16_sdwa s16, v36, v116 src0_sel:BYTE_0 src1_sel:DWORD
	s_mov_b32 s22, 0
	s_and_saveexec_b32 s23, s16
	s_xor_b32 s16, exec_lo, s23
	s_cbranch_execz .LBB6_17050
; %bb.16701:                            ;   in Loop: Header=BB6_15804 Depth=3
	v_cmp_eq_u16_sdwa s72, v36, v117 src0_sel:BYTE_0 src1_sel:DWORD
	s_mov_b32 s22, -1
	s_and_saveexec_b32 s23, s72
; %bb.16702:                            ;   in Loop: Header=BB6_15804 Depth=3
	s_xor_b32 s22, exec_lo, -1
; %bb.16703:                            ;   in Loop: Header=BB6_15804 Depth=3
	s_or_b32 exec_lo, exec_lo, s23
	s_and_b32 s22, s22, exec_lo
	s_or_saveexec_b32 s16, s16
	v_mov_b32_e32 v99, 0x7f800001
	s_xor_b32 exec_lo, exec_lo, s16
	s_cbranch_execnz .LBB6_17051
.LBB6_16704:                            ;   in Loop: Header=BB6_15804 Depth=3
	s_or_b32 exec_lo, exec_lo, s16
	s_and_saveexec_b32 s16, s22
	s_cbranch_execz .LBB6_16706
.LBB6_16705:                            ;   in Loop: Header=BB6_15804 Depth=3
	v_and_b32_e32 v99, 3, v36
	v_lshrrev_b16 v112, 2, v36
	v_ffbh_u32_e32 v102, v99
	v_and_b32_e32 v112, 31, v112
	v_min_u32_e32 v102, 32, v102
	v_cmp_eq_u32_e32 vcc_lo, 0, v112
	v_subrev_nc_u32_e32 v113, 29, v102
	v_sub_nc_u32_e32 v102, 30, v102
	v_lshlrev_b32_e32 v113, v113, v36
	v_lshlrev_b32_e32 v36, 24, v36
	v_cndmask_b32_e32 v102, v112, v102, vcc_lo
	v_and_b32_e32 v113, 3, v113
	v_and_b32_e32 v36, 0x80000000, v36
	v_lshl_add_u32 v102, v102, 23, 0x37800000
	v_cndmask_b32_e32 v99, v99, v113, vcc_lo
	v_lshlrev_b32_e32 v99, 21, v99
	v_or3_b32 v99, v36, v102, v99
.LBB6_16706:                            ;   in Loop: Header=BB6_15804 Depth=3
	s_or_b32 exec_lo, exec_lo, s16
	s_waitcnt vmcnt(9) lgkmcnt(9)
	v_cmp_gt_i16_sdwa s22, v87, v116 src0_sel:BYTE_0 src1_sel:DWORD
	s_mov_b32 s16, 0
	s_and_saveexec_b32 s23, s22
	s_xor_b32 s22, exec_lo, s23
	s_cbranch_execz .LBB6_17052
; %bb.16707:                            ;   in Loop: Header=BB6_15804 Depth=3
	v_cmp_eq_u16_sdwa s72, v87, v117 src0_sel:BYTE_0 src1_sel:DWORD
	s_mov_b32 s16, -1
	s_and_saveexec_b32 s23, s72
; %bb.16708:                            ;   in Loop: Header=BB6_15804 Depth=3
	s_xor_b32 s16, exec_lo, -1
; %bb.16709:                            ;   in Loop: Header=BB6_15804 Depth=3
	s_or_b32 exec_lo, exec_lo, s23
	s_and_b32 s16, s16, exec_lo
	s_or_saveexec_b32 s22, s22
	v_mov_b32_e32 v36, 0x7f800001
	s_xor_b32 exec_lo, exec_lo, s22
	s_cbranch_execnz .LBB6_17053
.LBB6_16710:                            ;   in Loop: Header=BB6_15804 Depth=3
	s_or_b32 exec_lo, exec_lo, s22
	s_and_saveexec_b32 s22, s16
	s_cbranch_execz .LBB6_16712
.LBB6_16711:                            ;   in Loop: Header=BB6_15804 Depth=3
	v_and_b32_e32 v36, 3, v87
	v_lshrrev_b16 v112, 2, v87
	v_ffbh_u32_e32 v102, v36
	v_and_b32_e32 v112, 31, v112
	v_min_u32_e32 v102, 32, v102
	v_cmp_eq_u32_e32 vcc_lo, 0, v112
	v_subrev_nc_u32_e32 v113, 29, v102
	v_sub_nc_u32_e32 v102, 30, v102
	v_lshlrev_b32_e32 v113, v113, v87
	v_lshlrev_b32_e32 v87, 24, v87
	v_cndmask_b32_e32 v102, v112, v102, vcc_lo
	v_and_b32_e32 v113, 3, v113
	v_and_b32_e32 v87, 0x80000000, v87
	v_lshl_add_u32 v102, v102, 23, 0x37800000
	v_cndmask_b32_e32 v36, v36, v113, vcc_lo
	v_lshlrev_b32_e32 v36, 21, v36
	v_or3_b32 v36, v87, v102, v36
.LBB6_16712:                            ;   in Loop: Header=BB6_15804 Depth=3
	s_or_b32 exec_lo, exec_lo, s22
	v_add_f32_e32 v87, v99, v36
	v_and_b32_e32 v36, 0x7f800000, v87
	v_cmp_ne_u32_e32 vcc_lo, 0x7f800000, v36
	v_mov_b32_e32 v36, 0x80
	s_and_saveexec_b32 s22, vcc_lo
	s_cbranch_execz .LBB6_16720
; %bb.16713:                            ;   in Loop: Header=BB6_15804 Depth=3
	v_mov_b32_e32 v36, 0
	s_mov_b32 s23, exec_lo
	v_cmpx_ne_u32_e32 0, v87
	s_cbranch_execz .LBB6_16719
; %bb.16714:                            ;   in Loop: Header=BB6_15804 Depth=3
	v_bfe_u32 v99, v87, 23, 8
	v_and_b32_e32 v36, 0x7fffff, v87
	v_cmp_gt_u32_e64 s16, 0x71, v99
	v_sub_nc_u32_e32 v102, 0x70, v99
	v_cmp_eq_u32_e32 vcc_lo, 0, v99
	v_or_b32_e32 v112, 0x800000, v36
	v_cndmask_b32_e64 v102, 0, v102, s16
	v_cndmask_b32_e32 v36, v112, v36, vcc_lo
	v_cndmask_b32_e64 v102, v102, 0x6f, vcc_lo
	v_lshl_add_u32 v112, 0x200000, v102, -1
	v_lshlrev_b32_e64 v113, v102, 0x100000
	v_and_b32_e32 v112, v112, v36
	v_cmp_eq_u32_e64 s16, v112, v113
	v_lshrrev_b32_e32 v112, v102, v36
	v_add_nc_u32_e32 v36, 0xffffff91, v99
	v_lshrrev_b32_e32 v99, 23, v112
	v_cndmask_b32_e64 v36, v36, 0xffffff92, vcc_lo
	v_xor_b32_e32 v99, 1, v99
	v_add_nc_u32_e32 v36, v102, v36
	v_bfe_u32 v102, v112, 21, 1
	v_add_nc_u32_e32 v102, -1, v102
	v_cndmask_b32_e64 v102, 0, v102, s16
	s_mov_b32 s16, exec_lo
	v_add_nc_u32_e32 v102, v102, v112
	v_and_b32_e32 v102, 0x1fffff, v102
	v_add_nc_u32_e32 v102, v102, v112
                                        ; implicit-def: $vgpr112
	v_cmpx_ne_u32_e64 v36, v99
	s_xor_b32 s16, exec_lo, s16
; %bb.16715:                            ;   in Loop: Header=BB6_15804 Depth=3
	v_cmp_lt_u32_e32 vcc_lo, 0xffffff, v102
	v_sub_nc_u32_e32 v36, v36, v99
	v_cndmask_b32_e64 v99, 0, 1, vcc_lo
	v_add_co_ci_u32_e64 v112, null, 0, v36, vcc_lo
	v_lshrrev_b32_e32 v102, v99, v102
; %bb.16716:                            ;   in Loop: Header=BB6_15804 Depth=3
	s_andn2_saveexec_b32 s16, s16
; %bb.16717:                            ;   in Loop: Header=BB6_15804 Depth=3
	v_bfe_u32 v112, v102, 23, 1
; %bb.16718:                            ;   in Loop: Header=BB6_15804 Depth=3
	s_or_b32 exec_lo, exec_lo, s16
	v_and_b32_sdwa v36, v87, v117 dst_sel:DWORD dst_unused:UNUSED_PAD src0_sel:BYTE_3 src1_sel:DWORD
	v_lshrrev_b32_e32 v87, 21, v102
	v_cmp_gt_i32_e32 vcc_lo, 32, v112
	v_min_i32_e32 v99, 31, v112
	v_cndmask_b32_e32 v87, 3, v87, vcc_lo
	v_lshlrev_b32_e32 v99, 2, v99
	v_or_b32_e32 v102, v112, v87
	v_and_b32_e32 v87, 3, v87
	v_cmp_ne_u32_e32 vcc_lo, 0, v102
	v_or3_b32 v36, v99, v36, v87
	v_cndmask_b32_e32 v36, 0, v36, vcc_lo
.LBB6_16719:                            ;   in Loop: Header=BB6_15804 Depth=3
	s_or_b32 exec_lo, exec_lo, s23
.LBB6_16720:                            ;   in Loop: Header=BB6_15804 Depth=3
	s_or_b32 exec_lo, exec_lo, s22
	v_cmp_gt_i16_sdwa s16, v29, v116 src0_sel:BYTE_0 src1_sel:DWORD
	s_mov_b32 s22, 0
	s_and_saveexec_b32 s23, s16
	s_xor_b32 s16, exec_lo, s23
	s_cbranch_execz .LBB6_17054
; %bb.16721:                            ;   in Loop: Header=BB6_15804 Depth=3
	v_cmp_eq_u16_sdwa s72, v29, v117 src0_sel:BYTE_0 src1_sel:DWORD
	s_mov_b32 s22, -1
	s_and_saveexec_b32 s23, s72
; %bb.16722:                            ;   in Loop: Header=BB6_15804 Depth=3
	s_xor_b32 s22, exec_lo, -1
; %bb.16723:                            ;   in Loop: Header=BB6_15804 Depth=3
	s_or_b32 exec_lo, exec_lo, s23
	s_and_b32 s22, s22, exec_lo
	s_or_saveexec_b32 s16, s16
	v_mov_b32_e32 v87, 0x7f800001
	s_xor_b32 exec_lo, exec_lo, s16
	s_cbranch_execnz .LBB6_17055
.LBB6_16724:                            ;   in Loop: Header=BB6_15804 Depth=3
	s_or_b32 exec_lo, exec_lo, s16
	s_and_saveexec_b32 s16, s22
	s_cbranch_execz .LBB6_16726
.LBB6_16725:                            ;   in Loop: Header=BB6_15804 Depth=3
	v_and_b32_e32 v87, 3, v29
	v_lshrrev_b16 v102, 2, v29
	v_ffbh_u32_e32 v99, v87
	v_and_b32_e32 v102, 31, v102
	v_min_u32_e32 v99, 32, v99
	v_cmp_eq_u32_e32 vcc_lo, 0, v102
	v_subrev_nc_u32_e32 v112, 29, v99
	v_sub_nc_u32_e32 v99, 30, v99
	v_lshlrev_b32_e32 v112, v112, v29
	v_lshlrev_b32_e32 v29, 24, v29
	v_cndmask_b32_e32 v99, v102, v99, vcc_lo
	v_and_b32_e32 v112, 3, v112
	v_and_b32_e32 v29, 0x80000000, v29
	v_lshl_add_u32 v99, v99, 23, 0x37800000
	v_cndmask_b32_e32 v87, v87, v112, vcc_lo
	v_lshlrev_b32_e32 v87, 21, v87
	v_or3_b32 v87, v29, v99, v87
.LBB6_16726:                            ;   in Loop: Header=BB6_15804 Depth=3
	s_or_b32 exec_lo, exec_lo, s16
	s_waitcnt vmcnt(8) lgkmcnt(8)
	v_cmp_gt_i16_sdwa s22, v83, v116 src0_sel:BYTE_0 src1_sel:DWORD
	s_mov_b32 s16, 0
	s_and_saveexec_b32 s23, s22
	s_xor_b32 s22, exec_lo, s23
	s_cbranch_execz .LBB6_17056
; %bb.16727:                            ;   in Loop: Header=BB6_15804 Depth=3
	v_cmp_eq_u16_sdwa s72, v83, v117 src0_sel:BYTE_0 src1_sel:DWORD
	s_mov_b32 s16, -1
	s_and_saveexec_b32 s23, s72
; %bb.16728:                            ;   in Loop: Header=BB6_15804 Depth=3
	s_xor_b32 s16, exec_lo, -1
; %bb.16729:                            ;   in Loop: Header=BB6_15804 Depth=3
	s_or_b32 exec_lo, exec_lo, s23
	s_and_b32 s16, s16, exec_lo
	s_or_saveexec_b32 s22, s22
	v_mov_b32_e32 v29, 0x7f800001
	s_xor_b32 exec_lo, exec_lo, s22
	s_cbranch_execnz .LBB6_17057
.LBB6_16730:                            ;   in Loop: Header=BB6_15804 Depth=3
	s_or_b32 exec_lo, exec_lo, s22
	s_and_saveexec_b32 s22, s16
	s_cbranch_execz .LBB6_16732
.LBB6_16731:                            ;   in Loop: Header=BB6_15804 Depth=3
	v_and_b32_e32 v29, 3, v83
	v_lshrrev_b16 v102, 2, v83
	v_ffbh_u32_e32 v99, v29
	v_and_b32_e32 v102, 31, v102
	v_min_u32_e32 v99, 32, v99
	v_cmp_eq_u32_e32 vcc_lo, 0, v102
	v_subrev_nc_u32_e32 v112, 29, v99
	v_sub_nc_u32_e32 v99, 30, v99
	v_lshlrev_b32_e32 v112, v112, v83
	v_lshlrev_b32_e32 v83, 24, v83
	v_cndmask_b32_e32 v99, v102, v99, vcc_lo
	v_and_b32_e32 v112, 3, v112
	v_and_b32_e32 v83, 0x80000000, v83
	v_lshl_add_u32 v99, v99, 23, 0x37800000
	v_cndmask_b32_e32 v29, v29, v112, vcc_lo
	v_lshlrev_b32_e32 v29, 21, v29
	v_or3_b32 v29, v83, v99, v29
.LBB6_16732:                            ;   in Loop: Header=BB6_15804 Depth=3
	s_or_b32 exec_lo, exec_lo, s22
	v_add_f32_e32 v83, v87, v29
	v_and_b32_e32 v29, 0x7f800000, v83
	v_cmp_ne_u32_e32 vcc_lo, 0x7f800000, v29
	v_mov_b32_e32 v29, 0x80
	s_and_saveexec_b32 s22, vcc_lo
	s_cbranch_execz .LBB6_16740
; %bb.16733:                            ;   in Loop: Header=BB6_15804 Depth=3
	v_mov_b32_e32 v29, 0
	s_mov_b32 s23, exec_lo
	v_cmpx_ne_u32_e32 0, v83
	s_cbranch_execz .LBB6_16739
; %bb.16734:                            ;   in Loop: Header=BB6_15804 Depth=3
	v_bfe_u32 v87, v83, 23, 8
	v_and_b32_e32 v29, 0x7fffff, v83
	v_cmp_gt_u32_e64 s16, 0x71, v87
	v_sub_nc_u32_e32 v99, 0x70, v87
	v_cmp_eq_u32_e32 vcc_lo, 0, v87
	v_or_b32_e32 v102, 0x800000, v29
	v_cndmask_b32_e64 v99, 0, v99, s16
	v_cndmask_b32_e32 v29, v102, v29, vcc_lo
	v_cndmask_b32_e64 v99, v99, 0x6f, vcc_lo
	v_lshl_add_u32 v102, 0x200000, v99, -1
	v_lshlrev_b32_e64 v112, v99, 0x100000
	v_and_b32_e32 v102, v102, v29
	v_cmp_eq_u32_e64 s16, v102, v112
	v_lshrrev_b32_e32 v102, v99, v29
	v_add_nc_u32_e32 v29, 0xffffff91, v87
	v_lshrrev_b32_e32 v87, 23, v102
	v_cndmask_b32_e64 v29, v29, 0xffffff92, vcc_lo
	v_xor_b32_e32 v87, 1, v87
	v_add_nc_u32_e32 v29, v99, v29
	v_bfe_u32 v99, v102, 21, 1
	v_add_nc_u32_e32 v99, -1, v99
	v_cndmask_b32_e64 v99, 0, v99, s16
	s_mov_b32 s16, exec_lo
	v_add_nc_u32_e32 v99, v99, v102
	v_and_b32_e32 v99, 0x1fffff, v99
	v_add_nc_u32_e32 v99, v99, v102
                                        ; implicit-def: $vgpr102
	v_cmpx_ne_u32_e64 v29, v87
	s_xor_b32 s16, exec_lo, s16
; %bb.16735:                            ;   in Loop: Header=BB6_15804 Depth=3
	v_cmp_lt_u32_e32 vcc_lo, 0xffffff, v99
	v_sub_nc_u32_e32 v29, v29, v87
	v_cndmask_b32_e64 v87, 0, 1, vcc_lo
	v_add_co_ci_u32_e64 v102, null, 0, v29, vcc_lo
	v_lshrrev_b32_e32 v99, v87, v99
; %bb.16736:                            ;   in Loop: Header=BB6_15804 Depth=3
	s_andn2_saveexec_b32 s16, s16
; %bb.16737:                            ;   in Loop: Header=BB6_15804 Depth=3
	v_bfe_u32 v102, v99, 23, 1
; %bb.16738:                            ;   in Loop: Header=BB6_15804 Depth=3
	s_or_b32 exec_lo, exec_lo, s16
	v_and_b32_sdwa v29, v83, v117 dst_sel:DWORD dst_unused:UNUSED_PAD src0_sel:BYTE_3 src1_sel:DWORD
	v_lshrrev_b32_e32 v83, 21, v99
	v_cmp_gt_i32_e32 vcc_lo, 32, v102
	v_min_i32_e32 v87, 31, v102
	v_cndmask_b32_e32 v83, 3, v83, vcc_lo
	v_lshlrev_b32_e32 v87, 2, v87
	v_or_b32_e32 v99, v102, v83
	v_and_b32_e32 v83, 3, v83
	v_cmp_ne_u32_e32 vcc_lo, 0, v99
	v_or3_b32 v29, v87, v29, v83
	v_cndmask_b32_e32 v29, 0, v29, vcc_lo
.LBB6_16739:                            ;   in Loop: Header=BB6_15804 Depth=3
	s_or_b32 exec_lo, exec_lo, s23
.LBB6_16740:                            ;   in Loop: Header=BB6_15804 Depth=3
	s_or_b32 exec_lo, exec_lo, s22
	v_cmp_gt_i16_sdwa s16, v28, v116 src0_sel:BYTE_0 src1_sel:DWORD
	s_mov_b32 s22, 0
	s_and_saveexec_b32 s23, s16
	s_xor_b32 s16, exec_lo, s23
	s_cbranch_execz .LBB6_17058
; %bb.16741:                            ;   in Loop: Header=BB6_15804 Depth=3
	v_cmp_eq_u16_sdwa s72, v28, v117 src0_sel:BYTE_0 src1_sel:DWORD
	s_mov_b32 s22, -1
	s_and_saveexec_b32 s23, s72
; %bb.16742:                            ;   in Loop: Header=BB6_15804 Depth=3
	s_xor_b32 s22, exec_lo, -1
; %bb.16743:                            ;   in Loop: Header=BB6_15804 Depth=3
	s_or_b32 exec_lo, exec_lo, s23
	s_and_b32 s22, s22, exec_lo
	s_or_saveexec_b32 s16, s16
	v_mov_b32_e32 v83, 0x7f800001
	s_xor_b32 exec_lo, exec_lo, s16
	s_cbranch_execnz .LBB6_17059
.LBB6_16744:                            ;   in Loop: Header=BB6_15804 Depth=3
	s_or_b32 exec_lo, exec_lo, s16
	s_and_saveexec_b32 s16, s22
	s_cbranch_execz .LBB6_16746
.LBB6_16745:                            ;   in Loop: Header=BB6_15804 Depth=3
	v_and_b32_e32 v83, 3, v28
	v_lshrrev_b16 v99, 2, v28
	v_ffbh_u32_e32 v87, v83
	v_and_b32_e32 v99, 31, v99
	v_min_u32_e32 v87, 32, v87
	v_cmp_eq_u32_e32 vcc_lo, 0, v99
	v_subrev_nc_u32_e32 v102, 29, v87
	v_sub_nc_u32_e32 v87, 30, v87
	v_lshlrev_b32_e32 v102, v102, v28
	v_lshlrev_b32_e32 v28, 24, v28
	v_cndmask_b32_e32 v87, v99, v87, vcc_lo
	v_and_b32_e32 v102, 3, v102
	v_and_b32_e32 v28, 0x80000000, v28
	v_lshl_add_u32 v87, v87, 23, 0x37800000
	v_cndmask_b32_e32 v83, v83, v102, vcc_lo
	v_lshlrev_b32_e32 v83, 21, v83
	v_or3_b32 v83, v28, v87, v83
.LBB6_16746:                            ;   in Loop: Header=BB6_15804 Depth=3
	s_or_b32 exec_lo, exec_lo, s16
	s_waitcnt vmcnt(7) lgkmcnt(7)
	v_cmp_gt_i16_sdwa s22, v70, v116 src0_sel:BYTE_0 src1_sel:DWORD
	s_mov_b32 s16, 0
	s_and_saveexec_b32 s23, s22
	s_xor_b32 s22, exec_lo, s23
	s_cbranch_execz .LBB6_17060
; %bb.16747:                            ;   in Loop: Header=BB6_15804 Depth=3
	v_cmp_eq_u16_sdwa s72, v70, v117 src0_sel:BYTE_0 src1_sel:DWORD
	s_mov_b32 s16, -1
	s_and_saveexec_b32 s23, s72
; %bb.16748:                            ;   in Loop: Header=BB6_15804 Depth=3
	s_xor_b32 s16, exec_lo, -1
; %bb.16749:                            ;   in Loop: Header=BB6_15804 Depth=3
	s_or_b32 exec_lo, exec_lo, s23
	s_and_b32 s16, s16, exec_lo
	s_or_saveexec_b32 s22, s22
	v_mov_b32_e32 v28, 0x7f800001
	s_xor_b32 exec_lo, exec_lo, s22
	s_cbranch_execnz .LBB6_17061
.LBB6_16750:                            ;   in Loop: Header=BB6_15804 Depth=3
	s_or_b32 exec_lo, exec_lo, s22
	s_and_saveexec_b32 s22, s16
	s_cbranch_execz .LBB6_16752
.LBB6_16751:                            ;   in Loop: Header=BB6_15804 Depth=3
	v_and_b32_e32 v28, 3, v70
	v_lshrrev_b16 v99, 2, v70
	v_ffbh_u32_e32 v87, v28
	v_and_b32_e32 v99, 31, v99
	v_min_u32_e32 v87, 32, v87
	v_cmp_eq_u32_e32 vcc_lo, 0, v99
	v_subrev_nc_u32_e32 v102, 29, v87
	v_sub_nc_u32_e32 v87, 30, v87
	v_lshlrev_b32_e32 v102, v102, v70
	v_lshlrev_b32_e32 v70, 24, v70
	v_cndmask_b32_e32 v87, v99, v87, vcc_lo
	v_and_b32_e32 v102, 3, v102
	v_and_b32_e32 v70, 0x80000000, v70
	v_lshl_add_u32 v87, v87, 23, 0x37800000
	v_cndmask_b32_e32 v28, v28, v102, vcc_lo
	v_lshlrev_b32_e32 v28, 21, v28
	v_or3_b32 v28, v70, v87, v28
.LBB6_16752:                            ;   in Loop: Header=BB6_15804 Depth=3
	s_or_b32 exec_lo, exec_lo, s22
	v_add_f32_e32 v70, v83, v28
	v_and_b32_e32 v28, 0x7f800000, v70
	v_cmp_ne_u32_e32 vcc_lo, 0x7f800000, v28
	v_mov_b32_e32 v28, 0x80
	s_and_saveexec_b32 s22, vcc_lo
	s_cbranch_execz .LBB6_16760
; %bb.16753:                            ;   in Loop: Header=BB6_15804 Depth=3
	v_mov_b32_e32 v28, 0
	s_mov_b32 s23, exec_lo
	v_cmpx_ne_u32_e32 0, v70
	s_cbranch_execz .LBB6_16759
; %bb.16754:                            ;   in Loop: Header=BB6_15804 Depth=3
	v_bfe_u32 v83, v70, 23, 8
	v_and_b32_e32 v28, 0x7fffff, v70
	v_cmp_gt_u32_e64 s16, 0x71, v83
	v_sub_nc_u32_e32 v87, 0x70, v83
	v_cmp_eq_u32_e32 vcc_lo, 0, v83
	v_or_b32_e32 v99, 0x800000, v28
	v_cndmask_b32_e64 v87, 0, v87, s16
	v_cndmask_b32_e32 v28, v99, v28, vcc_lo
	v_cndmask_b32_e64 v87, v87, 0x6f, vcc_lo
	v_lshl_add_u32 v99, 0x200000, v87, -1
	v_lshlrev_b32_e64 v102, v87, 0x100000
	v_and_b32_e32 v99, v99, v28
	v_cmp_eq_u32_e64 s16, v99, v102
	v_lshrrev_b32_e32 v99, v87, v28
	v_add_nc_u32_e32 v28, 0xffffff91, v83
	v_lshrrev_b32_e32 v83, 23, v99
	v_cndmask_b32_e64 v28, v28, 0xffffff92, vcc_lo
	v_xor_b32_e32 v83, 1, v83
	v_add_nc_u32_e32 v28, v87, v28
	v_bfe_u32 v87, v99, 21, 1
	v_add_nc_u32_e32 v87, -1, v87
	v_cndmask_b32_e64 v87, 0, v87, s16
	s_mov_b32 s16, exec_lo
	v_add_nc_u32_e32 v87, v87, v99
	v_and_b32_e32 v87, 0x1fffff, v87
	v_add_nc_u32_e32 v87, v87, v99
                                        ; implicit-def: $vgpr99
	v_cmpx_ne_u32_e64 v28, v83
	s_xor_b32 s16, exec_lo, s16
; %bb.16755:                            ;   in Loop: Header=BB6_15804 Depth=3
	v_cmp_lt_u32_e32 vcc_lo, 0xffffff, v87
	v_sub_nc_u32_e32 v28, v28, v83
	v_cndmask_b32_e64 v83, 0, 1, vcc_lo
	v_add_co_ci_u32_e64 v99, null, 0, v28, vcc_lo
	v_lshrrev_b32_e32 v87, v83, v87
; %bb.16756:                            ;   in Loop: Header=BB6_15804 Depth=3
	s_andn2_saveexec_b32 s16, s16
; %bb.16757:                            ;   in Loop: Header=BB6_15804 Depth=3
	v_bfe_u32 v99, v87, 23, 1
; %bb.16758:                            ;   in Loop: Header=BB6_15804 Depth=3
	s_or_b32 exec_lo, exec_lo, s16
	v_and_b32_sdwa v28, v70, v117 dst_sel:DWORD dst_unused:UNUSED_PAD src0_sel:BYTE_3 src1_sel:DWORD
	v_lshrrev_b32_e32 v70, 21, v87
	v_cmp_gt_i32_e32 vcc_lo, 32, v99
	v_min_i32_e32 v83, 31, v99
	v_cndmask_b32_e32 v70, 3, v70, vcc_lo
	v_lshlrev_b32_e32 v83, 2, v83
	v_or_b32_e32 v87, v99, v70
	v_and_b32_e32 v70, 3, v70
	v_cmp_ne_u32_e32 vcc_lo, 0, v87
	v_or3_b32 v28, v83, v28, v70
	v_cndmask_b32_e32 v28, 0, v28, vcc_lo
.LBB6_16759:                            ;   in Loop: Header=BB6_15804 Depth=3
	s_or_b32 exec_lo, exec_lo, s23
.LBB6_16760:                            ;   in Loop: Header=BB6_15804 Depth=3
	s_or_b32 exec_lo, exec_lo, s22
	v_cmp_gt_i16_sdwa s16, v25, v116 src0_sel:BYTE_0 src1_sel:DWORD
	s_mov_b32 s22, 0
	s_and_saveexec_b32 s23, s16
	s_xor_b32 s16, exec_lo, s23
	s_cbranch_execz .LBB6_17062
; %bb.16761:                            ;   in Loop: Header=BB6_15804 Depth=3
	v_cmp_eq_u16_sdwa s72, v25, v117 src0_sel:BYTE_0 src1_sel:DWORD
	s_mov_b32 s22, -1
	s_and_saveexec_b32 s23, s72
; %bb.16762:                            ;   in Loop: Header=BB6_15804 Depth=3
	s_xor_b32 s22, exec_lo, -1
; %bb.16763:                            ;   in Loop: Header=BB6_15804 Depth=3
	s_or_b32 exec_lo, exec_lo, s23
	s_and_b32 s22, s22, exec_lo
	s_or_saveexec_b32 s16, s16
	v_mov_b32_e32 v70, 0x7f800001
	s_xor_b32 exec_lo, exec_lo, s16
	s_cbranch_execnz .LBB6_17063
.LBB6_16764:                            ;   in Loop: Header=BB6_15804 Depth=3
	s_or_b32 exec_lo, exec_lo, s16
	s_and_saveexec_b32 s16, s22
	s_cbranch_execz .LBB6_16766
.LBB6_16765:                            ;   in Loop: Header=BB6_15804 Depth=3
	v_and_b32_e32 v70, 3, v25
	v_lshrrev_b16 v87, 2, v25
	v_ffbh_u32_e32 v83, v70
	v_and_b32_e32 v87, 31, v87
	v_min_u32_e32 v83, 32, v83
	v_cmp_eq_u32_e32 vcc_lo, 0, v87
	v_subrev_nc_u32_e32 v99, 29, v83
	v_sub_nc_u32_e32 v83, 30, v83
	v_lshlrev_b32_e32 v99, v99, v25
	v_lshlrev_b32_e32 v25, 24, v25
	v_cndmask_b32_e32 v83, v87, v83, vcc_lo
	v_and_b32_e32 v99, 3, v99
	v_and_b32_e32 v25, 0x80000000, v25
	v_lshl_add_u32 v83, v83, 23, 0x37800000
	v_cndmask_b32_e32 v70, v70, v99, vcc_lo
	v_lshlrev_b32_e32 v70, 21, v70
	v_or3_b32 v70, v25, v83, v70
.LBB6_16766:                            ;   in Loop: Header=BB6_15804 Depth=3
	s_or_b32 exec_lo, exec_lo, s16
	s_waitcnt vmcnt(6) lgkmcnt(6)
	v_cmp_gt_i16_sdwa s22, v54, v116 src0_sel:BYTE_0 src1_sel:DWORD
	s_mov_b32 s16, 0
	s_and_saveexec_b32 s23, s22
	s_xor_b32 s22, exec_lo, s23
	s_cbranch_execz .LBB6_17064
; %bb.16767:                            ;   in Loop: Header=BB6_15804 Depth=3
	v_cmp_eq_u16_sdwa s72, v54, v117 src0_sel:BYTE_0 src1_sel:DWORD
	s_mov_b32 s16, -1
	s_and_saveexec_b32 s23, s72
; %bb.16768:                            ;   in Loop: Header=BB6_15804 Depth=3
	s_xor_b32 s16, exec_lo, -1
; %bb.16769:                            ;   in Loop: Header=BB6_15804 Depth=3
	s_or_b32 exec_lo, exec_lo, s23
	s_and_b32 s16, s16, exec_lo
	s_or_saveexec_b32 s22, s22
	v_mov_b32_e32 v25, 0x7f800001
	s_xor_b32 exec_lo, exec_lo, s22
	s_cbranch_execnz .LBB6_17065
.LBB6_16770:                            ;   in Loop: Header=BB6_15804 Depth=3
	s_or_b32 exec_lo, exec_lo, s22
	s_and_saveexec_b32 s22, s16
	s_cbranch_execz .LBB6_16772
.LBB6_16771:                            ;   in Loop: Header=BB6_15804 Depth=3
	v_and_b32_e32 v25, 3, v54
	v_lshrrev_b16 v87, 2, v54
	v_ffbh_u32_e32 v83, v25
	v_and_b32_e32 v87, 31, v87
	v_min_u32_e32 v83, 32, v83
	v_cmp_eq_u32_e32 vcc_lo, 0, v87
	v_subrev_nc_u32_e32 v99, 29, v83
	v_sub_nc_u32_e32 v83, 30, v83
	v_lshlrev_b32_e32 v99, v99, v54
	v_lshlrev_b32_e32 v54, 24, v54
	v_cndmask_b32_e32 v83, v87, v83, vcc_lo
	v_and_b32_e32 v99, 3, v99
	v_and_b32_e32 v54, 0x80000000, v54
	v_lshl_add_u32 v83, v83, 23, 0x37800000
	v_cndmask_b32_e32 v25, v25, v99, vcc_lo
	v_lshlrev_b32_e32 v25, 21, v25
	v_or3_b32 v25, v54, v83, v25
.LBB6_16772:                            ;   in Loop: Header=BB6_15804 Depth=3
	s_or_b32 exec_lo, exec_lo, s22
	v_add_f32_e32 v54, v70, v25
	v_and_b32_e32 v25, 0x7f800000, v54
	v_cmp_ne_u32_e32 vcc_lo, 0x7f800000, v25
	v_mov_b32_e32 v25, 0x80
	s_and_saveexec_b32 s22, vcc_lo
	s_cbranch_execz .LBB6_16780
; %bb.16773:                            ;   in Loop: Header=BB6_15804 Depth=3
	v_mov_b32_e32 v25, 0
	s_mov_b32 s23, exec_lo
	v_cmpx_ne_u32_e32 0, v54
	s_cbranch_execz .LBB6_16779
; %bb.16774:                            ;   in Loop: Header=BB6_15804 Depth=3
	v_bfe_u32 v70, v54, 23, 8
	v_and_b32_e32 v25, 0x7fffff, v54
	v_cmp_gt_u32_e64 s16, 0x71, v70
	v_sub_nc_u32_e32 v83, 0x70, v70
	v_cmp_eq_u32_e32 vcc_lo, 0, v70
	v_or_b32_e32 v87, 0x800000, v25
	v_cndmask_b32_e64 v83, 0, v83, s16
	v_cndmask_b32_e32 v25, v87, v25, vcc_lo
	v_cndmask_b32_e64 v83, v83, 0x6f, vcc_lo
	v_lshl_add_u32 v87, 0x200000, v83, -1
	v_lshlrev_b32_e64 v99, v83, 0x100000
	v_and_b32_e32 v87, v87, v25
	v_cmp_eq_u32_e64 s16, v87, v99
	v_lshrrev_b32_e32 v87, v83, v25
	v_add_nc_u32_e32 v25, 0xffffff91, v70
	v_lshrrev_b32_e32 v70, 23, v87
	v_cndmask_b32_e64 v25, v25, 0xffffff92, vcc_lo
	v_xor_b32_e32 v70, 1, v70
	v_add_nc_u32_e32 v25, v83, v25
	v_bfe_u32 v83, v87, 21, 1
	v_add_nc_u32_e32 v83, -1, v83
	v_cndmask_b32_e64 v83, 0, v83, s16
	s_mov_b32 s16, exec_lo
	v_add_nc_u32_e32 v83, v83, v87
	v_and_b32_e32 v83, 0x1fffff, v83
	v_add_nc_u32_e32 v83, v83, v87
                                        ; implicit-def: $vgpr87
	v_cmpx_ne_u32_e64 v25, v70
	s_xor_b32 s16, exec_lo, s16
; %bb.16775:                            ;   in Loop: Header=BB6_15804 Depth=3
	v_cmp_lt_u32_e32 vcc_lo, 0xffffff, v83
	v_sub_nc_u32_e32 v25, v25, v70
	v_cndmask_b32_e64 v70, 0, 1, vcc_lo
	v_add_co_ci_u32_e64 v87, null, 0, v25, vcc_lo
	v_lshrrev_b32_e32 v83, v70, v83
; %bb.16776:                            ;   in Loop: Header=BB6_15804 Depth=3
	s_andn2_saveexec_b32 s16, s16
; %bb.16777:                            ;   in Loop: Header=BB6_15804 Depth=3
	v_bfe_u32 v87, v83, 23, 1
; %bb.16778:                            ;   in Loop: Header=BB6_15804 Depth=3
	s_or_b32 exec_lo, exec_lo, s16
	v_and_b32_sdwa v25, v54, v117 dst_sel:DWORD dst_unused:UNUSED_PAD src0_sel:BYTE_3 src1_sel:DWORD
	v_lshrrev_b32_e32 v54, 21, v83
	v_cmp_gt_i32_e32 vcc_lo, 32, v87
	v_min_i32_e32 v70, 31, v87
	v_cndmask_b32_e32 v54, 3, v54, vcc_lo
	v_lshlrev_b32_e32 v70, 2, v70
	v_or_b32_e32 v83, v87, v54
	v_and_b32_e32 v54, 3, v54
	v_cmp_ne_u32_e32 vcc_lo, 0, v83
	v_or3_b32 v25, v70, v25, v54
	v_cndmask_b32_e32 v25, 0, v25, vcc_lo
.LBB6_16779:                            ;   in Loop: Header=BB6_15804 Depth=3
	s_or_b32 exec_lo, exec_lo, s23
.LBB6_16780:                            ;   in Loop: Header=BB6_15804 Depth=3
	s_or_b32 exec_lo, exec_lo, s22
	v_cmp_gt_i16_sdwa s16, v24, v116 src0_sel:BYTE_0 src1_sel:DWORD
	s_mov_b32 s22, 0
	s_and_saveexec_b32 s23, s16
	s_xor_b32 s16, exec_lo, s23
	s_cbranch_execz .LBB6_17066
; %bb.16781:                            ;   in Loop: Header=BB6_15804 Depth=3
	v_cmp_eq_u16_sdwa s72, v24, v117 src0_sel:BYTE_0 src1_sel:DWORD
	s_mov_b32 s22, -1
	s_and_saveexec_b32 s23, s72
; %bb.16782:                            ;   in Loop: Header=BB6_15804 Depth=3
	s_xor_b32 s22, exec_lo, -1
; %bb.16783:                            ;   in Loop: Header=BB6_15804 Depth=3
	s_or_b32 exec_lo, exec_lo, s23
	s_and_b32 s22, s22, exec_lo
	s_or_saveexec_b32 s16, s16
	v_mov_b32_e32 v54, 0x7f800001
	s_xor_b32 exec_lo, exec_lo, s16
	s_cbranch_execnz .LBB6_17067
.LBB6_16784:                            ;   in Loop: Header=BB6_15804 Depth=3
	s_or_b32 exec_lo, exec_lo, s16
	s_and_saveexec_b32 s16, s22
	s_cbranch_execz .LBB6_16786
.LBB6_16785:                            ;   in Loop: Header=BB6_15804 Depth=3
	v_and_b32_e32 v54, 3, v24
	v_lshrrev_b16 v83, 2, v24
	v_ffbh_u32_e32 v70, v54
	v_and_b32_e32 v83, 31, v83
	v_min_u32_e32 v70, 32, v70
	v_cmp_eq_u32_e32 vcc_lo, 0, v83
	v_subrev_nc_u32_e32 v87, 29, v70
	v_sub_nc_u32_e32 v70, 30, v70
	v_lshlrev_b32_e32 v87, v87, v24
	v_lshlrev_b32_e32 v24, 24, v24
	v_cndmask_b32_e32 v70, v83, v70, vcc_lo
	v_and_b32_e32 v87, 3, v87
	v_and_b32_e32 v24, 0x80000000, v24
	v_lshl_add_u32 v70, v70, 23, 0x37800000
	v_cndmask_b32_e32 v54, v54, v87, vcc_lo
	v_lshlrev_b32_e32 v54, 21, v54
	v_or3_b32 v54, v24, v70, v54
.LBB6_16786:                            ;   in Loop: Header=BB6_15804 Depth=3
	s_or_b32 exec_lo, exec_lo, s16
	s_waitcnt vmcnt(5) lgkmcnt(5)
	v_cmp_gt_i16_sdwa s22, v50, v116 src0_sel:BYTE_0 src1_sel:DWORD
	s_mov_b32 s16, 0
	s_and_saveexec_b32 s23, s22
	s_xor_b32 s22, exec_lo, s23
	s_cbranch_execz .LBB6_17068
; %bb.16787:                            ;   in Loop: Header=BB6_15804 Depth=3
	v_cmp_eq_u16_sdwa s72, v50, v117 src0_sel:BYTE_0 src1_sel:DWORD
	s_mov_b32 s16, -1
	s_and_saveexec_b32 s23, s72
; %bb.16788:                            ;   in Loop: Header=BB6_15804 Depth=3
	s_xor_b32 s16, exec_lo, -1
; %bb.16789:                            ;   in Loop: Header=BB6_15804 Depth=3
	s_or_b32 exec_lo, exec_lo, s23
	s_and_b32 s16, s16, exec_lo
	s_or_saveexec_b32 s22, s22
	v_mov_b32_e32 v24, 0x7f800001
	s_xor_b32 exec_lo, exec_lo, s22
	s_cbranch_execnz .LBB6_17069
.LBB6_16790:                            ;   in Loop: Header=BB6_15804 Depth=3
	s_or_b32 exec_lo, exec_lo, s22
	s_and_saveexec_b32 s22, s16
	s_cbranch_execz .LBB6_16792
.LBB6_16791:                            ;   in Loop: Header=BB6_15804 Depth=3
	v_and_b32_e32 v24, 3, v50
	v_lshrrev_b16 v83, 2, v50
	v_ffbh_u32_e32 v70, v24
	v_and_b32_e32 v83, 31, v83
	v_min_u32_e32 v70, 32, v70
	v_cmp_eq_u32_e32 vcc_lo, 0, v83
	v_subrev_nc_u32_e32 v87, 29, v70
	v_sub_nc_u32_e32 v70, 30, v70
	v_lshlrev_b32_e32 v87, v87, v50
	v_lshlrev_b32_e32 v50, 24, v50
	v_cndmask_b32_e32 v70, v83, v70, vcc_lo
	v_and_b32_e32 v87, 3, v87
	v_and_b32_e32 v50, 0x80000000, v50
	v_lshl_add_u32 v70, v70, 23, 0x37800000
	v_cndmask_b32_e32 v24, v24, v87, vcc_lo
	v_lshlrev_b32_e32 v24, 21, v24
	v_or3_b32 v24, v50, v70, v24
.LBB6_16792:                            ;   in Loop: Header=BB6_15804 Depth=3
	s_or_b32 exec_lo, exec_lo, s22
	v_add_f32_e32 v50, v54, v24
	v_and_b32_e32 v24, 0x7f800000, v50
	v_cmp_ne_u32_e32 vcc_lo, 0x7f800000, v24
	v_mov_b32_e32 v24, 0x80
	s_and_saveexec_b32 s22, vcc_lo
	s_cbranch_execz .LBB6_16800
; %bb.16793:                            ;   in Loop: Header=BB6_15804 Depth=3
	v_mov_b32_e32 v24, 0
	s_mov_b32 s23, exec_lo
	v_cmpx_ne_u32_e32 0, v50
	s_cbranch_execz .LBB6_16799
; %bb.16794:                            ;   in Loop: Header=BB6_15804 Depth=3
	v_bfe_u32 v54, v50, 23, 8
	v_and_b32_e32 v24, 0x7fffff, v50
	v_cmp_gt_u32_e64 s16, 0x71, v54
	v_sub_nc_u32_e32 v70, 0x70, v54
	v_cmp_eq_u32_e32 vcc_lo, 0, v54
	v_or_b32_e32 v83, 0x800000, v24
	v_cndmask_b32_e64 v70, 0, v70, s16
	v_cndmask_b32_e32 v24, v83, v24, vcc_lo
	v_cndmask_b32_e64 v70, v70, 0x6f, vcc_lo
	v_lshl_add_u32 v83, 0x200000, v70, -1
	v_lshlrev_b32_e64 v87, v70, 0x100000
	v_and_b32_e32 v83, v83, v24
	v_cmp_eq_u32_e64 s16, v83, v87
	v_lshrrev_b32_e32 v83, v70, v24
	v_add_nc_u32_e32 v24, 0xffffff91, v54
	v_lshrrev_b32_e32 v54, 23, v83
	v_cndmask_b32_e64 v24, v24, 0xffffff92, vcc_lo
	v_xor_b32_e32 v54, 1, v54
	v_add_nc_u32_e32 v24, v70, v24
	v_bfe_u32 v70, v83, 21, 1
	v_add_nc_u32_e32 v70, -1, v70
	v_cndmask_b32_e64 v70, 0, v70, s16
	s_mov_b32 s16, exec_lo
	v_add_nc_u32_e32 v70, v70, v83
	v_and_b32_e32 v70, 0x1fffff, v70
	v_add_nc_u32_e32 v83, v70, v83
                                        ; implicit-def: $vgpr70
	v_cmpx_ne_u32_e64 v24, v54
	s_xor_b32 s16, exec_lo, s16
; %bb.16795:                            ;   in Loop: Header=BB6_15804 Depth=3
	v_cmp_lt_u32_e32 vcc_lo, 0xffffff, v83
	v_sub_nc_u32_e32 v24, v24, v54
	v_cndmask_b32_e64 v54, 0, 1, vcc_lo
	v_add_co_ci_u32_e64 v70, null, 0, v24, vcc_lo
	v_lshrrev_b32_e32 v83, v54, v83
; %bb.16796:                            ;   in Loop: Header=BB6_15804 Depth=3
	s_andn2_saveexec_b32 s16, s16
; %bb.16797:                            ;   in Loop: Header=BB6_15804 Depth=3
	v_bfe_u32 v70, v83, 23, 1
; %bb.16798:                            ;   in Loop: Header=BB6_15804 Depth=3
	s_or_b32 exec_lo, exec_lo, s16
	v_lshrrev_b32_e32 v24, 21, v83
	v_cmp_gt_i32_e32 vcc_lo, 32, v70
	v_min_i32_e32 v54, 31, v70
	v_and_b32_sdwa v50, v50, v117 dst_sel:DWORD dst_unused:UNUSED_PAD src0_sel:BYTE_3 src1_sel:DWORD
	v_cndmask_b32_e32 v24, 3, v24, vcc_lo
	v_lshlrev_b32_e32 v54, 2, v54
	v_and_b32_e32 v83, 3, v24
	v_or_b32_e32 v24, v70, v24
	v_or3_b32 v50, v54, v50, v83
	v_cmp_ne_u32_e32 vcc_lo, 0, v24
	v_cndmask_b32_e32 v24, 0, v50, vcc_lo
.LBB6_16799:                            ;   in Loop: Header=BB6_15804 Depth=3
	s_or_b32 exec_lo, exec_lo, s23
.LBB6_16800:                            ;   in Loop: Header=BB6_15804 Depth=3
	s_or_b32 exec_lo, exec_lo, s22
	v_cmp_gt_i16_sdwa s22, v21, v116 src0_sel:BYTE_0 src1_sel:DWORD
	s_mov_b32 s16, 0
	s_and_saveexec_b32 s23, s22
	s_xor_b32 s22, exec_lo, s23
	s_cbranch_execz .LBB6_17070
; %bb.16801:                            ;   in Loop: Header=BB6_15804 Depth=3
	v_cmp_eq_u16_sdwa s72, v21, v117 src0_sel:BYTE_0 src1_sel:DWORD
	s_mov_b32 s16, -1
	s_and_saveexec_b32 s23, s72
; %bb.16802:                            ;   in Loop: Header=BB6_15804 Depth=3
	s_xor_b32 s16, exec_lo, -1
; %bb.16803:                            ;   in Loop: Header=BB6_15804 Depth=3
	s_or_b32 exec_lo, exec_lo, s23
	s_and_b32 s16, s16, exec_lo
	s_or_saveexec_b32 s22, s22
	v_mov_b32_e32 v50, 0x7f800001
	s_xor_b32 exec_lo, exec_lo, s22
	s_cbranch_execnz .LBB6_17071
.LBB6_16804:                            ;   in Loop: Header=BB6_15804 Depth=3
	s_or_b32 exec_lo, exec_lo, s22
	s_and_saveexec_b32 s22, s16
	s_cbranch_execz .LBB6_16806
.LBB6_16805:                            ;   in Loop: Header=BB6_15804 Depth=3
	v_and_b32_e32 v50, 3, v21
	v_lshrrev_b16 v70, 2, v21
	v_ffbh_u32_e32 v54, v50
	v_and_b32_e32 v70, 31, v70
	v_min_u32_e32 v54, 32, v54
	v_cmp_eq_u32_e32 vcc_lo, 0, v70
	v_subrev_nc_u32_e32 v83, 29, v54
	v_sub_nc_u32_e32 v54, 30, v54
	v_lshlrev_b32_e32 v83, v83, v21
	v_lshlrev_b32_e32 v21, 24, v21
	v_cndmask_b32_e32 v54, v70, v54, vcc_lo
	v_and_b32_e32 v83, 3, v83
	v_and_b32_e32 v21, 0x80000000, v21
	v_lshl_add_u32 v54, v54, 23, 0x37800000
	v_cndmask_b32_e32 v50, v50, v83, vcc_lo
	v_lshlrev_b32_e32 v50, 21, v50
	v_or3_b32 v50, v21, v54, v50
.LBB6_16806:                            ;   in Loop: Header=BB6_15804 Depth=3
	s_or_b32 exec_lo, exec_lo, s22
	s_waitcnt vmcnt(4) lgkmcnt(4)
	v_cmp_gt_i16_sdwa s22, v30, v116 src0_sel:BYTE_0 src1_sel:DWORD
	s_mov_b32 s16, 0
	s_and_saveexec_b32 s23, s22
	s_xor_b32 s22, exec_lo, s23
	s_cbranch_execz .LBB6_17072
; %bb.16807:                            ;   in Loop: Header=BB6_15804 Depth=3
	v_cmp_eq_u16_sdwa s72, v30, v117 src0_sel:BYTE_0 src1_sel:DWORD
	s_mov_b32 s16, -1
	s_and_saveexec_b32 s23, s72
; %bb.16808:                            ;   in Loop: Header=BB6_15804 Depth=3
	s_xor_b32 s16, exec_lo, -1
; %bb.16809:                            ;   in Loop: Header=BB6_15804 Depth=3
	s_or_b32 exec_lo, exec_lo, s23
	s_and_b32 s16, s16, exec_lo
	s_or_saveexec_b32 s22, s22
	v_mov_b32_e32 v21, 0x7f800001
	s_xor_b32 exec_lo, exec_lo, s22
	s_cbranch_execnz .LBB6_17073
.LBB6_16810:                            ;   in Loop: Header=BB6_15804 Depth=3
	s_or_b32 exec_lo, exec_lo, s22
	s_and_saveexec_b32 s22, s16
	s_cbranch_execz .LBB6_16812
.LBB6_16811:                            ;   in Loop: Header=BB6_15804 Depth=3
	v_and_b32_e32 v21, 3, v30
	v_lshrrev_b16 v70, 2, v30
	v_ffbh_u32_e32 v54, v21
	v_and_b32_e32 v70, 31, v70
	v_min_u32_e32 v54, 32, v54
	v_cmp_eq_u32_e32 vcc_lo, 0, v70
	v_subrev_nc_u32_e32 v83, 29, v54
	v_sub_nc_u32_e32 v54, 30, v54
	v_lshlrev_b32_e32 v83, v83, v30
	v_lshlrev_b32_e32 v30, 24, v30
	v_cndmask_b32_e32 v54, v70, v54, vcc_lo
	v_and_b32_e32 v83, 3, v83
	v_and_b32_e32 v30, 0x80000000, v30
	v_lshl_add_u32 v54, v54, 23, 0x37800000
	v_cndmask_b32_e32 v21, v21, v83, vcc_lo
	v_lshlrev_b32_e32 v21, 21, v21
	v_or3_b32 v21, v30, v54, v21
.LBB6_16812:                            ;   in Loop: Header=BB6_15804 Depth=3
	s_or_b32 exec_lo, exec_lo, s22
	v_add_f32_e32 v30, v50, v21
	v_and_b32_e32 v21, 0x7f800000, v30
	v_cmp_ne_u32_e32 vcc_lo, 0x7f800000, v21
	v_mov_b32_e32 v21, 0x80
	s_and_saveexec_b32 s22, vcc_lo
	s_cbranch_execz .LBB6_16820
; %bb.16813:                            ;   in Loop: Header=BB6_15804 Depth=3
	v_mov_b32_e32 v21, 0
	s_mov_b32 s23, exec_lo
	v_cmpx_ne_u32_e32 0, v30
	s_cbranch_execz .LBB6_16819
; %bb.16814:                            ;   in Loop: Header=BB6_15804 Depth=3
	v_bfe_u32 v50, v30, 23, 8
	v_and_b32_e32 v21, 0x7fffff, v30
	v_cmp_gt_u32_e64 s16, 0x71, v50
	v_sub_nc_u32_e32 v54, 0x70, v50
	v_cmp_eq_u32_e32 vcc_lo, 0, v50
	v_or_b32_e32 v70, 0x800000, v21
	v_cndmask_b32_e64 v54, 0, v54, s16
	v_cndmask_b32_e32 v21, v70, v21, vcc_lo
	v_cndmask_b32_e64 v54, v54, 0x6f, vcc_lo
	v_lshl_add_u32 v70, 0x200000, v54, -1
	v_lshlrev_b32_e64 v83, v54, 0x100000
	v_and_b32_e32 v70, v70, v21
	v_cmp_eq_u32_e64 s16, v70, v83
	v_lshrrev_b32_e32 v70, v54, v21
	v_add_nc_u32_e32 v21, 0xffffff91, v50
	v_lshrrev_b32_e32 v50, 23, v70
	v_cndmask_b32_e64 v21, v21, 0xffffff92, vcc_lo
	v_xor_b32_e32 v50, 1, v50
	v_add_nc_u32_e32 v21, v54, v21
	v_bfe_u32 v54, v70, 21, 1
	v_add_nc_u32_e32 v54, -1, v54
	v_cndmask_b32_e64 v54, 0, v54, s16
	s_mov_b32 s16, exec_lo
	v_add_nc_u32_e32 v54, v54, v70
	v_and_b32_e32 v54, 0x1fffff, v54
	v_add_nc_u32_e32 v70, v54, v70
                                        ; implicit-def: $vgpr54
	v_cmpx_ne_u32_e64 v21, v50
	s_xor_b32 s16, exec_lo, s16
; %bb.16815:                            ;   in Loop: Header=BB6_15804 Depth=3
	v_cmp_lt_u32_e32 vcc_lo, 0xffffff, v70
	v_sub_nc_u32_e32 v21, v21, v50
	v_cndmask_b32_e64 v50, 0, 1, vcc_lo
	v_add_co_ci_u32_e64 v54, null, 0, v21, vcc_lo
	v_lshrrev_b32_e32 v70, v50, v70
; %bb.16816:                            ;   in Loop: Header=BB6_15804 Depth=3
	s_andn2_saveexec_b32 s16, s16
; %bb.16817:                            ;   in Loop: Header=BB6_15804 Depth=3
	v_bfe_u32 v54, v70, 23, 1
; %bb.16818:                            ;   in Loop: Header=BB6_15804 Depth=3
	s_or_b32 exec_lo, exec_lo, s16
	v_lshrrev_b32_e32 v21, 21, v70
	v_cmp_gt_i32_e32 vcc_lo, 32, v54
	v_min_i32_e32 v50, 31, v54
	v_and_b32_sdwa v30, v30, v117 dst_sel:DWORD dst_unused:UNUSED_PAD src0_sel:BYTE_3 src1_sel:DWORD
	v_cndmask_b32_e32 v21, 3, v21, vcc_lo
	v_lshlrev_b32_e32 v50, 2, v50
	v_and_b32_e32 v70, 3, v21
	v_or_b32_e32 v21, v54, v21
	v_or3_b32 v30, v50, v30, v70
	v_cmp_ne_u32_e32 vcc_lo, 0, v21
	v_cndmask_b32_e32 v21, 0, v30, vcc_lo
.LBB6_16819:                            ;   in Loop: Header=BB6_15804 Depth=3
	s_or_b32 exec_lo, exec_lo, s23
.LBB6_16820:                            ;   in Loop: Header=BB6_15804 Depth=3
	s_or_b32 exec_lo, exec_lo, s22
	v_cmp_gt_i16_sdwa s22, v20, v116 src0_sel:BYTE_0 src1_sel:DWORD
	s_mov_b32 s16, 0
	s_and_saveexec_b32 s23, s22
	s_xor_b32 s22, exec_lo, s23
	s_cbranch_execz .LBB6_17074
; %bb.16821:                            ;   in Loop: Header=BB6_15804 Depth=3
	v_cmp_eq_u16_sdwa s72, v20, v117 src0_sel:BYTE_0 src1_sel:DWORD
	s_mov_b32 s16, -1
	s_and_saveexec_b32 s23, s72
; %bb.16822:                            ;   in Loop: Header=BB6_15804 Depth=3
	s_xor_b32 s16, exec_lo, -1
; %bb.16823:                            ;   in Loop: Header=BB6_15804 Depth=3
	s_or_b32 exec_lo, exec_lo, s23
	s_and_b32 s16, s16, exec_lo
	s_or_saveexec_b32 s22, s22
	v_mov_b32_e32 v30, 0x7f800001
	s_xor_b32 exec_lo, exec_lo, s22
	s_cbranch_execnz .LBB6_17075
.LBB6_16824:                            ;   in Loop: Header=BB6_15804 Depth=3
	s_or_b32 exec_lo, exec_lo, s22
	s_and_saveexec_b32 s22, s16
	s_cbranch_execz .LBB6_16826
.LBB6_16825:                            ;   in Loop: Header=BB6_15804 Depth=3
	v_and_b32_e32 v30, 3, v20
	v_lshrrev_b16 v54, 2, v20
	v_ffbh_u32_e32 v50, v30
	v_and_b32_e32 v54, 31, v54
	v_min_u32_e32 v50, 32, v50
	v_cmp_eq_u32_e32 vcc_lo, 0, v54
	v_subrev_nc_u32_e32 v70, 29, v50
	v_sub_nc_u32_e32 v50, 30, v50
	v_lshlrev_b32_e32 v70, v70, v20
	v_lshlrev_b32_e32 v20, 24, v20
	v_cndmask_b32_e32 v50, v54, v50, vcc_lo
	v_and_b32_e32 v70, 3, v70
	v_and_b32_e32 v20, 0x80000000, v20
	v_lshl_add_u32 v50, v50, 23, 0x37800000
	v_cndmask_b32_e32 v30, v30, v70, vcc_lo
	v_lshlrev_b32_e32 v30, 21, v30
	v_or3_b32 v30, v20, v50, v30
.LBB6_16826:                            ;   in Loop: Header=BB6_15804 Depth=3
	s_or_b32 exec_lo, exec_lo, s22
	s_waitcnt vmcnt(3) lgkmcnt(3)
	v_cmp_gt_i16_sdwa s22, v26, v116 src0_sel:BYTE_0 src1_sel:DWORD
	s_mov_b32 s16, 0
	s_and_saveexec_b32 s23, s22
	s_xor_b32 s22, exec_lo, s23
	s_cbranch_execz .LBB6_17076
; %bb.16827:                            ;   in Loop: Header=BB6_15804 Depth=3
	v_cmp_eq_u16_sdwa s72, v26, v117 src0_sel:BYTE_0 src1_sel:DWORD
	s_mov_b32 s16, -1
	s_and_saveexec_b32 s23, s72
; %bb.16828:                            ;   in Loop: Header=BB6_15804 Depth=3
	s_xor_b32 s16, exec_lo, -1
; %bb.16829:                            ;   in Loop: Header=BB6_15804 Depth=3
	s_or_b32 exec_lo, exec_lo, s23
	s_and_b32 s16, s16, exec_lo
	s_or_saveexec_b32 s22, s22
	v_mov_b32_e32 v20, 0x7f800001
	s_xor_b32 exec_lo, exec_lo, s22
	s_cbranch_execnz .LBB6_17077
.LBB6_16830:                            ;   in Loop: Header=BB6_15804 Depth=3
	s_or_b32 exec_lo, exec_lo, s22
	s_and_saveexec_b32 s22, s16
	s_cbranch_execz .LBB6_16832
.LBB6_16831:                            ;   in Loop: Header=BB6_15804 Depth=3
	v_and_b32_e32 v20, 3, v26
	v_lshrrev_b16 v54, 2, v26
	v_ffbh_u32_e32 v50, v20
	v_and_b32_e32 v54, 31, v54
	v_min_u32_e32 v50, 32, v50
	v_cmp_eq_u32_e32 vcc_lo, 0, v54
	v_subrev_nc_u32_e32 v70, 29, v50
	v_sub_nc_u32_e32 v50, 30, v50
	v_lshlrev_b32_e32 v70, v70, v26
	v_lshlrev_b32_e32 v26, 24, v26
	v_cndmask_b32_e32 v50, v54, v50, vcc_lo
	v_and_b32_e32 v70, 3, v70
	v_and_b32_e32 v26, 0x80000000, v26
	v_lshl_add_u32 v50, v50, 23, 0x37800000
	v_cndmask_b32_e32 v20, v20, v70, vcc_lo
	v_lshlrev_b32_e32 v20, 21, v20
	v_or3_b32 v20, v26, v50, v20
.LBB6_16832:                            ;   in Loop: Header=BB6_15804 Depth=3
	s_or_b32 exec_lo, exec_lo, s22
	v_add_f32_e32 v26, v30, v20
	v_and_b32_e32 v20, 0x7f800000, v26
	v_cmp_ne_u32_e32 vcc_lo, 0x7f800000, v20
	v_mov_b32_e32 v20, 0x80
	s_and_saveexec_b32 s22, vcc_lo
	s_cbranch_execz .LBB6_16840
; %bb.16833:                            ;   in Loop: Header=BB6_15804 Depth=3
	v_mov_b32_e32 v20, 0
	s_mov_b32 s23, exec_lo
	v_cmpx_ne_u32_e32 0, v26
	s_cbranch_execz .LBB6_16839
; %bb.16834:                            ;   in Loop: Header=BB6_15804 Depth=3
	v_bfe_u32 v30, v26, 23, 8
	v_and_b32_e32 v20, 0x7fffff, v26
	v_cmp_gt_u32_e64 s16, 0x71, v30
	v_sub_nc_u32_e32 v50, 0x70, v30
	v_cmp_eq_u32_e32 vcc_lo, 0, v30
	v_or_b32_e32 v54, 0x800000, v20
	v_cndmask_b32_e64 v50, 0, v50, s16
	v_cndmask_b32_e32 v20, v54, v20, vcc_lo
	v_cndmask_b32_e64 v50, v50, 0x6f, vcc_lo
	v_lshl_add_u32 v54, 0x200000, v50, -1
	v_lshlrev_b32_e64 v70, v50, 0x100000
	v_and_b32_e32 v54, v54, v20
	v_cmp_eq_u32_e64 s16, v54, v70
	v_lshrrev_b32_e32 v54, v50, v20
	v_add_nc_u32_e32 v20, 0xffffff91, v30
	v_lshrrev_b32_e32 v30, 23, v54
	v_cndmask_b32_e64 v20, v20, 0xffffff92, vcc_lo
	v_xor_b32_e32 v30, 1, v30
	v_add_nc_u32_e32 v20, v50, v20
	v_bfe_u32 v50, v54, 21, 1
	v_add_nc_u32_e32 v50, -1, v50
	v_cndmask_b32_e64 v50, 0, v50, s16
	s_mov_b32 s16, exec_lo
	v_add_nc_u32_e32 v50, v50, v54
	v_and_b32_e32 v50, 0x1fffff, v50
	v_add_nc_u32_e32 v54, v50, v54
                                        ; implicit-def: $vgpr50
	v_cmpx_ne_u32_e64 v20, v30
	s_xor_b32 s16, exec_lo, s16
; %bb.16835:                            ;   in Loop: Header=BB6_15804 Depth=3
	v_cmp_lt_u32_e32 vcc_lo, 0xffffff, v54
	v_sub_nc_u32_e32 v20, v20, v30
	v_cndmask_b32_e64 v30, 0, 1, vcc_lo
	v_add_co_ci_u32_e64 v50, null, 0, v20, vcc_lo
	v_lshrrev_b32_e32 v54, v30, v54
; %bb.16836:                            ;   in Loop: Header=BB6_15804 Depth=3
	s_andn2_saveexec_b32 s16, s16
; %bb.16837:                            ;   in Loop: Header=BB6_15804 Depth=3
	v_bfe_u32 v50, v54, 23, 1
; %bb.16838:                            ;   in Loop: Header=BB6_15804 Depth=3
	s_or_b32 exec_lo, exec_lo, s16
	v_lshrrev_b32_e32 v20, 21, v54
	v_cmp_gt_i32_e32 vcc_lo, 32, v50
	v_min_i32_e32 v30, 31, v50
	v_and_b32_sdwa v26, v26, v117 dst_sel:DWORD dst_unused:UNUSED_PAD src0_sel:BYTE_3 src1_sel:DWORD
	v_cndmask_b32_e32 v20, 3, v20, vcc_lo
	v_lshlrev_b32_e32 v30, 2, v30
	v_and_b32_e32 v54, 3, v20
	v_or_b32_e32 v20, v50, v20
	v_or3_b32 v26, v30, v26, v54
	v_cmp_ne_u32_e32 vcc_lo, 0, v20
	v_cndmask_b32_e32 v20, 0, v26, vcc_lo
.LBB6_16839:                            ;   in Loop: Header=BB6_15804 Depth=3
	s_or_b32 exec_lo, exec_lo, s23
.LBB6_16840:                            ;   in Loop: Header=BB6_15804 Depth=3
	s_or_b32 exec_lo, exec_lo, s22
	v_cmp_gt_i16_sdwa s22, v15, v116 src0_sel:BYTE_0 src1_sel:DWORD
	s_mov_b32 s16, 0
	s_and_saveexec_b32 s23, s22
	s_xor_b32 s22, exec_lo, s23
	s_cbranch_execz .LBB6_17078
; %bb.16841:                            ;   in Loop: Header=BB6_15804 Depth=3
	v_cmp_eq_u16_sdwa s72, v15, v117 src0_sel:BYTE_0 src1_sel:DWORD
	s_mov_b32 s16, -1
	s_and_saveexec_b32 s23, s72
; %bb.16842:                            ;   in Loop: Header=BB6_15804 Depth=3
	s_xor_b32 s16, exec_lo, -1
; %bb.16843:                            ;   in Loop: Header=BB6_15804 Depth=3
	s_or_b32 exec_lo, exec_lo, s23
	s_and_b32 s16, s16, exec_lo
	s_or_saveexec_b32 s22, s22
	v_mov_b32_e32 v26, 0x7f800001
	s_xor_b32 exec_lo, exec_lo, s22
	s_cbranch_execnz .LBB6_17079
.LBB6_16844:                            ;   in Loop: Header=BB6_15804 Depth=3
	s_or_b32 exec_lo, exec_lo, s22
	s_and_saveexec_b32 s22, s16
	s_cbranch_execz .LBB6_16846
.LBB6_16845:                            ;   in Loop: Header=BB6_15804 Depth=3
	v_and_b32_e32 v26, 3, v15
	v_lshrrev_b16 v50, 2, v15
	v_ffbh_u32_e32 v30, v26
	v_and_b32_e32 v50, 31, v50
	v_min_u32_e32 v30, 32, v30
	v_cmp_eq_u32_e32 vcc_lo, 0, v50
	v_subrev_nc_u32_e32 v54, 29, v30
	v_sub_nc_u32_e32 v30, 30, v30
	v_lshlrev_b32_e32 v54, v54, v15
	v_lshlrev_b32_e32 v15, 24, v15
	v_cndmask_b32_e32 v30, v50, v30, vcc_lo
	v_and_b32_e32 v54, 3, v54
	v_and_b32_e32 v15, 0x80000000, v15
	v_lshl_add_u32 v30, v30, 23, 0x37800000
	v_cndmask_b32_e32 v26, v26, v54, vcc_lo
	v_lshlrev_b32_e32 v26, 21, v26
	v_or3_b32 v26, v15, v30, v26
.LBB6_16846:                            ;   in Loop: Header=BB6_15804 Depth=3
	s_or_b32 exec_lo, exec_lo, s22
	s_waitcnt vmcnt(2) lgkmcnt(2)
	v_cmp_gt_i16_sdwa s22, v23, v116 src0_sel:BYTE_0 src1_sel:DWORD
	s_mov_b32 s16, 0
	s_and_saveexec_b32 s23, s22
	s_xor_b32 s22, exec_lo, s23
	s_cbranch_execz .LBB6_17080
; %bb.16847:                            ;   in Loop: Header=BB6_15804 Depth=3
	v_cmp_eq_u16_sdwa s72, v23, v117 src0_sel:BYTE_0 src1_sel:DWORD
	s_mov_b32 s16, -1
	s_and_saveexec_b32 s23, s72
; %bb.16848:                            ;   in Loop: Header=BB6_15804 Depth=3
	s_xor_b32 s16, exec_lo, -1
; %bb.16849:                            ;   in Loop: Header=BB6_15804 Depth=3
	s_or_b32 exec_lo, exec_lo, s23
	s_and_b32 s16, s16, exec_lo
	s_or_saveexec_b32 s22, s22
	v_mov_b32_e32 v15, 0x7f800001
	s_xor_b32 exec_lo, exec_lo, s22
	s_cbranch_execnz .LBB6_17081
.LBB6_16850:                            ;   in Loop: Header=BB6_15804 Depth=3
	s_or_b32 exec_lo, exec_lo, s22
	s_and_saveexec_b32 s22, s16
	s_cbranch_execz .LBB6_16852
.LBB6_16851:                            ;   in Loop: Header=BB6_15804 Depth=3
	v_and_b32_e32 v15, 3, v23
	v_lshrrev_b16 v50, 2, v23
	v_ffbh_u32_e32 v30, v15
	v_and_b32_e32 v50, 31, v50
	v_min_u32_e32 v30, 32, v30
	v_cmp_eq_u32_e32 vcc_lo, 0, v50
	v_subrev_nc_u32_e32 v54, 29, v30
	v_sub_nc_u32_e32 v30, 30, v30
	v_lshlrev_b32_e32 v54, v54, v23
	v_lshlrev_b32_e32 v23, 24, v23
	v_cndmask_b32_e32 v30, v50, v30, vcc_lo
	v_and_b32_e32 v54, 3, v54
	v_and_b32_e32 v23, 0x80000000, v23
	v_lshl_add_u32 v30, v30, 23, 0x37800000
	v_cndmask_b32_e32 v15, v15, v54, vcc_lo
	v_lshlrev_b32_e32 v15, 21, v15
	v_or3_b32 v15, v23, v30, v15
.LBB6_16852:                            ;   in Loop: Header=BB6_15804 Depth=3
	s_or_b32 exec_lo, exec_lo, s22
	v_add_f32_e32 v23, v26, v15
	v_and_b32_e32 v15, 0x7f800000, v23
	v_cmp_ne_u32_e32 vcc_lo, 0x7f800000, v15
	v_mov_b32_e32 v15, 0x80
	s_and_saveexec_b32 s22, vcc_lo
	s_cbranch_execz .LBB6_16860
; %bb.16853:                            ;   in Loop: Header=BB6_15804 Depth=3
	v_mov_b32_e32 v15, 0
	s_mov_b32 s23, exec_lo
	v_cmpx_ne_u32_e32 0, v23
	s_cbranch_execz .LBB6_16859
; %bb.16854:                            ;   in Loop: Header=BB6_15804 Depth=3
	v_bfe_u32 v15, v23, 23, 8
	v_and_b32_e32 v26, 0x7fffff, v23
	v_sub_nc_u32_e32 v30, 0x70, v15
	v_cmp_gt_u32_e32 vcc_lo, 0x71, v15
	v_or_b32_e32 v50, 0x800000, v26
	v_cndmask_b32_e32 v30, 0, v30, vcc_lo
	v_cmp_eq_u32_e32 vcc_lo, 0, v15
	v_add_nc_u32_e32 v15, 0xffffff91, v15
	v_cndmask_b32_e64 v30, v30, 0x6f, vcc_lo
	v_cndmask_b32_e32 v26, v50, v26, vcc_lo
	v_cndmask_b32_e64 v15, v15, 0xffffff92, vcc_lo
	v_lshl_add_u32 v50, 0x200000, v30, -1
	v_lshrrev_b32_e32 v54, v30, v26
	v_lshlrev_b32_e64 v83, v30, 0x100000
	v_add_nc_u32_e32 v30, v30, v15
	v_and_b32_e32 v26, v50, v26
	v_bfe_u32 v70, v54, 21, 1
	v_cmp_eq_u32_e64 s16, v26, v83
	v_add_nc_u32_e32 v50, -1, v70
	v_cndmask_b32_e64 v26, 0, v50, s16
	v_lshrrev_b32_e32 v50, 23, v54
	s_mov_b32 s16, exec_lo
	v_add_nc_u32_e32 v26, v26, v54
	v_xor_b32_e32 v50, 1, v50
	v_and_b32_e32 v15, 0x1fffff, v26
	v_add_nc_u32_e32 v26, v15, v54
                                        ; implicit-def: $vgpr15
	v_cmpx_ne_u32_e64 v30, v50
	s_xor_b32 s16, exec_lo, s16
; %bb.16855:                            ;   in Loop: Header=BB6_15804 Depth=3
	v_cmp_lt_u32_e32 vcc_lo, 0xffffff, v26
	v_sub_nc_u32_e32 v15, v30, v50
	v_cndmask_b32_e64 v30, 0, 1, vcc_lo
	v_add_co_ci_u32_e64 v15, null, 0, v15, vcc_lo
	v_lshrrev_b32_e32 v26, v30, v26
; %bb.16856:                            ;   in Loop: Header=BB6_15804 Depth=3
	s_andn2_saveexec_b32 s16, s16
; %bb.16857:                            ;   in Loop: Header=BB6_15804 Depth=3
	v_bfe_u32 v15, v26, 23, 1
; %bb.16858:                            ;   in Loop: Header=BB6_15804 Depth=3
	s_or_b32 exec_lo, exec_lo, s16
	v_lshrrev_b32_e32 v26, 21, v26
	v_cmp_gt_i32_e32 vcc_lo, 32, v15
	v_min_i32_e32 v30, 31, v15
	v_and_b32_sdwa v23, v23, v117 dst_sel:DWORD dst_unused:UNUSED_PAD src0_sel:BYTE_3 src1_sel:DWORD
	v_cndmask_b32_e32 v26, 3, v26, vcc_lo
	v_lshlrev_b32_e32 v30, 2, v30
	v_and_b32_e32 v50, 3, v26
	v_or_b32_e32 v15, v15, v26
	v_or3_b32 v23, v30, v23, v50
	v_cmp_ne_u32_e32 vcc_lo, 0, v15
	v_cndmask_b32_e32 v15, 0, v23, vcc_lo
.LBB6_16859:                            ;   in Loop: Header=BB6_15804 Depth=3
	s_or_b32 exec_lo, exec_lo, s23
.LBB6_16860:                            ;   in Loop: Header=BB6_15804 Depth=3
	s_or_b32 exec_lo, exec_lo, s22
	v_cmp_gt_i16_sdwa s22, v14, v116 src0_sel:BYTE_0 src1_sel:DWORD
	s_mov_b32 s16, 0
	s_and_saveexec_b32 s23, s22
	s_xor_b32 s22, exec_lo, s23
	s_cbranch_execz .LBB6_17082
; %bb.16861:                            ;   in Loop: Header=BB6_15804 Depth=3
	v_cmp_eq_u16_sdwa s72, v14, v117 src0_sel:BYTE_0 src1_sel:DWORD
	s_mov_b32 s16, -1
	s_and_saveexec_b32 s23, s72
; %bb.16862:                            ;   in Loop: Header=BB6_15804 Depth=3
	s_xor_b32 s16, exec_lo, -1
; %bb.16863:                            ;   in Loop: Header=BB6_15804 Depth=3
	s_or_b32 exec_lo, exec_lo, s23
	s_and_b32 s16, s16, exec_lo
	s_or_saveexec_b32 s22, s22
	v_mov_b32_e32 v23, 0x7f800001
	s_xor_b32 exec_lo, exec_lo, s22
	s_cbranch_execnz .LBB6_17083
.LBB6_16864:                            ;   in Loop: Header=BB6_15804 Depth=3
	s_or_b32 exec_lo, exec_lo, s22
	s_and_saveexec_b32 s22, s16
	s_cbranch_execz .LBB6_16866
.LBB6_16865:                            ;   in Loop: Header=BB6_15804 Depth=3
	v_and_b32_e32 v23, 3, v14
	v_lshrrev_b16 v30, 2, v14
	v_ffbh_u32_e32 v26, v23
	v_and_b32_e32 v30, 31, v30
	v_min_u32_e32 v26, 32, v26
	v_cmp_eq_u32_e32 vcc_lo, 0, v30
	v_subrev_nc_u32_e32 v50, 29, v26
	v_sub_nc_u32_e32 v26, 30, v26
	v_lshlrev_b32_e32 v50, v50, v14
	v_lshlrev_b32_e32 v14, 24, v14
	v_cndmask_b32_e32 v26, v30, v26, vcc_lo
	v_and_b32_e32 v50, 3, v50
	v_and_b32_e32 v14, 0x80000000, v14
	v_lshl_add_u32 v26, v26, 23, 0x37800000
	v_cndmask_b32_e32 v23, v23, v50, vcc_lo
	v_lshlrev_b32_e32 v23, 21, v23
	v_or3_b32 v23, v14, v26, v23
.LBB6_16866:                            ;   in Loop: Header=BB6_15804 Depth=3
	s_or_b32 exec_lo, exec_lo, s22
	s_waitcnt vmcnt(1) lgkmcnt(1)
	v_cmp_gt_i16_sdwa s22, v19, v116 src0_sel:BYTE_0 src1_sel:DWORD
	s_mov_b32 s16, 0
	s_and_saveexec_b32 s23, s22
	s_xor_b32 s22, exec_lo, s23
	s_cbranch_execz .LBB6_17084
; %bb.16867:                            ;   in Loop: Header=BB6_15804 Depth=3
	v_cmp_eq_u16_sdwa s72, v19, v117 src0_sel:BYTE_0 src1_sel:DWORD
	s_mov_b32 s16, -1
	s_and_saveexec_b32 s23, s72
; %bb.16868:                            ;   in Loop: Header=BB6_15804 Depth=3
	s_xor_b32 s16, exec_lo, -1
; %bb.16869:                            ;   in Loop: Header=BB6_15804 Depth=3
	s_or_b32 exec_lo, exec_lo, s23
	s_and_b32 s16, s16, exec_lo
	s_or_saveexec_b32 s22, s22
	v_mov_b32_e32 v14, 0x7f800001
	s_xor_b32 exec_lo, exec_lo, s22
	s_cbranch_execnz .LBB6_17085
.LBB6_16870:                            ;   in Loop: Header=BB6_15804 Depth=3
	s_or_b32 exec_lo, exec_lo, s22
	s_and_saveexec_b32 s22, s16
	s_cbranch_execz .LBB6_16872
.LBB6_16871:                            ;   in Loop: Header=BB6_15804 Depth=3
	v_and_b32_e32 v14, 3, v19
	v_lshrrev_b16 v30, 2, v19
	v_ffbh_u32_e32 v26, v14
	v_and_b32_e32 v30, 31, v30
	v_min_u32_e32 v26, 32, v26
	v_cmp_eq_u32_e32 vcc_lo, 0, v30
	v_subrev_nc_u32_e32 v50, 29, v26
	v_sub_nc_u32_e32 v26, 30, v26
	v_lshlrev_b32_e32 v50, v50, v19
	v_lshlrev_b32_e32 v19, 24, v19
	v_cndmask_b32_e32 v26, v30, v26, vcc_lo
	v_and_b32_e32 v50, 3, v50
	v_and_b32_e32 v19, 0x80000000, v19
	v_lshl_add_u32 v26, v26, 23, 0x37800000
	v_cndmask_b32_e32 v14, v14, v50, vcc_lo
	v_lshlrev_b32_e32 v14, 21, v14
	v_or3_b32 v14, v19, v26, v14
.LBB6_16872:                            ;   in Loop: Header=BB6_15804 Depth=3
	s_or_b32 exec_lo, exec_lo, s22
	v_add_f32_e32 v19, v23, v14
	v_and_b32_e32 v14, 0x7f800000, v19
	v_cmp_ne_u32_e32 vcc_lo, 0x7f800000, v14
	v_mov_b32_e32 v14, 0x80
	s_and_saveexec_b32 s22, vcc_lo
	s_cbranch_execz .LBB6_16880
; %bb.16873:                            ;   in Loop: Header=BB6_15804 Depth=3
	v_mov_b32_e32 v14, 0
	s_mov_b32 s23, exec_lo
	v_cmpx_ne_u32_e32 0, v19
	s_cbranch_execz .LBB6_16879
; %bb.16874:                            ;   in Loop: Header=BB6_15804 Depth=3
	v_bfe_u32 v14, v19, 23, 8
	v_and_b32_e32 v23, 0x7fffff, v19
	v_sub_nc_u32_e32 v26, 0x70, v14
	v_cmp_gt_u32_e32 vcc_lo, 0x71, v14
	v_or_b32_e32 v30, 0x800000, v23
	v_cndmask_b32_e32 v26, 0, v26, vcc_lo
	v_cmp_eq_u32_e32 vcc_lo, 0, v14
	v_add_nc_u32_e32 v14, 0xffffff91, v14
	v_cndmask_b32_e64 v26, v26, 0x6f, vcc_lo
	v_cndmask_b32_e32 v23, v30, v23, vcc_lo
	v_cndmask_b32_e64 v14, v14, 0xffffff92, vcc_lo
	v_lshl_add_u32 v30, 0x200000, v26, -1
	v_lshrrev_b32_e32 v50, v26, v23
	v_lshlrev_b32_e64 v70, v26, 0x100000
	v_add_nc_u32_e32 v26, v26, v14
	v_and_b32_e32 v23, v30, v23
	v_bfe_u32 v54, v50, 21, 1
	v_cmp_eq_u32_e64 s16, v23, v70
	v_add_nc_u32_e32 v30, -1, v54
	v_cndmask_b32_e64 v23, 0, v30, s16
	v_lshrrev_b32_e32 v30, 23, v50
	s_mov_b32 s16, exec_lo
	v_add_nc_u32_e32 v23, v23, v50
	v_xor_b32_e32 v30, 1, v30
	v_and_b32_e32 v14, 0x1fffff, v23
	v_add_nc_u32_e32 v23, v14, v50
                                        ; implicit-def: $vgpr14
	v_cmpx_ne_u32_e64 v26, v30
	s_xor_b32 s16, exec_lo, s16
; %bb.16875:                            ;   in Loop: Header=BB6_15804 Depth=3
	v_cmp_lt_u32_e32 vcc_lo, 0xffffff, v23
	v_sub_nc_u32_e32 v14, v26, v30
	v_cndmask_b32_e64 v26, 0, 1, vcc_lo
	v_add_co_ci_u32_e64 v14, null, 0, v14, vcc_lo
	v_lshrrev_b32_e32 v23, v26, v23
; %bb.16876:                            ;   in Loop: Header=BB6_15804 Depth=3
	s_andn2_saveexec_b32 s16, s16
; %bb.16877:                            ;   in Loop: Header=BB6_15804 Depth=3
	v_bfe_u32 v14, v23, 23, 1
; %bb.16878:                            ;   in Loop: Header=BB6_15804 Depth=3
	s_or_b32 exec_lo, exec_lo, s16
	v_lshrrev_b32_e32 v23, 21, v23
	v_cmp_gt_i32_e32 vcc_lo, 32, v14
	v_min_i32_e32 v26, 31, v14
	v_and_b32_sdwa v19, v19, v117 dst_sel:DWORD dst_unused:UNUSED_PAD src0_sel:BYTE_3 src1_sel:DWORD
	v_cndmask_b32_e32 v23, 3, v23, vcc_lo
	v_lshlrev_b32_e32 v26, 2, v26
	v_and_b32_e32 v30, 3, v23
	v_or_b32_e32 v14, v14, v23
	v_or3_b32 v19, v26, v19, v30
	v_cmp_ne_u32_e32 vcc_lo, 0, v14
	v_cndmask_b32_e32 v14, 0, v19, vcc_lo
.LBB6_16879:                            ;   in Loop: Header=BB6_15804 Depth=3
	s_or_b32 exec_lo, exec_lo, s23
.LBB6_16880:                            ;   in Loop: Header=BB6_15804 Depth=3
	s_or_b32 exec_lo, exec_lo, s22
	v_cmp_gt_i16_sdwa s22, v7, v116 src0_sel:BYTE_0 src1_sel:DWORD
	s_mov_b32 s16, 0
	s_and_saveexec_b32 s23, s22
	s_xor_b32 s22, exec_lo, s23
	s_cbranch_execz .LBB6_17086
; %bb.16881:                            ;   in Loop: Header=BB6_15804 Depth=3
	v_cmp_eq_u16_sdwa s72, v7, v117 src0_sel:BYTE_0 src1_sel:DWORD
	s_mov_b32 s16, -1
	s_and_saveexec_b32 s23, s72
; %bb.16882:                            ;   in Loop: Header=BB6_15804 Depth=3
	s_xor_b32 s16, exec_lo, -1
; %bb.16883:                            ;   in Loop: Header=BB6_15804 Depth=3
	s_or_b32 exec_lo, exec_lo, s23
	s_and_b32 s16, s16, exec_lo
	s_or_saveexec_b32 s22, s22
	v_mov_b32_e32 v19, 0x7f800001
	s_xor_b32 exec_lo, exec_lo, s22
	s_cbranch_execnz .LBB6_17087
.LBB6_16884:                            ;   in Loop: Header=BB6_15804 Depth=3
	s_or_b32 exec_lo, exec_lo, s22
	s_and_saveexec_b32 s22, s16
	s_cbranch_execz .LBB6_16886
.LBB6_16885:                            ;   in Loop: Header=BB6_15804 Depth=3
	v_and_b32_e32 v19, 3, v7
	v_lshrrev_b16 v26, 2, v7
	v_ffbh_u32_e32 v23, v19
	v_and_b32_e32 v26, 31, v26
	v_min_u32_e32 v23, 32, v23
	v_cmp_eq_u32_e32 vcc_lo, 0, v26
	v_subrev_nc_u32_e32 v30, 29, v23
	v_sub_nc_u32_e32 v23, 30, v23
	v_lshlrev_b32_e32 v30, v30, v7
	v_lshlrev_b32_e32 v7, 24, v7
	v_cndmask_b32_e32 v23, v26, v23, vcc_lo
	v_and_b32_e32 v30, 3, v30
	v_and_b32_e32 v7, 0x80000000, v7
	v_lshl_add_u32 v23, v23, 23, 0x37800000
	v_cndmask_b32_e32 v19, v19, v30, vcc_lo
	v_lshlrev_b32_e32 v19, 21, v19
	v_or3_b32 v19, v7, v23, v19
.LBB6_16886:                            ;   in Loop: Header=BB6_15804 Depth=3
	s_or_b32 exec_lo, exec_lo, s22
	s_waitcnt vmcnt(0) lgkmcnt(0)
	v_cmp_gt_i16_sdwa s22, v6, v116 src0_sel:BYTE_0 src1_sel:DWORD
	s_mov_b32 s16, 0
	s_and_saveexec_b32 s23, s22
	s_xor_b32 s22, exec_lo, s23
	s_cbranch_execz .LBB6_17088
; %bb.16887:                            ;   in Loop: Header=BB6_15804 Depth=3
	v_cmp_eq_u16_sdwa s72, v6, v117 src0_sel:BYTE_0 src1_sel:DWORD
	s_mov_b32 s16, -1
	s_and_saveexec_b32 s23, s72
; %bb.16888:                            ;   in Loop: Header=BB6_15804 Depth=3
	s_xor_b32 s16, exec_lo, -1
; %bb.16889:                            ;   in Loop: Header=BB6_15804 Depth=3
	s_or_b32 exec_lo, exec_lo, s23
	s_and_b32 s16, s16, exec_lo
	s_or_saveexec_b32 s22, s22
	v_mov_b32_e32 v7, 0x7f800001
	s_xor_b32 exec_lo, exec_lo, s22
	s_cbranch_execnz .LBB6_17089
.LBB6_16890:                            ;   in Loop: Header=BB6_15804 Depth=3
	s_or_b32 exec_lo, exec_lo, s22
	s_and_saveexec_b32 s22, s16
	s_cbranch_execz .LBB6_16892
.LBB6_16891:                            ;   in Loop: Header=BB6_15804 Depth=3
	v_and_b32_e32 v7, 3, v6
	v_lshrrev_b16 v26, 2, v6
	v_ffbh_u32_e32 v23, v7
	v_and_b32_e32 v26, 31, v26
	v_min_u32_e32 v23, 32, v23
	v_cmp_eq_u32_e32 vcc_lo, 0, v26
	v_subrev_nc_u32_e32 v30, 29, v23
	v_sub_nc_u32_e32 v23, 30, v23
	v_lshlrev_b32_e32 v30, v30, v6
	v_lshlrev_b32_e32 v6, 24, v6
	v_cndmask_b32_e32 v23, v26, v23, vcc_lo
	v_and_b32_e32 v30, 3, v30
	v_and_b32_e32 v6, 0x80000000, v6
	v_lshl_add_u32 v23, v23, 23, 0x37800000
	v_cndmask_b32_e32 v7, v7, v30, vcc_lo
	v_lshlrev_b32_e32 v7, 21, v7
	v_or3_b32 v7, v6, v23, v7
.LBB6_16892:                            ;   in Loop: Header=BB6_15804 Depth=3
	s_or_b32 exec_lo, exec_lo, s22
	v_add_f32_e32 v7, v19, v7
	v_and_b32_e32 v6, 0x7f800000, v7
	v_cmp_ne_u32_e32 vcc_lo, 0x7f800000, v6
	v_mov_b32_e32 v6, 0x80
	s_and_saveexec_b32 s22, vcc_lo
	s_cbranch_execz .LBB6_15803
; %bb.16893:                            ;   in Loop: Header=BB6_15804 Depth=3
	v_mov_b32_e32 v6, 0
	s_mov_b32 s23, exec_lo
	v_cmpx_ne_u32_e32 0, v7
	s_cbranch_execz .LBB6_15802
; %bb.16894:                            ;   in Loop: Header=BB6_15804 Depth=3
	v_bfe_u32 v6, v7, 23, 8
	v_and_b32_e32 v19, 0x7fffff, v7
	v_sub_nc_u32_e32 v23, 0x70, v6
	v_cmp_gt_u32_e32 vcc_lo, 0x71, v6
	v_or_b32_e32 v26, 0x800000, v19
	v_cndmask_b32_e32 v23, 0, v23, vcc_lo
	v_cmp_eq_u32_e32 vcc_lo, 0, v6
	v_add_nc_u32_e32 v6, 0xffffff91, v6
	v_cndmask_b32_e64 v23, v23, 0x6f, vcc_lo
	v_cndmask_b32_e32 v19, v26, v19, vcc_lo
	v_cndmask_b32_e64 v6, v6, 0xffffff92, vcc_lo
	v_lshl_add_u32 v26, 0x200000, v23, -1
	v_lshrrev_b32_e32 v30, v23, v19
	v_lshlrev_b32_e64 v54, v23, 0x100000
	v_add_nc_u32_e32 v23, v23, v6
	v_and_b32_e32 v19, v26, v19
	v_bfe_u32 v50, v30, 21, 1
	v_cmp_eq_u32_e64 s16, v19, v54
	v_add_nc_u32_e32 v26, -1, v50
	v_cndmask_b32_e64 v19, 0, v26, s16
	v_lshrrev_b32_e32 v26, 23, v30
	s_mov_b32 s16, exec_lo
	v_add_nc_u32_e32 v19, v19, v30
	v_xor_b32_e32 v26, 1, v26
	v_and_b32_e32 v6, 0x1fffff, v19
	v_add_nc_u32_e32 v19, v6, v30
                                        ; implicit-def: $vgpr6
	v_cmpx_ne_u32_e64 v23, v26
	s_xor_b32 s16, exec_lo, s16
; %bb.16895:                            ;   in Loop: Header=BB6_15804 Depth=3
	v_cmp_lt_u32_e32 vcc_lo, 0xffffff, v19
	v_sub_nc_u32_e32 v6, v23, v26
	v_cndmask_b32_e64 v23, 0, 1, vcc_lo
	v_add_co_ci_u32_e64 v6, null, 0, v6, vcc_lo
	v_lshrrev_b32_e32 v19, v23, v19
; %bb.16896:                            ;   in Loop: Header=BB6_15804 Depth=3
	s_andn2_saveexec_b32 s16, s16
	s_cbranch_execz .LBB6_15801
; %bb.16897:                            ;   in Loop: Header=BB6_15804 Depth=3
	v_bfe_u32 v6, v19, 23, 1
	s_branch .LBB6_15801
.LBB6_16898:                            ;   in Loop: Header=BB6_15804 Depth=3
	s_or_saveexec_b32 s22, s22
	v_mov_b32_e32 v14, 0x7f800001
	s_xor_b32 exec_lo, exec_lo, s22
	s_cbranch_execz .LBB6_15816
.LBB6_16899:                            ;   in Loop: Header=BB6_15804 Depth=3
	v_cmp_ne_u16_e32 vcc_lo, 0, v7
	v_mov_b32_e32 v14, 0
	s_andn2_b32 s16, s16, exec_lo
	s_and_b32 s23, vcc_lo, exec_lo
	s_or_b32 s16, s16, s23
	s_or_b32 exec_lo, exec_lo, s22
	s_and_saveexec_b32 s22, s16
	s_cbranch_execnz .LBB6_15817
	s_branch .LBB6_15818
.LBB6_16900:                            ;   in Loop: Header=BB6_15804 Depth=3
	s_or_saveexec_b32 s22, s22
	v_mov_b32_e32 v14, 0x7f800001
	s_xor_b32 exec_lo, exec_lo, s22
	s_cbranch_execz .LBB6_15830
.LBB6_16901:                            ;   in Loop: Header=BB6_15804 Depth=3
	v_cmp_ne_u16_e32 vcc_lo, 0, v7
	v_mov_b32_e32 v14, 0
	s_andn2_b32 s16, s16, exec_lo
	s_and_b32 s23, vcc_lo, exec_lo
	s_or_b32 s16, s16, s23
	s_or_b32 exec_lo, exec_lo, s22
	s_and_saveexec_b32 s22, s16
	s_cbranch_execnz .LBB6_15831
	s_branch .LBB6_15832
.LBB6_16902:                            ;   in Loop: Header=BB6_15804 Depth=3
	s_or_saveexec_b32 s22, s22
	v_mov_b32_e32 v14, 0x7f800001
	s_xor_b32 exec_lo, exec_lo, s22
	s_cbranch_execz .LBB6_15844
.LBB6_16903:                            ;   in Loop: Header=BB6_15804 Depth=3
	v_cmp_ne_u16_e32 vcc_lo, 0, v7
	v_mov_b32_e32 v14, 0
	s_andn2_b32 s16, s16, exec_lo
	s_and_b32 s23, vcc_lo, exec_lo
	s_or_b32 s16, s16, s23
	s_or_b32 exec_lo, exec_lo, s22
	s_and_saveexec_b32 s22, s16
	s_cbranch_execnz .LBB6_15845
	s_branch .LBB6_15846
.LBB6_16904:                            ;   in Loop: Header=BB6_15804 Depth=3
	s_or_saveexec_b32 s22, s22
	v_mov_b32_e32 v14, 0x7f800001
	s_xor_b32 exec_lo, exec_lo, s22
	s_cbranch_execz .LBB6_15858
.LBB6_16905:                            ;   in Loop: Header=BB6_15804 Depth=3
	v_cmp_ne_u16_e32 vcc_lo, 0, v7
	v_mov_b32_e32 v14, 0
	s_andn2_b32 s16, s16, exec_lo
	s_and_b32 s23, vcc_lo, exec_lo
	s_or_b32 s16, s16, s23
	s_or_b32 exec_lo, exec_lo, s22
	s_and_saveexec_b32 s22, s16
	s_cbranch_execnz .LBB6_15859
	s_branch .LBB6_15860
.LBB6_16906:                            ;   in Loop: Header=BB6_15804 Depth=3
	s_or_saveexec_b32 s22, s22
	v_mov_b32_e32 v14, 0x7f800001
	s_xor_b32 exec_lo, exec_lo, s22
	s_cbranch_execz .LBB6_15872
.LBB6_16907:                            ;   in Loop: Header=BB6_15804 Depth=3
	v_cmp_ne_u16_e32 vcc_lo, 0, v7
	v_mov_b32_e32 v14, 0
	s_andn2_b32 s16, s16, exec_lo
	s_and_b32 s23, vcc_lo, exec_lo
	s_or_b32 s16, s16, s23
	s_or_b32 exec_lo, exec_lo, s22
	s_and_saveexec_b32 s22, s16
	s_cbranch_execnz .LBB6_15873
	s_branch .LBB6_15874
.LBB6_16908:                            ;   in Loop: Header=BB6_15804 Depth=3
	s_or_saveexec_b32 s22, s22
	v_mov_b32_e32 v14, 0x7f800001
	s_xor_b32 exec_lo, exec_lo, s22
	s_cbranch_execz .LBB6_15886
.LBB6_16909:                            ;   in Loop: Header=BB6_15804 Depth=3
	v_cmp_ne_u16_e32 vcc_lo, 0, v7
	v_mov_b32_e32 v14, 0
	s_andn2_b32 s16, s16, exec_lo
	s_and_b32 s23, vcc_lo, exec_lo
	s_or_b32 s16, s16, s23
	s_or_b32 exec_lo, exec_lo, s22
	s_and_saveexec_b32 s22, s16
	s_cbranch_execnz .LBB6_15887
	s_branch .LBB6_15888
.LBB6_16910:                            ;   in Loop: Header=BB6_15804 Depth=3
	s_or_saveexec_b32 s22, s22
	v_mov_b32_e32 v14, 0x7f800001
	s_xor_b32 exec_lo, exec_lo, s22
	s_cbranch_execz .LBB6_15900
.LBB6_16911:                            ;   in Loop: Header=BB6_15804 Depth=3
	v_cmp_ne_u16_e32 vcc_lo, 0, v7
	v_mov_b32_e32 v14, 0
	s_andn2_b32 s16, s16, exec_lo
	s_and_b32 s23, vcc_lo, exec_lo
	s_or_b32 s16, s16, s23
	s_or_b32 exec_lo, exec_lo, s22
	s_and_saveexec_b32 s22, s16
	s_cbranch_execnz .LBB6_15901
	s_branch .LBB6_15902
.LBB6_16912:                            ;   in Loop: Header=BB6_15804 Depth=3
	s_or_saveexec_b32 s22, s22
	v_mov_b32_e32 v14, 0x7f800001
	s_xor_b32 exec_lo, exec_lo, s22
	s_cbranch_execz .LBB6_15914
.LBB6_16913:                            ;   in Loop: Header=BB6_15804 Depth=3
	v_cmp_ne_u16_e32 vcc_lo, 0, v7
	v_mov_b32_e32 v14, 0
	s_andn2_b32 s16, s16, exec_lo
	s_and_b32 s23, vcc_lo, exec_lo
	s_or_b32 s16, s16, s23
	s_or_b32 exec_lo, exec_lo, s22
	s_and_saveexec_b32 s22, s16
	s_cbranch_execnz .LBB6_15915
	s_branch .LBB6_15916
.LBB6_16914:                            ;   in Loop: Header=BB6_15804 Depth=3
	s_or_saveexec_b32 s22, s22
	v_mov_b32_e32 v14, 0x7f800001
	s_xor_b32 exec_lo, exec_lo, s22
	s_cbranch_execz .LBB6_15928
.LBB6_16915:                            ;   in Loop: Header=BB6_15804 Depth=3
	v_cmp_ne_u16_e32 vcc_lo, 0, v7
	v_mov_b32_e32 v14, 0
	s_andn2_b32 s16, s16, exec_lo
	s_and_b32 s23, vcc_lo, exec_lo
	s_or_b32 s16, s16, s23
	s_or_b32 exec_lo, exec_lo, s22
	s_and_saveexec_b32 s22, s16
	s_cbranch_execnz .LBB6_15929
	s_branch .LBB6_15930
.LBB6_16916:                            ;   in Loop: Header=BB6_15804 Depth=3
	s_or_saveexec_b32 s22, s22
	v_mov_b32_e32 v14, 0x7f800001
	s_xor_b32 exec_lo, exec_lo, s22
	s_cbranch_execz .LBB6_15942
.LBB6_16917:                            ;   in Loop: Header=BB6_15804 Depth=3
	v_cmp_ne_u16_e32 vcc_lo, 0, v7
	v_mov_b32_e32 v14, 0
	s_andn2_b32 s16, s16, exec_lo
	s_and_b32 s23, vcc_lo, exec_lo
	s_or_b32 s16, s16, s23
	s_or_b32 exec_lo, exec_lo, s22
	s_and_saveexec_b32 s22, s16
	s_cbranch_execnz .LBB6_15943
	s_branch .LBB6_15944
.LBB6_16918:                            ;   in Loop: Header=BB6_15804 Depth=3
	s_or_saveexec_b32 s22, s22
	v_mov_b32_e32 v14, 0x7f800001
	s_xor_b32 exec_lo, exec_lo, s22
	s_cbranch_execz .LBB6_15956
.LBB6_16919:                            ;   in Loop: Header=BB6_15804 Depth=3
	v_cmp_ne_u16_e32 vcc_lo, 0, v7
	v_mov_b32_e32 v14, 0
	s_andn2_b32 s16, s16, exec_lo
	s_and_b32 s23, vcc_lo, exec_lo
	s_or_b32 s16, s16, s23
	s_or_b32 exec_lo, exec_lo, s22
	s_and_saveexec_b32 s22, s16
	s_cbranch_execnz .LBB6_15957
	s_branch .LBB6_15958
.LBB6_16920:                            ;   in Loop: Header=BB6_15804 Depth=3
	s_or_saveexec_b32 s22, s22
	v_mov_b32_e32 v14, 0x7f800001
	s_xor_b32 exec_lo, exec_lo, s22
	s_cbranch_execz .LBB6_15970
.LBB6_16921:                            ;   in Loop: Header=BB6_15804 Depth=3
	v_cmp_ne_u16_e32 vcc_lo, 0, v7
	v_mov_b32_e32 v14, 0
	s_andn2_b32 s16, s16, exec_lo
	s_and_b32 s23, vcc_lo, exec_lo
	s_or_b32 s16, s16, s23
	s_or_b32 exec_lo, exec_lo, s22
	s_and_saveexec_b32 s22, s16
	s_cbranch_execnz .LBB6_15971
	s_branch .LBB6_15972
.LBB6_16922:                            ;   in Loop: Header=BB6_15804 Depth=3
	s_or_saveexec_b32 s22, s22
	v_mov_b32_e32 v14, 0x7f800001
	s_xor_b32 exec_lo, exec_lo, s22
	s_cbranch_execz .LBB6_15984
.LBB6_16923:                            ;   in Loop: Header=BB6_15804 Depth=3
	v_cmp_ne_u16_e32 vcc_lo, 0, v7
	v_mov_b32_e32 v14, 0
	s_andn2_b32 s16, s16, exec_lo
	s_and_b32 s23, vcc_lo, exec_lo
	s_or_b32 s16, s16, s23
	s_or_b32 exec_lo, exec_lo, s22
	s_and_saveexec_b32 s22, s16
	s_cbranch_execnz .LBB6_15985
	s_branch .LBB6_15986
.LBB6_16924:                            ;   in Loop: Header=BB6_15804 Depth=3
	s_or_saveexec_b32 s22, s22
	v_mov_b32_e32 v14, 0x7f800001
	s_xor_b32 exec_lo, exec_lo, s22
	s_cbranch_execz .LBB6_15998
.LBB6_16925:                            ;   in Loop: Header=BB6_15804 Depth=3
	v_cmp_ne_u16_e32 vcc_lo, 0, v7
	v_mov_b32_e32 v14, 0
	s_andn2_b32 s16, s16, exec_lo
	s_and_b32 s23, vcc_lo, exec_lo
	s_or_b32 s16, s16, s23
	s_or_b32 exec_lo, exec_lo, s22
	s_and_saveexec_b32 s22, s16
	s_cbranch_execnz .LBB6_15999
	s_branch .LBB6_16000
.LBB6_16926:                            ;   in Loop: Header=BB6_15804 Depth=3
	s_or_saveexec_b32 s22, s22
	v_mov_b32_e32 v14, 0x7f800001
	s_xor_b32 exec_lo, exec_lo, s22
	s_cbranch_execz .LBB6_16012
.LBB6_16927:                            ;   in Loop: Header=BB6_15804 Depth=3
	v_cmp_ne_u16_e32 vcc_lo, 0, v7
	v_mov_b32_e32 v14, 0
	s_andn2_b32 s16, s16, exec_lo
	s_and_b32 s23, vcc_lo, exec_lo
	s_or_b32 s16, s16, s23
	s_or_b32 exec_lo, exec_lo, s22
	s_and_saveexec_b32 s22, s16
	s_cbranch_execnz .LBB6_16013
	s_branch .LBB6_16014
.LBB6_16928:                            ;   in Loop: Header=BB6_15804 Depth=3
	s_or_saveexec_b32 s22, s22
	v_mov_b32_e32 v14, 0x7f800001
	s_xor_b32 exec_lo, exec_lo, s22
	s_cbranch_execz .LBB6_16026
.LBB6_16929:                            ;   in Loop: Header=BB6_15804 Depth=3
	v_cmp_ne_u16_e32 vcc_lo, 0, v7
	v_mov_b32_e32 v14, 0
	s_andn2_b32 s16, s16, exec_lo
	s_and_b32 s23, vcc_lo, exec_lo
	s_or_b32 s16, s16, s23
	s_or_b32 exec_lo, exec_lo, s22
	s_and_saveexec_b32 s22, s16
	s_cbranch_execnz .LBB6_16027
	s_branch .LBB6_16028
.LBB6_16930:                            ;   in Loop: Header=BB6_15804 Depth=3
	s_or_saveexec_b32 s22, s22
	v_mov_b32_e32 v14, 0x7f800001
	s_xor_b32 exec_lo, exec_lo, s22
	s_cbranch_execz .LBB6_16040
.LBB6_16931:                            ;   in Loop: Header=BB6_15804 Depth=3
	v_cmp_ne_u16_e32 vcc_lo, 0, v7
	v_mov_b32_e32 v14, 0
	s_andn2_b32 s16, s16, exec_lo
	s_and_b32 s23, vcc_lo, exec_lo
	s_or_b32 s16, s16, s23
	s_or_b32 exec_lo, exec_lo, s22
	s_and_saveexec_b32 s22, s16
	s_cbranch_execnz .LBB6_16041
	s_branch .LBB6_16042
.LBB6_16932:                            ;   in Loop: Header=BB6_15804 Depth=3
	s_or_saveexec_b32 s22, s22
	v_mov_b32_e32 v14, 0x7f800001
	s_xor_b32 exec_lo, exec_lo, s22
	s_cbranch_execz .LBB6_16054
.LBB6_16933:                            ;   in Loop: Header=BB6_15804 Depth=3
	v_cmp_ne_u16_e32 vcc_lo, 0, v7
	v_mov_b32_e32 v14, 0
	s_andn2_b32 s16, s16, exec_lo
	s_and_b32 s23, vcc_lo, exec_lo
	s_or_b32 s16, s16, s23
	s_or_b32 exec_lo, exec_lo, s22
	s_and_saveexec_b32 s22, s16
	s_cbranch_execnz .LBB6_16055
	s_branch .LBB6_16056
.LBB6_16934:                            ;   in Loop: Header=BB6_15804 Depth=3
	s_or_saveexec_b32 s22, s22
	v_mov_b32_e32 v14, 0x7f800001
	s_xor_b32 exec_lo, exec_lo, s22
	s_cbranch_execz .LBB6_16068
.LBB6_16935:                            ;   in Loop: Header=BB6_15804 Depth=3
	v_cmp_ne_u16_e32 vcc_lo, 0, v7
	v_mov_b32_e32 v14, 0
	s_andn2_b32 s16, s16, exec_lo
	s_and_b32 s23, vcc_lo, exec_lo
	s_or_b32 s16, s16, s23
	s_or_b32 exec_lo, exec_lo, s22
	s_and_saveexec_b32 s22, s16
	s_cbranch_execnz .LBB6_16069
	s_branch .LBB6_16070
.LBB6_16936:                            ;   in Loop: Header=BB6_15804 Depth=3
	s_or_saveexec_b32 s22, s22
	v_mov_b32_e32 v14, 0x7f800001
	s_xor_b32 exec_lo, exec_lo, s22
	s_cbranch_execz .LBB6_16082
.LBB6_16937:                            ;   in Loop: Header=BB6_15804 Depth=3
	v_cmp_ne_u16_e32 vcc_lo, 0, v7
	v_mov_b32_e32 v14, 0
	s_andn2_b32 s16, s16, exec_lo
	s_and_b32 s23, vcc_lo, exec_lo
	s_or_b32 s16, s16, s23
	s_or_b32 exec_lo, exec_lo, s22
	s_and_saveexec_b32 s22, s16
	s_cbranch_execnz .LBB6_16083
	s_branch .LBB6_16084
.LBB6_16938:                            ;   in Loop: Header=BB6_15804 Depth=3
	s_or_saveexec_b32 s22, s22
	v_mov_b32_e32 v14, 0x7f800001
	s_xor_b32 exec_lo, exec_lo, s22
	s_cbranch_execz .LBB6_16096
.LBB6_16939:                            ;   in Loop: Header=BB6_15804 Depth=3
	v_cmp_ne_u16_e32 vcc_lo, 0, v7
	v_mov_b32_e32 v14, 0
	s_andn2_b32 s16, s16, exec_lo
	s_and_b32 s23, vcc_lo, exec_lo
	s_or_b32 s16, s16, s23
	s_or_b32 exec_lo, exec_lo, s22
	s_and_saveexec_b32 s22, s16
	s_cbranch_execnz .LBB6_16097
	s_branch .LBB6_16098
.LBB6_16940:                            ;   in Loop: Header=BB6_15804 Depth=3
	s_or_saveexec_b32 s22, s22
	v_mov_b32_e32 v14, 0x7f800001
	s_xor_b32 exec_lo, exec_lo, s22
	s_cbranch_execz .LBB6_16110
.LBB6_16941:                            ;   in Loop: Header=BB6_15804 Depth=3
	v_cmp_ne_u16_e32 vcc_lo, 0, v7
	v_mov_b32_e32 v14, 0
	s_andn2_b32 s16, s16, exec_lo
	s_and_b32 s23, vcc_lo, exec_lo
	s_or_b32 s16, s16, s23
	s_or_b32 exec_lo, exec_lo, s22
	s_and_saveexec_b32 s22, s16
	s_cbranch_execnz .LBB6_16111
	s_branch .LBB6_16112
.LBB6_16942:                            ;   in Loop: Header=BB6_15804 Depth=3
	s_or_saveexec_b32 s22, s22
	v_mov_b32_e32 v14, 0x7f800001
	s_xor_b32 exec_lo, exec_lo, s22
	s_cbranch_execz .LBB6_16124
.LBB6_16943:                            ;   in Loop: Header=BB6_15804 Depth=3
	v_cmp_ne_u16_e32 vcc_lo, 0, v7
	v_mov_b32_e32 v14, 0
	s_andn2_b32 s16, s16, exec_lo
	s_and_b32 s23, vcc_lo, exec_lo
	s_or_b32 s16, s16, s23
	s_or_b32 exec_lo, exec_lo, s22
	s_and_saveexec_b32 s22, s16
	s_cbranch_execnz .LBB6_16125
	s_branch .LBB6_16126
.LBB6_16944:                            ;   in Loop: Header=BB6_15804 Depth=3
	s_or_saveexec_b32 s22, s22
	v_mov_b32_e32 v14, 0x7f800001
	s_xor_b32 exec_lo, exec_lo, s22
	s_cbranch_execz .LBB6_16138
.LBB6_16945:                            ;   in Loop: Header=BB6_15804 Depth=3
	v_cmp_ne_u16_e32 vcc_lo, 0, v7
	v_mov_b32_e32 v14, 0
	s_andn2_b32 s16, s16, exec_lo
	s_and_b32 s23, vcc_lo, exec_lo
	s_or_b32 s16, s16, s23
	s_or_b32 exec_lo, exec_lo, s22
	s_and_saveexec_b32 s22, s16
	s_cbranch_execnz .LBB6_16139
	s_branch .LBB6_16140
.LBB6_16946:                            ;   in Loop: Header=BB6_15804 Depth=3
	s_or_saveexec_b32 s22, s22
	v_mov_b32_e32 v14, 0x7f800001
	s_xor_b32 exec_lo, exec_lo, s22
	s_cbranch_execz .LBB6_16152
.LBB6_16947:                            ;   in Loop: Header=BB6_15804 Depth=3
	v_cmp_ne_u16_e32 vcc_lo, 0, v7
	v_mov_b32_e32 v14, 0
	s_andn2_b32 s16, s16, exec_lo
	s_and_b32 s23, vcc_lo, exec_lo
	s_or_b32 s16, s16, s23
	s_or_b32 exec_lo, exec_lo, s22
	s_and_saveexec_b32 s22, s16
	s_cbranch_execnz .LBB6_16153
	s_branch .LBB6_16154
.LBB6_16948:                            ;   in Loop: Header=BB6_15804 Depth=3
	s_or_saveexec_b32 s22, s22
	v_mov_b32_e32 v14, 0x7f800001
	s_xor_b32 exec_lo, exec_lo, s22
	s_cbranch_execz .LBB6_16166
.LBB6_16949:                            ;   in Loop: Header=BB6_15804 Depth=3
	v_cmp_ne_u16_e32 vcc_lo, 0, v7
	v_mov_b32_e32 v14, 0
	s_andn2_b32 s16, s16, exec_lo
	s_and_b32 s23, vcc_lo, exec_lo
	s_or_b32 s16, s16, s23
	s_or_b32 exec_lo, exec_lo, s22
	s_and_saveexec_b32 s22, s16
	s_cbranch_execnz .LBB6_16167
	s_branch .LBB6_16168
.LBB6_16950:                            ;   in Loop: Header=BB6_15804 Depth=3
	s_or_saveexec_b32 s22, s22
	v_mov_b32_e32 v14, 0x7f800001
	s_xor_b32 exec_lo, exec_lo, s22
	s_cbranch_execz .LBB6_16180
.LBB6_16951:                            ;   in Loop: Header=BB6_15804 Depth=3
	v_cmp_ne_u16_e32 vcc_lo, 0, v7
	v_mov_b32_e32 v14, 0
	s_andn2_b32 s16, s16, exec_lo
	s_and_b32 s23, vcc_lo, exec_lo
	s_or_b32 s16, s16, s23
	s_or_b32 exec_lo, exec_lo, s22
	s_and_saveexec_b32 s22, s16
	s_cbranch_execnz .LBB6_16181
	s_branch .LBB6_16182
.LBB6_16952:                            ;   in Loop: Header=BB6_15804 Depth=3
	s_or_saveexec_b32 s22, s22
	v_mov_b32_e32 v14, 0x7f800001
	s_xor_b32 exec_lo, exec_lo, s22
	s_cbranch_execz .LBB6_16194
.LBB6_16953:                            ;   in Loop: Header=BB6_15804 Depth=3
	v_cmp_ne_u16_e32 vcc_lo, 0, v7
	v_mov_b32_e32 v14, 0
	s_andn2_b32 s16, s16, exec_lo
	s_and_b32 s23, vcc_lo, exec_lo
	s_or_b32 s16, s16, s23
	s_or_b32 exec_lo, exec_lo, s22
	s_and_saveexec_b32 s22, s16
	s_cbranch_execnz .LBB6_16195
	s_branch .LBB6_16196
.LBB6_16954:                            ;   in Loop: Header=BB6_15804 Depth=3
	s_or_saveexec_b32 s22, s22
	v_mov_b32_e32 v14, 0x7f800001
	s_xor_b32 exec_lo, exec_lo, s22
	s_cbranch_execz .LBB6_16208
.LBB6_16955:                            ;   in Loop: Header=BB6_15804 Depth=3
	v_cmp_ne_u16_e32 vcc_lo, 0, v7
	v_mov_b32_e32 v14, 0
	s_andn2_b32 s16, s16, exec_lo
	s_and_b32 s23, vcc_lo, exec_lo
	s_or_b32 s16, s16, s23
	s_or_b32 exec_lo, exec_lo, s22
	s_and_saveexec_b32 s22, s16
	s_cbranch_execnz .LBB6_16209
	s_branch .LBB6_16210
.LBB6_16956:                            ;   in Loop: Header=BB6_15804 Depth=3
	s_or_saveexec_b32 s22, s22
	v_mov_b32_e32 v14, 0x7f800001
	s_xor_b32 exec_lo, exec_lo, s22
	s_cbranch_execz .LBB6_16222
.LBB6_16957:                            ;   in Loop: Header=BB6_15804 Depth=3
	v_cmp_ne_u16_e32 vcc_lo, 0, v7
	v_mov_b32_e32 v14, 0
	s_andn2_b32 s16, s16, exec_lo
	s_and_b32 s23, vcc_lo, exec_lo
	s_or_b32 s16, s16, s23
	s_or_b32 exec_lo, exec_lo, s22
	s_and_saveexec_b32 s22, s16
	s_cbranch_execnz .LBB6_16223
	s_branch .LBB6_16224
.LBB6_16958:                            ;   in Loop: Header=BB6_15804 Depth=3
	s_or_saveexec_b32 s22, s22
	v_mov_b32_e32 v14, 0x7f800001
	s_xor_b32 exec_lo, exec_lo, s22
	s_cbranch_execz .LBB6_16236
.LBB6_16959:                            ;   in Loop: Header=BB6_15804 Depth=3
	v_cmp_ne_u16_e32 vcc_lo, 0, v7
	v_mov_b32_e32 v14, 0
	s_andn2_b32 s16, s16, exec_lo
	s_and_b32 s23, vcc_lo, exec_lo
	s_or_b32 s16, s16, s23
	s_or_b32 exec_lo, exec_lo, s22
	s_and_saveexec_b32 s22, s16
	s_cbranch_execnz .LBB6_16237
	s_branch .LBB6_16238
.LBB6_16960:                            ;   in Loop: Header=BB6_15804 Depth=3
	s_or_saveexec_b32 s22, s22
	v_mov_b32_e32 v19, 0x7f800001
	s_xor_b32 exec_lo, exec_lo, s22
	s_cbranch_execz .LBB6_16250
.LBB6_16961:                            ;   in Loop: Header=BB6_15804 Depth=3
	v_cmp_ne_u16_e32 vcc_lo, 0, v7
	v_mov_b32_e32 v19, 0
	s_andn2_b32 s16, s16, exec_lo
	s_and_b32 s23, vcc_lo, exec_lo
	s_or_b32 s16, s16, s23
	s_or_b32 exec_lo, exec_lo, s22
	s_and_saveexec_b32 s22, s16
	s_cbranch_execnz .LBB6_16251
	s_branch .LBB6_16252
.LBB6_16962:                            ;   in Loop: Header=BB6_15804 Depth=3
	s_or_saveexec_b32 s16, s16
	v_mov_b32_e32 v76, 0x7f800001
	s_xor_b32 exec_lo, exec_lo, s16
	s_cbranch_execz .LBB6_16264
.LBB6_16963:                            ;   in Loop: Header=BB6_15804 Depth=3
	v_cmp_ne_u16_sdwa s23, v18, v2 src0_sel:BYTE_0 src1_sel:DWORD
	v_mov_b32_e32 v76, 0
	s_andn2_b32 s22, s22, exec_lo
	s_and_b32 s23, s23, exec_lo
	s_or_b32 s22, s22, s23
	s_or_b32 exec_lo, exec_lo, s16
	s_and_saveexec_b32 s16, s22
	s_cbranch_execnz .LBB6_16265
	s_branch .LBB6_16266
.LBB6_16964:                            ;   in Loop: Header=BB6_15804 Depth=3
	s_or_saveexec_b32 s16, s16
	v_mov_b32_e32 v18, 0x7f800001
	s_xor_b32 exec_lo, exec_lo, s16
	s_cbranch_execz .LBB6_16270
.LBB6_16965:                            ;   in Loop: Header=BB6_15804 Depth=3
	v_cmp_ne_u16_sdwa s23, v75, v2 src0_sel:BYTE_0 src1_sel:DWORD
	v_mov_b32_e32 v18, 0
	s_andn2_b32 s22, s22, exec_lo
	s_and_b32 s23, s23, exec_lo
	s_or_b32 s22, s22, s23
	s_or_b32 exec_lo, exec_lo, s16
	s_and_saveexec_b32 s16, s22
	s_cbranch_execnz .LBB6_16271
	s_branch .LBB6_16272
.LBB6_16966:                            ;   in Loop: Header=BB6_15804 Depth=3
	s_or_saveexec_b32 s16, s16
	v_mov_b32_e32 v75, 0x7f800001
	s_xor_b32 exec_lo, exec_lo, s16
	s_cbranch_execz .LBB6_16284
.LBB6_16967:                            ;   in Loop: Header=BB6_15804 Depth=3
	v_cmp_ne_u16_sdwa s23, v22, v2 src0_sel:BYTE_0 src1_sel:DWORD
	v_mov_b32_e32 v75, 0
	s_andn2_b32 s22, s22, exec_lo
	s_and_b32 s23, s23, exec_lo
	s_or_b32 s22, s22, s23
	s_or_b32 exec_lo, exec_lo, s16
	s_and_saveexec_b32 s16, s22
	s_cbranch_execnz .LBB6_16285
	s_branch .LBB6_16286
.LBB6_16968:                            ;   in Loop: Header=BB6_15804 Depth=3
	s_or_saveexec_b32 s22, s22
	v_mov_b32_e32 v22, 0x7f800001
	s_xor_b32 exec_lo, exec_lo, s22
	s_cbranch_execz .LBB6_16290
.LBB6_16969:                            ;   in Loop: Header=BB6_15804 Depth=3
	v_cmp_ne_u16_sdwa s23, v74, v2 src0_sel:BYTE_0 src1_sel:DWORD
	v_mov_b32_e32 v22, 0
	s_andn2_b32 s16, s16, exec_lo
	s_and_b32 s23, s23, exec_lo
	s_or_b32 s16, s16, s23
	s_or_b32 exec_lo, exec_lo, s22
	s_and_saveexec_b32 s22, s16
	s_cbranch_execnz .LBB6_16291
	s_branch .LBB6_16292
.LBB6_16970:                            ;   in Loop: Header=BB6_15804 Depth=3
	s_or_saveexec_b32 s16, s16
	v_mov_b32_e32 v74, 0x7f800001
	s_xor_b32 exec_lo, exec_lo, s16
	s_cbranch_execz .LBB6_16304
.LBB6_16971:                            ;   in Loop: Header=BB6_15804 Depth=3
	v_cmp_ne_u16_sdwa s23, v27, v2 src0_sel:BYTE_0 src1_sel:DWORD
	v_mov_b32_e32 v74, 0
	s_andn2_b32 s22, s22, exec_lo
	s_and_b32 s23, s23, exec_lo
	s_or_b32 s22, s22, s23
	s_or_b32 exec_lo, exec_lo, s16
	s_and_saveexec_b32 s16, s22
	s_cbranch_execnz .LBB6_16305
	s_branch .LBB6_16306
.LBB6_16972:                            ;   in Loop: Header=BB6_15804 Depth=3
	s_or_saveexec_b32 s22, s22
	v_mov_b32_e32 v27, 0x7f800001
	s_xor_b32 exec_lo, exec_lo, s22
	s_cbranch_execz .LBB6_16310
.LBB6_16973:                            ;   in Loop: Header=BB6_15804 Depth=3
	v_cmp_ne_u16_sdwa s23, v73, v2 src0_sel:BYTE_0 src1_sel:DWORD
	v_mov_b32_e32 v27, 0
	s_andn2_b32 s16, s16, exec_lo
	s_and_b32 s23, s23, exec_lo
	s_or_b32 s16, s16, s23
	s_or_b32 exec_lo, exec_lo, s22
	s_and_saveexec_b32 s22, s16
	s_cbranch_execnz .LBB6_16311
	s_branch .LBB6_16312
.LBB6_16974:                            ;   in Loop: Header=BB6_15804 Depth=3
	s_or_saveexec_b32 s16, s16
	v_mov_b32_e32 v73, 0x7f800001
	s_xor_b32 exec_lo, exec_lo, s16
	s_cbranch_execz .LBB6_16324
.LBB6_16975:                            ;   in Loop: Header=BB6_15804 Depth=3
	v_cmp_ne_u16_sdwa s23, v31, v2 src0_sel:BYTE_0 src1_sel:DWORD
	v_mov_b32_e32 v73, 0
	s_andn2_b32 s22, s22, exec_lo
	s_and_b32 s23, s23, exec_lo
	s_or_b32 s22, s22, s23
	s_or_b32 exec_lo, exec_lo, s16
	s_and_saveexec_b32 s16, s22
	s_cbranch_execnz .LBB6_16325
	s_branch .LBB6_16326
.LBB6_16976:                            ;   in Loop: Header=BB6_15804 Depth=3
	s_or_saveexec_b32 s22, s22
	v_mov_b32_e32 v31, 0x7f800001
	s_xor_b32 exec_lo, exec_lo, s22
	s_cbranch_execz .LBB6_16330
.LBB6_16977:                            ;   in Loop: Header=BB6_15804 Depth=3
	v_cmp_ne_u16_sdwa s23, v72, v2 src0_sel:BYTE_0 src1_sel:DWORD
	v_mov_b32_e32 v31, 0
	s_andn2_b32 s16, s16, exec_lo
	s_and_b32 s23, s23, exec_lo
	s_or_b32 s16, s16, s23
	s_or_b32 exec_lo, exec_lo, s22
	s_and_saveexec_b32 s22, s16
	s_cbranch_execnz .LBB6_16331
	s_branch .LBB6_16332
.LBB6_16978:                            ;   in Loop: Header=BB6_15804 Depth=3
	s_or_saveexec_b32 s16, s16
	v_mov_b32_e32 v72, 0x7f800001
	s_xor_b32 exec_lo, exec_lo, s16
	s_cbranch_execz .LBB6_16344
.LBB6_16979:                            ;   in Loop: Header=BB6_15804 Depth=3
	v_cmp_ne_u16_sdwa s23, v52, v2 src0_sel:BYTE_0 src1_sel:DWORD
	v_mov_b32_e32 v72, 0
	s_andn2_b32 s22, s22, exec_lo
	s_and_b32 s23, s23, exec_lo
	s_or_b32 s22, s22, s23
	s_or_b32 exec_lo, exec_lo, s16
	s_and_saveexec_b32 s16, s22
	s_cbranch_execnz .LBB6_16345
	s_branch .LBB6_16346
.LBB6_16980:                            ;   in Loop: Header=BB6_15804 Depth=3
	s_or_saveexec_b32 s22, s22
	v_mov_b32_e32 v52, 0x7f800001
	s_xor_b32 exec_lo, exec_lo, s22
	s_cbranch_execz .LBB6_16350
.LBB6_16981:                            ;   in Loop: Header=BB6_15804 Depth=3
	v_cmp_ne_u16_sdwa s23, v63, v2 src0_sel:BYTE_0 src1_sel:DWORD
	v_mov_b32_e32 v52, 0
	s_andn2_b32 s16, s16, exec_lo
	s_and_b32 s23, s23, exec_lo
	s_or_b32 s16, s16, s23
	s_or_b32 exec_lo, exec_lo, s22
	s_and_saveexec_b32 s22, s16
	s_cbranch_execnz .LBB6_16351
	s_branch .LBB6_16352
.LBB6_16982:                            ;   in Loop: Header=BB6_15804 Depth=3
	s_or_saveexec_b32 s16, s16
	v_mov_b32_e32 v63, 0x7f800001
	s_xor_b32 exec_lo, exec_lo, s16
	s_cbranch_execz .LBB6_16364
.LBB6_16983:                            ;   in Loop: Header=BB6_15804 Depth=3
	v_cmp_ne_u16_sdwa s23, v66, v2 src0_sel:BYTE_0 src1_sel:DWORD
	v_mov_b32_e32 v63, 0
	s_andn2_b32 s22, s22, exec_lo
	s_and_b32 s23, s23, exec_lo
	s_or_b32 s22, s22, s23
	s_or_b32 exec_lo, exec_lo, s16
	s_and_saveexec_b32 s16, s22
	s_cbranch_execnz .LBB6_16365
	s_branch .LBB6_16366
.LBB6_16984:                            ;   in Loop: Header=BB6_15804 Depth=3
	s_or_saveexec_b32 s22, s22
	v_mov_b32_e32 v66, 0x7f800001
	s_xor_b32 exec_lo, exec_lo, s22
	s_cbranch_execz .LBB6_16370
.LBB6_16985:                            ;   in Loop: Header=BB6_15804 Depth=3
	v_cmp_ne_u16_sdwa s23, v62, v2 src0_sel:BYTE_0 src1_sel:DWORD
	v_mov_b32_e32 v66, 0
	s_andn2_b32 s16, s16, exec_lo
	s_and_b32 s23, s23, exec_lo
	s_or_b32 s16, s16, s23
	s_or_b32 exec_lo, exec_lo, s22
	s_and_saveexec_b32 s22, s16
	s_cbranch_execnz .LBB6_16371
	s_branch .LBB6_16372
.LBB6_16986:                            ;   in Loop: Header=BB6_15804 Depth=3
	s_or_saveexec_b32 s16, s16
	v_mov_b32_e32 v62, 0x7f800001
	s_xor_b32 exec_lo, exec_lo, s16
	s_cbranch_execz .LBB6_16384
.LBB6_16987:                            ;   in Loop: Header=BB6_15804 Depth=3
	v_cmp_ne_u16_sdwa s23, v80, v2 src0_sel:BYTE_0 src1_sel:DWORD
	v_mov_b32_e32 v62, 0
	s_andn2_b32 s22, s22, exec_lo
	s_and_b32 s23, s23, exec_lo
	s_or_b32 s22, s22, s23
	s_or_b32 exec_lo, exec_lo, s16
	s_and_saveexec_b32 s16, s22
	s_cbranch_execnz .LBB6_16385
	s_branch .LBB6_16386
.LBB6_16988:                            ;   in Loop: Header=BB6_15804 Depth=3
	s_or_saveexec_b32 s22, s22
	v_mov_b32_e32 v80, 0x7f800001
	s_xor_b32 exec_lo, exec_lo, s22
	s_cbranch_execz .LBB6_16390
.LBB6_16989:                            ;   in Loop: Header=BB6_15804 Depth=3
	v_cmp_ne_u16_sdwa s23, v61, v2 src0_sel:BYTE_0 src1_sel:DWORD
	v_mov_b32_e32 v80, 0
	s_andn2_b32 s16, s16, exec_lo
	s_and_b32 s23, s23, exec_lo
	s_or_b32 s16, s16, s23
	s_or_b32 exec_lo, exec_lo, s22
	s_and_saveexec_b32 s22, s16
	s_cbranch_execnz .LBB6_16391
	s_branch .LBB6_16392
.LBB6_16990:                            ;   in Loop: Header=BB6_15804 Depth=3
	s_or_saveexec_b32 s16, s16
	v_mov_b32_e32 v61, 0x7f800001
	s_xor_b32 exec_lo, exec_lo, s16
	s_cbranch_execz .LBB6_16404
.LBB6_16991:                            ;   in Loop: Header=BB6_15804 Depth=3
	v_cmp_ne_u16_sdwa s23, v84, v2 src0_sel:BYTE_0 src1_sel:DWORD
	v_mov_b32_e32 v61, 0
	s_andn2_b32 s22, s22, exec_lo
	s_and_b32 s23, s23, exec_lo
	s_or_b32 s22, s22, s23
	s_or_b32 exec_lo, exec_lo, s16
	s_and_saveexec_b32 s16, s22
	s_cbranch_execnz .LBB6_16405
	s_branch .LBB6_16406
.LBB6_16992:                            ;   in Loop: Header=BB6_15804 Depth=3
	s_or_saveexec_b32 s22, s22
	v_mov_b32_e32 v84, 0x7f800001
	s_xor_b32 exec_lo, exec_lo, s22
	s_cbranch_execz .LBB6_16410
.LBB6_16993:                            ;   in Loop: Header=BB6_15804 Depth=3
	v_cmp_ne_u16_sdwa s23, v60, v2 src0_sel:BYTE_0 src1_sel:DWORD
	v_mov_b32_e32 v84, 0
	s_andn2_b32 s16, s16, exec_lo
	s_and_b32 s23, s23, exec_lo
	s_or_b32 s16, s16, s23
	s_or_b32 exec_lo, exec_lo, s22
	s_and_saveexec_b32 s22, s16
	s_cbranch_execnz .LBB6_16411
	s_branch .LBB6_16412
.LBB6_16994:                            ;   in Loop: Header=BB6_15804 Depth=3
	s_or_saveexec_b32 s16, s16
	v_mov_b32_e32 v60, 0x7f800001
	s_xor_b32 exec_lo, exec_lo, s16
	s_cbranch_execz .LBB6_16424
.LBB6_16995:                            ;   in Loop: Header=BB6_15804 Depth=3
	v_cmp_ne_u16_sdwa s23, v96, v2 src0_sel:BYTE_0 src1_sel:DWORD
	v_mov_b32_e32 v60, 0
	s_andn2_b32 s22, s22, exec_lo
	s_and_b32 s23, s23, exec_lo
	s_or_b32 s22, s22, s23
	s_or_b32 exec_lo, exec_lo, s16
	s_and_saveexec_b32 s16, s22
	s_cbranch_execnz .LBB6_16425
	s_branch .LBB6_16426
.LBB6_16996:                            ;   in Loop: Header=BB6_15804 Depth=3
	s_or_saveexec_b32 s22, s22
	v_mov_b32_e32 v96, 0x7f800001
	s_xor_b32 exec_lo, exec_lo, s22
	s_cbranch_execz .LBB6_16430
.LBB6_16997:                            ;   in Loop: Header=BB6_15804 Depth=3
	v_cmp_ne_u16_sdwa s23, v59, v2 src0_sel:BYTE_0 src1_sel:DWORD
	v_mov_b32_e32 v96, 0
	s_andn2_b32 s16, s16, exec_lo
	s_and_b32 s23, s23, exec_lo
	s_or_b32 s16, s16, s23
	s_or_b32 exec_lo, exec_lo, s22
	s_and_saveexec_b32 s22, s16
	s_cbranch_execnz .LBB6_16431
	s_branch .LBB6_16432
.LBB6_16998:                            ;   in Loop: Header=BB6_15804 Depth=3
	s_or_saveexec_b32 s16, s16
	v_mov_b32_e32 v59, 0x7f800001
	s_xor_b32 exec_lo, exec_lo, s16
	s_cbranch_execz .LBB6_16444
.LBB6_16999:                            ;   in Loop: Header=BB6_15804 Depth=3
	v_cmp_ne_u16_sdwa s23, v101, v2 src0_sel:BYTE_0 src1_sel:DWORD
	v_mov_b32_e32 v59, 0
	s_andn2_b32 s22, s22, exec_lo
	s_and_b32 s23, s23, exec_lo
	s_or_b32 s22, s22, s23
	s_or_b32 exec_lo, exec_lo, s16
	s_and_saveexec_b32 s16, s22
	s_cbranch_execnz .LBB6_16445
	s_branch .LBB6_16446
.LBB6_17000:                            ;   in Loop: Header=BB6_15804 Depth=3
	s_or_saveexec_b32 s22, s22
	v_mov_b32_e32 v101, 0x7f800001
	s_xor_b32 exec_lo, exec_lo, s22
	s_cbranch_execz .LBB6_16450
.LBB6_17001:                            ;   in Loop: Header=BB6_15804 Depth=3
	v_cmp_ne_u16_sdwa s23, v58, v2 src0_sel:BYTE_0 src1_sel:DWORD
	v_mov_b32_e32 v101, 0
	s_andn2_b32 s16, s16, exec_lo
	s_and_b32 s23, s23, exec_lo
	s_or_b32 s16, s16, s23
	s_or_b32 exec_lo, exec_lo, s22
	s_and_saveexec_b32 s22, s16
	s_cbranch_execnz .LBB6_16451
	s_branch .LBB6_16452
.LBB6_17002:                            ;   in Loop: Header=BB6_15804 Depth=3
	s_or_saveexec_b32 s16, s16
	v_mov_b32_e32 v58, 0x7f800001
	s_xor_b32 exec_lo, exec_lo, s16
	s_cbranch_execz .LBB6_16464
.LBB6_17003:                            ;   in Loop: Header=BB6_15804 Depth=3
	v_cmp_ne_u16_sdwa s23, v98, v2 src0_sel:BYTE_0 src1_sel:DWORD
	v_mov_b32_e32 v58, 0
	s_andn2_b32 s22, s22, exec_lo
	s_and_b32 s23, s23, exec_lo
	s_or_b32 s22, s22, s23
	s_or_b32 exec_lo, exec_lo, s16
	s_and_saveexec_b32 s16, s22
	s_cbranch_execnz .LBB6_16465
	s_branch .LBB6_16466
.LBB6_17004:                            ;   in Loop: Header=BB6_15804 Depth=3
	s_or_saveexec_b32 s22, s22
	v_mov_b32_e32 v98, 0x7f800001
	s_xor_b32 exec_lo, exec_lo, s22
	s_cbranch_execz .LBB6_16470
.LBB6_17005:                            ;   in Loop: Header=BB6_15804 Depth=3
	v_cmp_ne_u16_sdwa s23, v57, v2 src0_sel:BYTE_0 src1_sel:DWORD
	v_mov_b32_e32 v98, 0
	s_andn2_b32 s16, s16, exec_lo
	s_and_b32 s23, s23, exec_lo
	s_or_b32 s16, s16, s23
	s_or_b32 exec_lo, exec_lo, s22
	s_and_saveexec_b32 s22, s16
	s_cbranch_execnz .LBB6_16471
	s_branch .LBB6_16472
.LBB6_17006:                            ;   in Loop: Header=BB6_15804 Depth=3
	s_or_saveexec_b32 s16, s16
	v_mov_b32_e32 v57, 0x7f800001
	s_xor_b32 exec_lo, exec_lo, s16
	s_cbranch_execz .LBB6_16484
.LBB6_17007:                            ;   in Loop: Header=BB6_15804 Depth=3
	v_cmp_ne_u16_sdwa s23, v97, v2 src0_sel:BYTE_0 src1_sel:DWORD
	v_mov_b32_e32 v57, 0
	s_andn2_b32 s22, s22, exec_lo
	s_and_b32 s23, s23, exec_lo
	s_or_b32 s22, s22, s23
	s_or_b32 exec_lo, exec_lo, s16
	s_and_saveexec_b32 s16, s22
	s_cbranch_execnz .LBB6_16485
	s_branch .LBB6_16486
.LBB6_17008:                            ;   in Loop: Header=BB6_15804 Depth=3
	s_or_saveexec_b32 s22, s22
	v_mov_b32_e32 v97, 0x7f800001
	s_xor_b32 exec_lo, exec_lo, s22
	s_cbranch_execz .LBB6_16490
.LBB6_17009:                            ;   in Loop: Header=BB6_15804 Depth=3
	v_cmp_ne_u16_sdwa s23, v56, v2 src0_sel:BYTE_0 src1_sel:DWORD
	v_mov_b32_e32 v97, 0
	s_andn2_b32 s16, s16, exec_lo
	s_and_b32 s23, s23, exec_lo
	s_or_b32 s16, s16, s23
	s_or_b32 exec_lo, exec_lo, s22
	s_and_saveexec_b32 s22, s16
	s_cbranch_execnz .LBB6_16491
	s_branch .LBB6_16492
.LBB6_17010:                            ;   in Loop: Header=BB6_15804 Depth=3
	s_or_saveexec_b32 s16, s16
	v_mov_b32_e32 v56, 0x7f800001
	s_xor_b32 exec_lo, exec_lo, s16
	s_cbranch_execz .LBB6_16504
.LBB6_17011:                            ;   in Loop: Header=BB6_15804 Depth=3
	v_cmp_ne_u16_sdwa s23, v86, v2 src0_sel:BYTE_0 src1_sel:DWORD
	v_mov_b32_e32 v56, 0
	s_andn2_b32 s22, s22, exec_lo
	s_and_b32 s23, s23, exec_lo
	s_or_b32 s22, s22, s23
	s_or_b32 exec_lo, exec_lo, s16
	s_and_saveexec_b32 s16, s22
	s_cbranch_execnz .LBB6_16505
	s_branch .LBB6_16506
.LBB6_17012:                            ;   in Loop: Header=BB6_15804 Depth=3
	s_or_saveexec_b32 s22, s22
	v_mov_b32_e32 v86, 0x7f800001
	s_xor_b32 exec_lo, exec_lo, s22
	s_cbranch_execz .LBB6_16510
.LBB6_17013:                            ;   in Loop: Header=BB6_15804 Depth=3
	v_cmp_ne_u16_sdwa s23, v45, v2 src0_sel:BYTE_0 src1_sel:DWORD
	v_mov_b32_e32 v86, 0
	s_andn2_b32 s16, s16, exec_lo
	s_and_b32 s23, s23, exec_lo
	s_or_b32 s16, s16, s23
	s_or_b32 exec_lo, exec_lo, s22
	s_and_saveexec_b32 s22, s16
	s_cbranch_execnz .LBB6_16511
	s_branch .LBB6_16512
.LBB6_17014:                            ;   in Loop: Header=BB6_15804 Depth=3
	s_or_saveexec_b32 s16, s16
	v_mov_b32_e32 v45, 0x7f800001
	s_xor_b32 exec_lo, exec_lo, s16
	s_cbranch_execz .LBB6_16524
.LBB6_17015:                            ;   in Loop: Header=BB6_15804 Depth=3
	v_cmp_ne_u16_sdwa s23, v85, v2 src0_sel:BYTE_0 src1_sel:DWORD
	v_mov_b32_e32 v45, 0
	s_andn2_b32 s22, s22, exec_lo
	s_and_b32 s23, s23, exec_lo
	s_or_b32 s22, s22, s23
	s_or_b32 exec_lo, exec_lo, s16
	s_and_saveexec_b32 s16, s22
	s_cbranch_execnz .LBB6_16525
	s_branch .LBB6_16526
.LBB6_17016:                            ;   in Loop: Header=BB6_15804 Depth=3
	s_or_saveexec_b32 s22, s22
	v_mov_b32_e32 v85, 0x7f800001
	s_xor_b32 exec_lo, exec_lo, s22
	s_cbranch_execz .LBB6_16530
.LBB6_17017:                            ;   in Loop: Header=BB6_15804 Depth=3
	v_cmp_ne_u16_sdwa s23, v44, v2 src0_sel:BYTE_0 src1_sel:DWORD
	v_mov_b32_e32 v85, 0
	s_andn2_b32 s16, s16, exec_lo
	s_and_b32 s23, s23, exec_lo
	s_or_b32 s16, s16, s23
	s_or_b32 exec_lo, exec_lo, s22
	s_and_saveexec_b32 s22, s16
	s_cbranch_execnz .LBB6_16531
	s_branch .LBB6_16532
.LBB6_17018:                            ;   in Loop: Header=BB6_15804 Depth=3
	s_or_saveexec_b32 s16, s16
	v_mov_b32_e32 v44, 0x7f800001
	s_xor_b32 exec_lo, exec_lo, s16
	s_cbranch_execz .LBB6_16544
.LBB6_17019:                            ;   in Loop: Header=BB6_15804 Depth=3
	v_cmp_ne_u16_sdwa s23, v82, v2 src0_sel:BYTE_0 src1_sel:DWORD
	v_mov_b32_e32 v44, 0
	s_andn2_b32 s22, s22, exec_lo
	s_and_b32 s23, s23, exec_lo
	s_or_b32 s22, s22, s23
	s_or_b32 exec_lo, exec_lo, s16
	s_and_saveexec_b32 s16, s22
	s_cbranch_execnz .LBB6_16545
	s_branch .LBB6_16546
.LBB6_17020:                            ;   in Loop: Header=BB6_15804 Depth=3
	s_or_saveexec_b32 s22, s22
	v_mov_b32_e32 v82, 0x7f800001
	s_xor_b32 exec_lo, exec_lo, s22
	s_cbranch_execz .LBB6_16550
.LBB6_17021:                            ;   in Loop: Header=BB6_15804 Depth=3
	v_cmp_ne_u16_sdwa s23, v43, v2 src0_sel:BYTE_0 src1_sel:DWORD
	v_mov_b32_e32 v82, 0
	s_andn2_b32 s16, s16, exec_lo
	s_and_b32 s23, s23, exec_lo
	s_or_b32 s16, s16, s23
	s_or_b32 exec_lo, exec_lo, s22
	s_and_saveexec_b32 s22, s16
	s_cbranch_execnz .LBB6_16551
	s_branch .LBB6_16552
.LBB6_17022:                            ;   in Loop: Header=BB6_15804 Depth=3
	s_or_saveexec_b32 s16, s16
	v_mov_b32_e32 v43, 0x7f800001
	s_xor_b32 exec_lo, exec_lo, s16
	s_cbranch_execz .LBB6_16564
.LBB6_17023:                            ;   in Loop: Header=BB6_15804 Depth=3
	v_cmp_ne_u16_sdwa s23, v81, v2 src0_sel:BYTE_0 src1_sel:DWORD
	v_mov_b32_e32 v43, 0
	s_andn2_b32 s22, s22, exec_lo
	s_and_b32 s23, s23, exec_lo
	s_or_b32 s22, s22, s23
	s_or_b32 exec_lo, exec_lo, s16
	s_and_saveexec_b32 s16, s22
	s_cbranch_execnz .LBB6_16565
	s_branch .LBB6_16566
.LBB6_17024:                            ;   in Loop: Header=BB6_15804 Depth=3
	s_or_saveexec_b32 s22, s22
	v_mov_b32_e32 v81, 0x7f800001
	s_xor_b32 exec_lo, exec_lo, s22
	s_cbranch_execz .LBB6_16570
.LBB6_17025:                            ;   in Loop: Header=BB6_15804 Depth=3
	v_cmp_ne_u16_sdwa s23, v42, v2 src0_sel:BYTE_0 src1_sel:DWORD
	v_mov_b32_e32 v81, 0
	s_andn2_b32 s16, s16, exec_lo
	s_and_b32 s23, s23, exec_lo
	s_or_b32 s16, s16, s23
	s_or_b32 exec_lo, exec_lo, s22
	s_and_saveexec_b32 s22, s16
	s_cbranch_execnz .LBB6_16571
	s_branch .LBB6_16572
.LBB6_17026:                            ;   in Loop: Header=BB6_15804 Depth=3
	s_or_saveexec_b32 s16, s16
	v_mov_b32_e32 v42, 0x7f800001
	s_xor_b32 exec_lo, exec_lo, s16
	s_cbranch_execz .LBB6_16584
.LBB6_17027:                            ;   in Loop: Header=BB6_15804 Depth=3
	v_cmp_ne_u16_sdwa s23, v69, v2 src0_sel:BYTE_0 src1_sel:DWORD
	v_mov_b32_e32 v42, 0
	s_andn2_b32 s22, s22, exec_lo
	s_and_b32 s23, s23, exec_lo
	s_or_b32 s22, s22, s23
	s_or_b32 exec_lo, exec_lo, s16
	s_and_saveexec_b32 s16, s22
	s_cbranch_execnz .LBB6_16585
	s_branch .LBB6_16586
.LBB6_17028:                            ;   in Loop: Header=BB6_15804 Depth=3
	s_or_saveexec_b32 s22, s22
	v_mov_b32_e32 v69, 0x7f800001
	s_xor_b32 exec_lo, exec_lo, s22
	s_cbranch_execz .LBB6_16590
.LBB6_17029:                            ;   in Loop: Header=BB6_15804 Depth=3
	v_cmp_ne_u16_sdwa s23, v41, v2 src0_sel:BYTE_0 src1_sel:DWORD
	v_mov_b32_e32 v69, 0
	s_andn2_b32 s16, s16, exec_lo
	s_and_b32 s23, s23, exec_lo
	s_or_b32 s16, s16, s23
	s_or_b32 exec_lo, exec_lo, s22
	s_and_saveexec_b32 s22, s16
	s_cbranch_execnz .LBB6_16591
	s_branch .LBB6_16592
.LBB6_17030:                            ;   in Loop: Header=BB6_15804 Depth=3
	s_or_saveexec_b32 s16, s16
	v_mov_b32_e32 v41, 0x7f800001
	s_xor_b32 exec_lo, exec_lo, s16
	s_cbranch_execz .LBB6_16604
.LBB6_17031:                            ;   in Loop: Header=BB6_15804 Depth=3
	v_cmp_ne_u16_sdwa s23, v67, v2 src0_sel:BYTE_0 src1_sel:DWORD
	v_mov_b32_e32 v41, 0
	s_andn2_b32 s22, s22, exec_lo
	s_and_b32 s23, s23, exec_lo
	s_or_b32 s22, s22, s23
	s_or_b32 exec_lo, exec_lo, s16
	s_and_saveexec_b32 s16, s22
	s_cbranch_execnz .LBB6_16605
	s_branch .LBB6_16606
.LBB6_17032:                            ;   in Loop: Header=BB6_15804 Depth=3
	s_or_saveexec_b32 s22, s22
	v_mov_b32_e32 v67, 0x7f800001
	s_xor_b32 exec_lo, exec_lo, s22
	s_cbranch_execz .LBB6_16610
.LBB6_17033:                            ;   in Loop: Header=BB6_15804 Depth=3
	v_cmp_ne_u16_sdwa s23, v115, v2 src0_sel:BYTE_0 src1_sel:DWORD
	v_mov_b32_e32 v67, 0
	s_andn2_b32 s16, s16, exec_lo
	s_and_b32 s23, s23, exec_lo
	s_or_b32 s16, s16, s23
	s_or_b32 exec_lo, exec_lo, s22
	s_and_saveexec_b32 s22, s16
	s_cbranch_execnz .LBB6_16611
	s_branch .LBB6_16612
.LBB6_17034:                            ;   in Loop: Header=BB6_15804 Depth=3
	s_or_saveexec_b32 s16, s16
	v_mov_b32_e32 v115, 0x7f800001
	s_xor_b32 exec_lo, exec_lo, s16
	s_cbranch_execz .LBB6_16624
.LBB6_17035:                            ;   in Loop: Header=BB6_15804 Depth=3
	v_cmp_ne_u16_sdwa s23, v55, v2 src0_sel:BYTE_0 src1_sel:DWORD
	v_mov_b32_e32 v115, 0
	s_andn2_b32 s22, s22, exec_lo
	s_and_b32 s23, s23, exec_lo
	s_or_b32 s22, s22, s23
	s_or_b32 exec_lo, exec_lo, s16
	s_and_saveexec_b32 s16, s22
	s_cbranch_execnz .LBB6_16625
	s_branch .LBB6_16626
.LBB6_17036:                            ;   in Loop: Header=BB6_15804 Depth=3
	s_or_saveexec_b32 s22, s22
	v_mov_b32_e32 v55, 0x7f800001
	s_xor_b32 exec_lo, exec_lo, s22
	s_cbranch_execz .LBB6_16630
.LBB6_17037:                            ;   in Loop: Header=BB6_15804 Depth=3
	v_cmp_ne_u16_sdwa s23, v113, v2 src0_sel:BYTE_0 src1_sel:DWORD
	v_mov_b32_e32 v55, 0
	s_andn2_b32 s16, s16, exec_lo
	s_and_b32 s23, s23, exec_lo
	s_or_b32 s16, s16, s23
	s_or_b32 exec_lo, exec_lo, s22
	s_and_saveexec_b32 s22, s16
	s_cbranch_execnz .LBB6_16631
	s_branch .LBB6_16632
.LBB6_17038:                            ;   in Loop: Header=BB6_15804 Depth=3
	s_or_saveexec_b32 s16, s16
	v_mov_b32_e32 v113, 0x7f800001
	s_xor_b32 exec_lo, exec_lo, s16
	s_cbranch_execz .LBB6_16644
.LBB6_17039:                            ;   in Loop: Header=BB6_15804 Depth=3
	v_cmp_ne_u16_sdwa s23, v53, v2 src0_sel:BYTE_0 src1_sel:DWORD
	v_mov_b32_e32 v113, 0
	s_andn2_b32 s22, s22, exec_lo
	s_and_b32 s23, s23, exec_lo
	s_or_b32 s22, s22, s23
	s_or_b32 exec_lo, exec_lo, s16
	s_and_saveexec_b32 s16, s22
	s_cbranch_execnz .LBB6_16645
	s_branch .LBB6_16646
.LBB6_17040:                            ;   in Loop: Header=BB6_15804 Depth=3
	s_or_saveexec_b32 s22, s22
	v_mov_b32_e32 v53, 0x7f800001
	s_xor_b32 exec_lo, exec_lo, s22
	s_cbranch_execz .LBB6_16650
.LBB6_17041:                            ;   in Loop: Header=BB6_15804 Depth=3
	v_cmp_ne_u16_sdwa s23, v112, v2 src0_sel:BYTE_0 src1_sel:DWORD
	v_mov_b32_e32 v53, 0
	s_andn2_b32 s16, s16, exec_lo
	s_and_b32 s23, s23, exec_lo
	s_or_b32 s16, s16, s23
	s_or_b32 exec_lo, exec_lo, s22
	s_and_saveexec_b32 s22, s16
	s_cbranch_execnz .LBB6_16651
	s_branch .LBB6_16652
.LBB6_17042:                            ;   in Loop: Header=BB6_15804 Depth=3
	s_or_saveexec_b32 s16, s16
	v_mov_b32_e32 v112, 0x7f800001
	s_xor_b32 exec_lo, exec_lo, s16
	s_cbranch_execz .LBB6_16664
.LBB6_17043:                            ;   in Loop: Header=BB6_15804 Depth=3
	v_cmp_ne_u16_sdwa s23, v51, v2 src0_sel:BYTE_0 src1_sel:DWORD
	v_mov_b32_e32 v112, 0
	s_andn2_b32 s22, s22, exec_lo
	s_and_b32 s23, s23, exec_lo
	s_or_b32 s22, s22, s23
	s_or_b32 exec_lo, exec_lo, s16
	s_and_saveexec_b32 s16, s22
	s_cbranch_execnz .LBB6_16665
	s_branch .LBB6_16666
.LBB6_17044:                            ;   in Loop: Header=BB6_15804 Depth=3
	s_or_saveexec_b32 s22, s22
	v_mov_b32_e32 v51, 0x7f800001
	s_xor_b32 exec_lo, exec_lo, s22
	s_cbranch_execz .LBB6_16670
.LBB6_17045:                            ;   in Loop: Header=BB6_15804 Depth=3
	v_cmp_ne_u16_sdwa s23, v102, v2 src0_sel:BYTE_0 src1_sel:DWORD
	v_mov_b32_e32 v51, 0
	s_andn2_b32 s16, s16, exec_lo
	s_and_b32 s23, s23, exec_lo
	s_or_b32 s16, s16, s23
	s_or_b32 exec_lo, exec_lo, s22
	s_and_saveexec_b32 s22, s16
	s_cbranch_execnz .LBB6_16671
	s_branch .LBB6_16672
.LBB6_17046:                            ;   in Loop: Header=BB6_15804 Depth=3
	s_or_saveexec_b32 s16, s16
	v_mov_b32_e32 v102, 0x7f800001
	s_xor_b32 exec_lo, exec_lo, s16
	s_cbranch_execz .LBB6_16684
.LBB6_17047:                            ;   in Loop: Header=BB6_15804 Depth=3
	v_cmp_ne_u16_sdwa s23, v37, v2 src0_sel:BYTE_0 src1_sel:DWORD
	v_mov_b32_e32 v102, 0
	s_andn2_b32 s22, s22, exec_lo
	s_and_b32 s23, s23, exec_lo
	s_or_b32 s22, s22, s23
	s_or_b32 exec_lo, exec_lo, s16
	s_and_saveexec_b32 s16, s22
	s_cbranch_execnz .LBB6_16685
	s_branch .LBB6_16686
.LBB6_17048:                            ;   in Loop: Header=BB6_15804 Depth=3
	s_or_saveexec_b32 s22, s22
	v_mov_b32_e32 v37, 0x7f800001
	s_xor_b32 exec_lo, exec_lo, s22
	s_cbranch_execz .LBB6_16690
.LBB6_17049:                            ;   in Loop: Header=BB6_15804 Depth=3
	v_cmp_ne_u16_sdwa s23, v99, v2 src0_sel:BYTE_0 src1_sel:DWORD
	v_mov_b32_e32 v37, 0
	s_andn2_b32 s16, s16, exec_lo
	s_and_b32 s23, s23, exec_lo
	s_or_b32 s16, s16, s23
	s_or_b32 exec_lo, exec_lo, s22
	s_and_saveexec_b32 s22, s16
	s_cbranch_execnz .LBB6_16691
	s_branch .LBB6_16692
.LBB6_17050:                            ;   in Loop: Header=BB6_15804 Depth=3
	s_or_saveexec_b32 s16, s16
	v_mov_b32_e32 v99, 0x7f800001
	s_xor_b32 exec_lo, exec_lo, s16
	s_cbranch_execz .LBB6_16704
.LBB6_17051:                            ;   in Loop: Header=BB6_15804 Depth=3
	v_cmp_ne_u16_sdwa s23, v36, v2 src0_sel:BYTE_0 src1_sel:DWORD
	v_mov_b32_e32 v99, 0
	s_andn2_b32 s22, s22, exec_lo
	s_and_b32 s23, s23, exec_lo
	s_or_b32 s22, s22, s23
	s_or_b32 exec_lo, exec_lo, s16
	s_and_saveexec_b32 s16, s22
	s_cbranch_execnz .LBB6_16705
	s_branch .LBB6_16706
.LBB6_17052:                            ;   in Loop: Header=BB6_15804 Depth=3
	s_or_saveexec_b32 s22, s22
	v_mov_b32_e32 v36, 0x7f800001
	s_xor_b32 exec_lo, exec_lo, s22
	s_cbranch_execz .LBB6_16710
.LBB6_17053:                            ;   in Loop: Header=BB6_15804 Depth=3
	v_cmp_ne_u16_sdwa s23, v87, v2 src0_sel:BYTE_0 src1_sel:DWORD
	v_mov_b32_e32 v36, 0
	s_andn2_b32 s16, s16, exec_lo
	s_and_b32 s23, s23, exec_lo
	s_or_b32 s16, s16, s23
	s_or_b32 exec_lo, exec_lo, s22
	s_and_saveexec_b32 s22, s16
	s_cbranch_execnz .LBB6_16711
	s_branch .LBB6_16712
.LBB6_17054:                            ;   in Loop: Header=BB6_15804 Depth=3
	s_or_saveexec_b32 s16, s16
	v_mov_b32_e32 v87, 0x7f800001
	s_xor_b32 exec_lo, exec_lo, s16
	s_cbranch_execz .LBB6_16724
.LBB6_17055:                            ;   in Loop: Header=BB6_15804 Depth=3
	v_cmp_ne_u16_sdwa s23, v29, v2 src0_sel:BYTE_0 src1_sel:DWORD
	v_mov_b32_e32 v87, 0
	s_andn2_b32 s22, s22, exec_lo
	s_and_b32 s23, s23, exec_lo
	s_or_b32 s22, s22, s23
	s_or_b32 exec_lo, exec_lo, s16
	s_and_saveexec_b32 s16, s22
	s_cbranch_execnz .LBB6_16725
	s_branch .LBB6_16726
.LBB6_17056:                            ;   in Loop: Header=BB6_15804 Depth=3
	s_or_saveexec_b32 s22, s22
	v_mov_b32_e32 v29, 0x7f800001
	s_xor_b32 exec_lo, exec_lo, s22
	s_cbranch_execz .LBB6_16730
.LBB6_17057:                            ;   in Loop: Header=BB6_15804 Depth=3
	v_cmp_ne_u16_sdwa s23, v83, v2 src0_sel:BYTE_0 src1_sel:DWORD
	v_mov_b32_e32 v29, 0
	s_andn2_b32 s16, s16, exec_lo
	s_and_b32 s23, s23, exec_lo
	s_or_b32 s16, s16, s23
	s_or_b32 exec_lo, exec_lo, s22
	s_and_saveexec_b32 s22, s16
	s_cbranch_execnz .LBB6_16731
	s_branch .LBB6_16732
.LBB6_17058:                            ;   in Loop: Header=BB6_15804 Depth=3
	s_or_saveexec_b32 s16, s16
	v_mov_b32_e32 v83, 0x7f800001
	s_xor_b32 exec_lo, exec_lo, s16
	s_cbranch_execz .LBB6_16744
.LBB6_17059:                            ;   in Loop: Header=BB6_15804 Depth=3
	v_cmp_ne_u16_sdwa s23, v28, v2 src0_sel:BYTE_0 src1_sel:DWORD
	v_mov_b32_e32 v83, 0
	s_andn2_b32 s22, s22, exec_lo
	s_and_b32 s23, s23, exec_lo
	s_or_b32 s22, s22, s23
	s_or_b32 exec_lo, exec_lo, s16
	s_and_saveexec_b32 s16, s22
	s_cbranch_execnz .LBB6_16745
	s_branch .LBB6_16746
.LBB6_17060:                            ;   in Loop: Header=BB6_15804 Depth=3
	s_or_saveexec_b32 s22, s22
	v_mov_b32_e32 v28, 0x7f800001
	s_xor_b32 exec_lo, exec_lo, s22
	s_cbranch_execz .LBB6_16750
.LBB6_17061:                            ;   in Loop: Header=BB6_15804 Depth=3
	v_cmp_ne_u16_sdwa s23, v70, v2 src0_sel:BYTE_0 src1_sel:DWORD
	v_mov_b32_e32 v28, 0
	s_andn2_b32 s16, s16, exec_lo
	s_and_b32 s23, s23, exec_lo
	s_or_b32 s16, s16, s23
	s_or_b32 exec_lo, exec_lo, s22
	s_and_saveexec_b32 s22, s16
	s_cbranch_execnz .LBB6_16751
	s_branch .LBB6_16752
.LBB6_17062:                            ;   in Loop: Header=BB6_15804 Depth=3
	s_or_saveexec_b32 s16, s16
	v_mov_b32_e32 v70, 0x7f800001
	s_xor_b32 exec_lo, exec_lo, s16
	s_cbranch_execz .LBB6_16764
.LBB6_17063:                            ;   in Loop: Header=BB6_15804 Depth=3
	v_cmp_ne_u16_sdwa s23, v25, v2 src0_sel:BYTE_0 src1_sel:DWORD
	v_mov_b32_e32 v70, 0
	s_andn2_b32 s22, s22, exec_lo
	s_and_b32 s23, s23, exec_lo
	s_or_b32 s22, s22, s23
	s_or_b32 exec_lo, exec_lo, s16
	s_and_saveexec_b32 s16, s22
	s_cbranch_execnz .LBB6_16765
	s_branch .LBB6_16766
.LBB6_17064:                            ;   in Loop: Header=BB6_15804 Depth=3
	s_or_saveexec_b32 s22, s22
	v_mov_b32_e32 v25, 0x7f800001
	s_xor_b32 exec_lo, exec_lo, s22
	s_cbranch_execz .LBB6_16770
.LBB6_17065:                            ;   in Loop: Header=BB6_15804 Depth=3
	v_cmp_ne_u16_sdwa s23, v54, v2 src0_sel:BYTE_0 src1_sel:DWORD
	v_mov_b32_e32 v25, 0
	s_andn2_b32 s16, s16, exec_lo
	s_and_b32 s23, s23, exec_lo
	s_or_b32 s16, s16, s23
	s_or_b32 exec_lo, exec_lo, s22
	s_and_saveexec_b32 s22, s16
	s_cbranch_execnz .LBB6_16771
	s_branch .LBB6_16772
.LBB6_17066:                            ;   in Loop: Header=BB6_15804 Depth=3
	s_or_saveexec_b32 s16, s16
	v_mov_b32_e32 v54, 0x7f800001
	s_xor_b32 exec_lo, exec_lo, s16
	s_cbranch_execz .LBB6_16784
.LBB6_17067:                            ;   in Loop: Header=BB6_15804 Depth=3
	v_cmp_ne_u16_sdwa s23, v24, v2 src0_sel:BYTE_0 src1_sel:DWORD
	v_mov_b32_e32 v54, 0
	s_andn2_b32 s22, s22, exec_lo
	s_and_b32 s23, s23, exec_lo
	s_or_b32 s22, s22, s23
	s_or_b32 exec_lo, exec_lo, s16
	s_and_saveexec_b32 s16, s22
	s_cbranch_execnz .LBB6_16785
	s_branch .LBB6_16786
.LBB6_17068:                            ;   in Loop: Header=BB6_15804 Depth=3
	s_or_saveexec_b32 s22, s22
	v_mov_b32_e32 v24, 0x7f800001
	s_xor_b32 exec_lo, exec_lo, s22
	s_cbranch_execz .LBB6_16790
.LBB6_17069:                            ;   in Loop: Header=BB6_15804 Depth=3
	v_cmp_ne_u16_sdwa s23, v50, v2 src0_sel:BYTE_0 src1_sel:DWORD
	v_mov_b32_e32 v24, 0
	s_andn2_b32 s16, s16, exec_lo
	s_and_b32 s23, s23, exec_lo
	s_or_b32 s16, s16, s23
	s_or_b32 exec_lo, exec_lo, s22
	s_and_saveexec_b32 s22, s16
	s_cbranch_execnz .LBB6_16791
	s_branch .LBB6_16792
.LBB6_17070:                            ;   in Loop: Header=BB6_15804 Depth=3
	s_or_saveexec_b32 s22, s22
	v_mov_b32_e32 v50, 0x7f800001
	s_xor_b32 exec_lo, exec_lo, s22
	s_cbranch_execz .LBB6_16804
.LBB6_17071:                            ;   in Loop: Header=BB6_15804 Depth=3
	v_cmp_ne_u16_sdwa s23, v21, v2 src0_sel:BYTE_0 src1_sel:DWORD
	v_mov_b32_e32 v50, 0
	s_andn2_b32 s16, s16, exec_lo
	s_and_b32 s23, s23, exec_lo
	s_or_b32 s16, s16, s23
	s_or_b32 exec_lo, exec_lo, s22
	s_and_saveexec_b32 s22, s16
	s_cbranch_execnz .LBB6_16805
	s_branch .LBB6_16806
.LBB6_17072:                            ;   in Loop: Header=BB6_15804 Depth=3
	s_or_saveexec_b32 s22, s22
	v_mov_b32_e32 v21, 0x7f800001
	s_xor_b32 exec_lo, exec_lo, s22
	s_cbranch_execz .LBB6_16810
.LBB6_17073:                            ;   in Loop: Header=BB6_15804 Depth=3
	v_cmp_ne_u16_sdwa s23, v30, v2 src0_sel:BYTE_0 src1_sel:DWORD
	v_mov_b32_e32 v21, 0
	s_andn2_b32 s16, s16, exec_lo
	s_and_b32 s23, s23, exec_lo
	s_or_b32 s16, s16, s23
	s_or_b32 exec_lo, exec_lo, s22
	s_and_saveexec_b32 s22, s16
	s_cbranch_execnz .LBB6_16811
	s_branch .LBB6_16812
.LBB6_17074:                            ;   in Loop: Header=BB6_15804 Depth=3
	s_or_saveexec_b32 s22, s22
	v_mov_b32_e32 v30, 0x7f800001
	s_xor_b32 exec_lo, exec_lo, s22
	s_cbranch_execz .LBB6_16824
.LBB6_17075:                            ;   in Loop: Header=BB6_15804 Depth=3
	v_cmp_ne_u16_sdwa s23, v20, v2 src0_sel:BYTE_0 src1_sel:DWORD
	v_mov_b32_e32 v30, 0
	s_andn2_b32 s16, s16, exec_lo
	s_and_b32 s23, s23, exec_lo
	s_or_b32 s16, s16, s23
	s_or_b32 exec_lo, exec_lo, s22
	s_and_saveexec_b32 s22, s16
	s_cbranch_execnz .LBB6_16825
	s_branch .LBB6_16826
.LBB6_17076:                            ;   in Loop: Header=BB6_15804 Depth=3
	s_or_saveexec_b32 s22, s22
	v_mov_b32_e32 v20, 0x7f800001
	s_xor_b32 exec_lo, exec_lo, s22
	s_cbranch_execz .LBB6_16830
.LBB6_17077:                            ;   in Loop: Header=BB6_15804 Depth=3
	v_cmp_ne_u16_sdwa s23, v26, v2 src0_sel:BYTE_0 src1_sel:DWORD
	v_mov_b32_e32 v20, 0
	s_andn2_b32 s16, s16, exec_lo
	s_and_b32 s23, s23, exec_lo
	s_or_b32 s16, s16, s23
	s_or_b32 exec_lo, exec_lo, s22
	s_and_saveexec_b32 s22, s16
	s_cbranch_execnz .LBB6_16831
	s_branch .LBB6_16832
.LBB6_17078:                            ;   in Loop: Header=BB6_15804 Depth=3
	s_or_saveexec_b32 s22, s22
	v_mov_b32_e32 v26, 0x7f800001
	s_xor_b32 exec_lo, exec_lo, s22
	s_cbranch_execz .LBB6_16844
.LBB6_17079:                            ;   in Loop: Header=BB6_15804 Depth=3
	v_cmp_ne_u16_sdwa s23, v15, v2 src0_sel:BYTE_0 src1_sel:DWORD
	v_mov_b32_e32 v26, 0
	s_andn2_b32 s16, s16, exec_lo
	s_and_b32 s23, s23, exec_lo
	s_or_b32 s16, s16, s23
	s_or_b32 exec_lo, exec_lo, s22
	s_and_saveexec_b32 s22, s16
	s_cbranch_execnz .LBB6_16845
	s_branch .LBB6_16846
.LBB6_17080:                            ;   in Loop: Header=BB6_15804 Depth=3
	s_or_saveexec_b32 s22, s22
	v_mov_b32_e32 v15, 0x7f800001
	s_xor_b32 exec_lo, exec_lo, s22
	s_cbranch_execz .LBB6_16850
.LBB6_17081:                            ;   in Loop: Header=BB6_15804 Depth=3
	v_cmp_ne_u16_sdwa s23, v23, v2 src0_sel:BYTE_0 src1_sel:DWORD
	v_mov_b32_e32 v15, 0
	s_andn2_b32 s16, s16, exec_lo
	s_and_b32 s23, s23, exec_lo
	s_or_b32 s16, s16, s23
	s_or_b32 exec_lo, exec_lo, s22
	s_and_saveexec_b32 s22, s16
	s_cbranch_execnz .LBB6_16851
	s_branch .LBB6_16852
.LBB6_17082:                            ;   in Loop: Header=BB6_15804 Depth=3
	s_or_saveexec_b32 s22, s22
	v_mov_b32_e32 v23, 0x7f800001
	s_xor_b32 exec_lo, exec_lo, s22
	s_cbranch_execz .LBB6_16864
.LBB6_17083:                            ;   in Loop: Header=BB6_15804 Depth=3
	v_cmp_ne_u16_sdwa s23, v14, v2 src0_sel:BYTE_0 src1_sel:DWORD
	v_mov_b32_e32 v23, 0
	s_andn2_b32 s16, s16, exec_lo
	s_and_b32 s23, s23, exec_lo
	s_or_b32 s16, s16, s23
	s_or_b32 exec_lo, exec_lo, s22
	s_and_saveexec_b32 s22, s16
	s_cbranch_execnz .LBB6_16865
	s_branch .LBB6_16866
.LBB6_17084:                            ;   in Loop: Header=BB6_15804 Depth=3
	s_or_saveexec_b32 s22, s22
	v_mov_b32_e32 v14, 0x7f800001
	s_xor_b32 exec_lo, exec_lo, s22
	s_cbranch_execz .LBB6_16870
.LBB6_17085:                            ;   in Loop: Header=BB6_15804 Depth=3
	v_cmp_ne_u16_sdwa s23, v19, v2 src0_sel:BYTE_0 src1_sel:DWORD
	v_mov_b32_e32 v14, 0
	s_andn2_b32 s16, s16, exec_lo
	s_and_b32 s23, s23, exec_lo
	s_or_b32 s16, s16, s23
	s_or_b32 exec_lo, exec_lo, s22
	s_and_saveexec_b32 s22, s16
	s_cbranch_execnz .LBB6_16871
	s_branch .LBB6_16872
.LBB6_17086:                            ;   in Loop: Header=BB6_15804 Depth=3
	s_or_saveexec_b32 s22, s22
	v_mov_b32_e32 v19, 0x7f800001
	s_xor_b32 exec_lo, exec_lo, s22
	s_cbranch_execz .LBB6_16884
.LBB6_17087:                            ;   in Loop: Header=BB6_15804 Depth=3
	v_cmp_ne_u16_sdwa s23, v7, v2 src0_sel:BYTE_0 src1_sel:DWORD
	v_mov_b32_e32 v19, 0
	s_andn2_b32 s16, s16, exec_lo
	s_and_b32 s23, s23, exec_lo
	s_or_b32 s16, s16, s23
	s_or_b32 exec_lo, exec_lo, s22
	s_and_saveexec_b32 s22, s16
	s_cbranch_execnz .LBB6_16885
	s_branch .LBB6_16886
.LBB6_17088:                            ;   in Loop: Header=BB6_15804 Depth=3
	s_or_saveexec_b32 s22, s22
	v_mov_b32_e32 v7, 0x7f800001
	s_xor_b32 exec_lo, exec_lo, s22
	s_cbranch_execz .LBB6_16890
.LBB6_17089:                            ;   in Loop: Header=BB6_15804 Depth=3
	v_cmp_ne_u16_sdwa s23, v6, v2 src0_sel:BYTE_0 src1_sel:DWORD
	v_mov_b32_e32 v7, 0
	s_andn2_b32 s16, s16, exec_lo
	s_and_b32 s23, s23, exec_lo
	s_or_b32 s16, s16, s23
	s_or_b32 exec_lo, exec_lo, s22
	s_and_saveexec_b32 s22, s16
	s_cbranch_execnz .LBB6_16891
	s_branch .LBB6_16892
.LBB6_17090:                            ;   in Loop: Header=BB6_7909 Depth=2
	s_or_b32 exec_lo, exec_lo, s19
.LBB6_17091:                            ;   in Loop: Header=BB6_7909 Depth=2
	s_or_b32 exec_lo, exec_lo, s18
	v_lshlrev_b32_e32 v6, 10, v17
	v_cmp_ne_u32_e32 vcc_lo, v1, v6
	s_and_b32 exec_lo, exec_lo, vcc_lo
	s_cbranch_execz .LBB6_17143
; %bb.17092:                            ;   in Loop: Header=BB6_7909 Depth=2
	v_lshlrev_b32_e32 v5, 5, v5
	v_sub_nc_u32_e32 v4, v4, v5
	v_lshlrev_b32_e32 v5, 5, v16
	v_sub_nc_u32_e32 v4, v4, v5
	v_add_nc_u32_e32 v4, v6, v4
	v_sub_nc_u32_e32 v1, v1, v4
	v_cmp_lt_i32_e32 vcc_lo, 0, v1
	s_and_b32 exec_lo, exec_lo, vcc_lo
	s_cbranch_execz .LBB6_17143
; %bb.17093:                            ;   in Loop: Header=BB6_7909 Depth=2
	s_trap 2
	ds_read_b128 v[8:11], v0
	ds_read_b64 v[5:6], v0
	v_add_nc_u32_e32 v0, v4, v0
	s_mov_b32 s18, 0
	v_ashrrev_i32_e32 v4, 31, v0
	s_waitcnt lgkmcnt(1)
	v_add_co_u32 v8, vcc_lo, v8, v0
	v_add_co_ci_u32_e64 v9, null, v9, v4, vcc_lo
	v_add_co_u32 v10, vcc_lo, v10, v0
	v_add_co_ci_u32_e64 v11, null, v11, v4, vcc_lo
	s_waitcnt lgkmcnt(0)
	v_add_co_u32 v12, vcc_lo, v5, v0
	v_add_co_ci_u32_e64 v13, null, v6, v4, vcc_lo
	s_branch .LBB6_17097
.LBB6_17094:                            ;   in Loop: Header=BB6_17097 Depth=3
	s_or_b32 exec_lo, exec_lo, s16
	v_lshrrev_b32_e32 v5, 21, v5
	v_cmp_gt_i32_e32 vcc_lo, 32, v4
	v_min_i32_e32 v6, 31, v4
	v_and_b32_sdwa v0, v0, v117 dst_sel:DWORD dst_unused:UNUSED_PAD src0_sel:BYTE_3 src1_sel:DWORD
	v_cndmask_b32_e32 v5, 3, v5, vcc_lo
	v_lshlrev_b32_e32 v6, 2, v6
	v_and_b32_e32 v7, 3, v5
	v_or_b32_e32 v4, v4, v5
	v_or3_b32 v0, v6, v0, v7
	v_cmp_ne_u32_e32 vcc_lo, 0, v4
	v_cndmask_b32_e32 v4, 0, v0, vcc_lo
.LBB6_17095:                            ;   in Loop: Header=BB6_17097 Depth=3
	s_or_b32 exec_lo, exec_lo, s22
.LBB6_17096:                            ;   in Loop: Header=BB6_17097 Depth=3
	s_or_b32 exec_lo, exec_lo, s19
	v_sub_nc_u32_e32 v1, v1, v114
	v_add_co_u32 v8, vcc_lo, v8, v114
	v_add_co_ci_u32_e64 v9, null, 0, v9, vcc_lo
	v_add_co_u32 v10, vcc_lo, v10, v114
	flat_store_byte v[12:13], v4 glc slc
	v_add_co_ci_u32_e64 v11, null, 0, v11, vcc_lo
	v_cmp_gt_i32_e32 vcc_lo, 1, v1
	v_add_co_u32 v12, s16, v12, v114
	v_add_co_ci_u32_e64 v13, null, 0, v13, s16
	s_or_b32 s18, vcc_lo, s18
	s_andn2_b32 exec_lo, exec_lo, s18
	s_cbranch_execz .LBB6_17143
.LBB6_17097:                            ;   Parent Loop BB6_47 Depth=1
                                        ;     Parent Loop BB6_7909 Depth=2
                                        ; =>    This Inner Loop Header: Depth=3
	s_trap 2
	ds_read_b64 v[14:15], v0
	s_waitcnt lgkmcnt(0)
	v_readfirstlane_b32 s16, v14
	s_and_b32 s19, s16, 0xff
	s_cmpk_lt_i32 s19, 0x80
	s_cbranch_scc1 .LBB6_17101
; %bb.17098:                            ;   in Loop: Header=BB6_17097 Depth=3
	s_and_b32 s22, 0xffff, s19
	s_cmpk_eq_i32 s22, 0x80
	s_mov_b32 s22, -1
	s_cbranch_scc0 .LBB6_17100
; %bb.17099:                            ;   in Loop: Header=BB6_17097 Depth=3
	s_mov_b32 s22, 0
.LBB6_17100:                            ;   in Loop: Header=BB6_17097 Depth=3
	s_mov_b32 s23, 0x7f800001
	s_branch .LBB6_17103
.LBB6_17101:                            ;   in Loop: Header=BB6_17097 Depth=3
	s_mov_b32 s22, 0
	s_mov_b32 s23, 0x7f800001
	s_cbranch_execz .LBB6_17103
; %bb.17102:                            ;   in Loop: Header=BB6_17097 Depth=3
	s_and_b32 s19, 0xffff, s19
	s_mov_b32 s23, 0
	s_cmp_lg_u32 s19, 0
	s_cselect_b32 s22, -1, 0
.LBB6_17103:                            ;   in Loop: Header=BB6_17097 Depth=3
	v_mov_b32_e32 v0, s23
	s_andn2_b32 vcc_lo, exec_lo, s22
	s_cbranch_vccnz .LBB6_17105
; %bb.17104:                            ;   in Loop: Header=BB6_17097 Depth=3
	s_and_b32 s19, s16, 3
	s_bfe_u32 s23, s16, 0x50002
	s_flbit_i32_b32 s22, s19
	v_lshlrev_b32_e32 v0, 24, v14
	s_min_u32 s22, s22, 32
	s_sub_i32 s72, s22, 29
	s_sub_i32 s22, 30, s22
	s_lshl_b32 s16, s16, s72
	v_and_b32_e32 v0, 0x80000000, v0
	s_and_b32 s16, s16, 3
	s_cmp_eq_u32 s23, 0
	s_cselect_b32 s22, s22, s23
	s_cselect_b32 s16, s16, s19
	s_lshl_b32 s19, s22, 23
	s_lshl_b32 s16, s16, 21
	s_add_i32 s19, s19, 0x37800000
	v_or_b32_e32 v0, s19, v0
	v_or_b32_e32 v0, s16, v0
.LBB6_17105:                            ;   in Loop: Header=BB6_17097 Depth=3
	flat_load_ubyte v4, v[8:9] slc
	s_mov_b32 s16, 0
	s_mov_b32 s19, exec_lo
	s_waitcnt vmcnt(0) lgkmcnt(0)
	v_cmpx_lt_i16_e32 0x7f, v4
	s_xor_b32 s19, exec_lo, s19
	s_cbranch_execz .LBB6_17137
; %bb.17106:                            ;   in Loop: Header=BB6_17097 Depth=3
	s_mov_b32 s16, -1
	s_mov_b32 s22, exec_lo
	v_cmpx_eq_u16_e32 0x80, v4
; %bb.17107:                            ;   in Loop: Header=BB6_17097 Depth=3
	s_xor_b32 s16, exec_lo, -1
; %bb.17108:                            ;   in Loop: Header=BB6_17097 Depth=3
	s_or_b32 exec_lo, exec_lo, s22
	s_and_b32 s16, s16, exec_lo
	s_or_saveexec_b32 s19, s19
	v_mov_b32_e32 v5, 0x7f800001
	s_xor_b32 exec_lo, exec_lo, s19
	s_cbranch_execnz .LBB6_17138
.LBB6_17109:                            ;   in Loop: Header=BB6_17097 Depth=3
	s_or_b32 exec_lo, exec_lo, s19
	s_and_saveexec_b32 s19, s16
	s_cbranch_execz .LBB6_17111
.LBB6_17110:                            ;   in Loop: Header=BB6_17097 Depth=3
	v_and_b32_e32 v5, 0xffff, v4
	v_lshlrev_b32_e32 v4, 24, v4
	v_and_b32_e32 v6, 3, v5
	v_bfe_u32 v15, v5, 2, 5
	v_and_b32_e32 v4, 0x80000000, v4
	v_ffbh_u32_e32 v7, v6
	v_cmp_eq_u32_e32 vcc_lo, 0, v15
	v_min_u32_e32 v7, 32, v7
	v_subrev_nc_u32_e32 v14, 29, v7
	v_sub_nc_u32_e32 v7, 30, v7
	v_lshlrev_b32_e32 v5, v14, v5
	v_cndmask_b32_e32 v7, v15, v7, vcc_lo
	v_and_b32_e32 v5, 3, v5
	v_cndmask_b32_e32 v5, v6, v5, vcc_lo
	v_lshl_add_u32 v6, v7, 23, 0x37800000
	v_lshlrev_b32_e32 v5, 21, v5
	v_or3_b32 v5, v4, v6, v5
.LBB6_17111:                            ;   in Loop: Header=BB6_17097 Depth=3
	s_or_b32 exec_lo, exec_lo, s19
	v_mul_f32_e32 v0, v0, v5
	v_mov_b32_e32 v5, 0x80
	s_mov_b32 s19, exec_lo
	v_and_b32_e32 v4, 0x7f800000, v0
	v_cmpx_ne_u32_e32 0x7f800000, v4
	s_cbranch_execz .LBB6_17119
; %bb.17112:                            ;   in Loop: Header=BB6_17097 Depth=3
	v_mov_b32_e32 v5, 0
	s_mov_b32 s22, exec_lo
	v_cmpx_ne_u32_e32 0, v0
	s_cbranch_execz .LBB6_17118
; %bb.17113:                            ;   in Loop: Header=BB6_17097 Depth=3
	v_bfe_u32 v4, v0, 23, 8
	v_and_b32_e32 v5, 0x7fffff, v0
	v_sub_nc_u32_e32 v6, 0x70, v4
	v_cmp_gt_u32_e32 vcc_lo, 0x71, v4
	v_or_b32_e32 v7, 0x800000, v5
	v_cndmask_b32_e32 v6, 0, v6, vcc_lo
	v_cmp_eq_u32_e32 vcc_lo, 0, v4
	v_add_nc_u32_e32 v4, 0xffffff91, v4
	v_cndmask_b32_e64 v6, v6, 0x6f, vcc_lo
	v_cndmask_b32_e32 v5, v7, v5, vcc_lo
	v_cndmask_b32_e64 v4, v4, 0xffffff92, vcc_lo
	v_lshl_add_u32 v7, 0x200000, v6, -1
	v_lshrrev_b32_e32 v14, v6, v5
	v_lshlrev_b32_e64 v16, v6, 0x100000
	v_add_nc_u32_e32 v6, v6, v4
	v_and_b32_e32 v5, v7, v5
	v_bfe_u32 v15, v14, 21, 1
	v_cmp_eq_u32_e64 s16, v5, v16
	v_add_nc_u32_e32 v7, -1, v15
	v_cndmask_b32_e64 v5, 0, v7, s16
	v_lshrrev_b32_e32 v7, 23, v14
	s_mov_b32 s16, exec_lo
	v_add_nc_u32_e32 v5, v5, v14
	v_xor_b32_e32 v7, 1, v7
	v_and_b32_e32 v4, 0x1fffff, v5
	v_add_nc_u32_e32 v5, v4, v14
                                        ; implicit-def: $vgpr4
	v_cmpx_ne_u32_e64 v6, v7
	s_xor_b32 s16, exec_lo, s16
; %bb.17114:                            ;   in Loop: Header=BB6_17097 Depth=3
	v_cmp_lt_u32_e32 vcc_lo, 0xffffff, v5
	v_sub_nc_u32_e32 v4, v6, v7
	v_cndmask_b32_e64 v6, 0, 1, vcc_lo
	v_add_co_ci_u32_e64 v4, null, 0, v4, vcc_lo
	v_lshrrev_b32_e32 v5, v6, v5
; %bb.17115:                            ;   in Loop: Header=BB6_17097 Depth=3
	s_andn2_saveexec_b32 s16, s16
; %bb.17116:                            ;   in Loop: Header=BB6_17097 Depth=3
	v_bfe_u32 v4, v5, 23, 1
; %bb.17117:                            ;   in Loop: Header=BB6_17097 Depth=3
	s_or_b32 exec_lo, exec_lo, s16
	v_lshrrev_b32_e32 v5, 21, v5
	v_cmp_gt_i32_e32 vcc_lo, 32, v4
	v_min_i32_e32 v6, 31, v4
	v_and_b32_sdwa v0, v0, v117 dst_sel:DWORD dst_unused:UNUSED_PAD src0_sel:BYTE_3 src1_sel:DWORD
	v_cndmask_b32_e32 v5, 3, v5, vcc_lo
	v_lshlrev_b32_e32 v6, 2, v6
	v_and_b32_e32 v7, 3, v5
	v_or_b32_e32 v4, v4, v5
	v_or3_b32 v0, v6, v0, v7
	v_cmp_ne_u32_e32 vcc_lo, 0, v4
	v_cndmask_b32_e32 v5, 0, v0, vcc_lo
.LBB6_17118:                            ;   in Loop: Header=BB6_17097 Depth=3
	s_or_b32 exec_lo, exec_lo, s22
.LBB6_17119:                            ;   in Loop: Header=BB6_17097 Depth=3
	s_or_b32 exec_lo, exec_lo, s19
	flat_load_ubyte v0, v[10:11] slc
	v_cmp_gt_i16_sdwa s19, v5, v116 src0_sel:BYTE_0 src1_sel:DWORD
	s_mov_b32 s16, 0
	s_and_saveexec_b32 s22, s19
	s_xor_b32 s19, exec_lo, s22
	s_cbranch_execz .LBB6_17139
; %bb.17120:                            ;   in Loop: Header=BB6_17097 Depth=3
	v_cmp_eq_u16_sdwa s23, v5, v117 src0_sel:BYTE_0 src1_sel:DWORD
	s_mov_b32 s16, -1
	s_and_saveexec_b32 s22, s23
; %bb.17121:                            ;   in Loop: Header=BB6_17097 Depth=3
	s_xor_b32 s16, exec_lo, -1
; %bb.17122:                            ;   in Loop: Header=BB6_17097 Depth=3
	s_or_b32 exec_lo, exec_lo, s22
	s_and_b32 s16, s16, exec_lo
	s_or_saveexec_b32 s19, s19
	v_mov_b32_e32 v4, 0x7f800001
	s_xor_b32 exec_lo, exec_lo, s19
	s_cbranch_execnz .LBB6_17140
.LBB6_17123:                            ;   in Loop: Header=BB6_17097 Depth=3
	s_or_b32 exec_lo, exec_lo, s19
	s_and_saveexec_b32 s19, s16
	s_cbranch_execz .LBB6_17125
.LBB6_17124:                            ;   in Loop: Header=BB6_17097 Depth=3
	v_and_b32_e32 v4, 3, v5
	v_lshrrev_b16 v7, 2, v5
	v_ffbh_u32_e32 v6, v4
	v_and_b32_e32 v7, 31, v7
	v_min_u32_e32 v6, 32, v6
	v_cmp_eq_u32_e32 vcc_lo, 0, v7
	v_subrev_nc_u32_e32 v14, 29, v6
	v_sub_nc_u32_e32 v6, 30, v6
	v_lshlrev_b32_e32 v14, v14, v5
	v_lshlrev_b32_e32 v5, 24, v5
	v_cndmask_b32_e32 v6, v7, v6, vcc_lo
	v_and_b32_e32 v14, 3, v14
	v_and_b32_e32 v5, 0x80000000, v5
	v_lshl_add_u32 v6, v6, 23, 0x37800000
	v_cndmask_b32_e32 v4, v4, v14, vcc_lo
	v_lshlrev_b32_e32 v4, 21, v4
	v_or3_b32 v4, v5, v6, v4
.LBB6_17125:                            ;   in Loop: Header=BB6_17097 Depth=3
	s_or_b32 exec_lo, exec_lo, s19
	s_waitcnt vmcnt(0) lgkmcnt(0)
	v_cmp_gt_i16_sdwa s19, v0, v116 src0_sel:BYTE_0 src1_sel:DWORD
	s_mov_b32 s16, 0
	s_and_saveexec_b32 s22, s19
	s_xor_b32 s19, exec_lo, s22
	s_cbranch_execz .LBB6_17141
; %bb.17126:                            ;   in Loop: Header=BB6_17097 Depth=3
	v_cmp_eq_u16_sdwa s23, v0, v117 src0_sel:BYTE_0 src1_sel:DWORD
	s_mov_b32 s16, -1
	s_and_saveexec_b32 s22, s23
; %bb.17127:                            ;   in Loop: Header=BB6_17097 Depth=3
	s_xor_b32 s16, exec_lo, -1
; %bb.17128:                            ;   in Loop: Header=BB6_17097 Depth=3
	s_or_b32 exec_lo, exec_lo, s22
	s_and_b32 s16, s16, exec_lo
	s_or_saveexec_b32 s19, s19
	v_mov_b32_e32 v5, 0x7f800001
	s_xor_b32 exec_lo, exec_lo, s19
	s_cbranch_execnz .LBB6_17142
.LBB6_17129:                            ;   in Loop: Header=BB6_17097 Depth=3
	s_or_b32 exec_lo, exec_lo, s19
	s_and_saveexec_b32 s19, s16
	s_cbranch_execz .LBB6_17131
.LBB6_17130:                            ;   in Loop: Header=BB6_17097 Depth=3
	v_and_b32_e32 v5, 3, v0
	v_lshrrev_b16 v7, 2, v0
	v_ffbh_u32_e32 v6, v5
	v_and_b32_e32 v7, 31, v7
	v_min_u32_e32 v6, 32, v6
	v_cmp_eq_u32_e32 vcc_lo, 0, v7
	v_subrev_nc_u32_e32 v14, 29, v6
	v_sub_nc_u32_e32 v6, 30, v6
	v_lshlrev_b32_e32 v14, v14, v0
	v_lshlrev_b32_e32 v0, 24, v0
	v_cndmask_b32_e32 v6, v7, v6, vcc_lo
	v_and_b32_e32 v14, 3, v14
	v_and_b32_e32 v0, 0x80000000, v0
	v_lshl_add_u32 v6, v6, 23, 0x37800000
	v_cndmask_b32_e32 v5, v5, v14, vcc_lo
	v_lshlrev_b32_e32 v5, 21, v5
	v_or3_b32 v5, v0, v6, v5
.LBB6_17131:                            ;   in Loop: Header=BB6_17097 Depth=3
	s_or_b32 exec_lo, exec_lo, s19
	v_add_f32_e32 v0, v4, v5
	v_and_b32_e32 v4, 0x7f800000, v0
	v_cmp_ne_u32_e32 vcc_lo, 0x7f800000, v4
	v_mov_b32_e32 v4, 0x80
	s_and_saveexec_b32 s19, vcc_lo
	s_cbranch_execz .LBB6_17096
; %bb.17132:                            ;   in Loop: Header=BB6_17097 Depth=3
	v_mov_b32_e32 v4, 0
	s_mov_b32 s22, exec_lo
	v_cmpx_ne_u32_e32 0, v0
	s_cbranch_execz .LBB6_17095
; %bb.17133:                            ;   in Loop: Header=BB6_17097 Depth=3
	v_bfe_u32 v4, v0, 23, 8
	v_and_b32_e32 v5, 0x7fffff, v0
	v_sub_nc_u32_e32 v6, 0x70, v4
	v_cmp_gt_u32_e32 vcc_lo, 0x71, v4
	v_or_b32_e32 v7, 0x800000, v5
	v_cndmask_b32_e32 v6, 0, v6, vcc_lo
	v_cmp_eq_u32_e32 vcc_lo, 0, v4
	v_add_nc_u32_e32 v4, 0xffffff91, v4
	v_cndmask_b32_e64 v6, v6, 0x6f, vcc_lo
	v_cndmask_b32_e32 v5, v7, v5, vcc_lo
	v_cndmask_b32_e64 v4, v4, 0xffffff92, vcc_lo
	v_lshl_add_u32 v7, 0x200000, v6, -1
	v_lshrrev_b32_e32 v14, v6, v5
	v_lshlrev_b32_e64 v16, v6, 0x100000
	v_add_nc_u32_e32 v6, v6, v4
	v_and_b32_e32 v5, v7, v5
	v_bfe_u32 v15, v14, 21, 1
	v_cmp_eq_u32_e64 s16, v5, v16
	v_add_nc_u32_e32 v7, -1, v15
	v_cndmask_b32_e64 v5, 0, v7, s16
	v_lshrrev_b32_e32 v7, 23, v14
	s_mov_b32 s16, exec_lo
	v_add_nc_u32_e32 v5, v5, v14
	v_xor_b32_e32 v7, 1, v7
	v_and_b32_e32 v4, 0x1fffff, v5
	v_add_nc_u32_e32 v5, v4, v14
                                        ; implicit-def: $vgpr4
	v_cmpx_ne_u32_e64 v6, v7
	s_xor_b32 s16, exec_lo, s16
; %bb.17134:                            ;   in Loop: Header=BB6_17097 Depth=3
	v_cmp_lt_u32_e32 vcc_lo, 0xffffff, v5
	v_sub_nc_u32_e32 v4, v6, v7
	v_cndmask_b32_e64 v6, 0, 1, vcc_lo
	v_add_co_ci_u32_e64 v4, null, 0, v4, vcc_lo
	v_lshrrev_b32_e32 v5, v6, v5
; %bb.17135:                            ;   in Loop: Header=BB6_17097 Depth=3
	s_andn2_saveexec_b32 s16, s16
	s_cbranch_execz .LBB6_17094
; %bb.17136:                            ;   in Loop: Header=BB6_17097 Depth=3
	v_bfe_u32 v4, v5, 23, 1
	s_branch .LBB6_17094
.LBB6_17137:                            ;   in Loop: Header=BB6_17097 Depth=3
	s_or_saveexec_b32 s19, s19
	v_mov_b32_e32 v5, 0x7f800001
	s_xor_b32 exec_lo, exec_lo, s19
	s_cbranch_execz .LBB6_17109
.LBB6_17138:                            ;   in Loop: Header=BB6_17097 Depth=3
	v_cmp_ne_u16_e32 vcc_lo, 0, v4
	v_mov_b32_e32 v5, 0
	s_andn2_b32 s16, s16, exec_lo
	s_and_b32 s22, vcc_lo, exec_lo
	s_or_b32 s16, s16, s22
	s_or_b32 exec_lo, exec_lo, s19
	s_and_saveexec_b32 s19, s16
	s_cbranch_execnz .LBB6_17110
	s_branch .LBB6_17111
.LBB6_17139:                            ;   in Loop: Header=BB6_17097 Depth=3
	s_or_saveexec_b32 s19, s19
	v_mov_b32_e32 v4, 0x7f800001
	s_xor_b32 exec_lo, exec_lo, s19
	s_cbranch_execz .LBB6_17123
.LBB6_17140:                            ;   in Loop: Header=BB6_17097 Depth=3
	v_cmp_ne_u16_sdwa s22, v5, v2 src0_sel:BYTE_0 src1_sel:DWORD
	v_mov_b32_e32 v4, 0
	s_andn2_b32 s16, s16, exec_lo
	s_and_b32 s22, s22, exec_lo
	s_or_b32 s16, s16, s22
	s_or_b32 exec_lo, exec_lo, s19
	s_and_saveexec_b32 s19, s16
	s_cbranch_execnz .LBB6_17124
	s_branch .LBB6_17125
.LBB6_17141:                            ;   in Loop: Header=BB6_17097 Depth=3
	s_or_saveexec_b32 s19, s19
	v_mov_b32_e32 v5, 0x7f800001
	s_xor_b32 exec_lo, exec_lo, s19
	s_cbranch_execz .LBB6_17129
.LBB6_17142:                            ;   in Loop: Header=BB6_17097 Depth=3
	v_cmp_ne_u16_sdwa s22, v0, v2 src0_sel:BYTE_0 src1_sel:DWORD
	v_mov_b32_e32 v5, 0
	s_andn2_b32 s16, s16, exec_lo
	s_and_b32 s22, s22, exec_lo
	s_or_b32 s16, s16, s22
	s_or_b32 exec_lo, exec_lo, s19
	s_and_saveexec_b32 s19, s16
	s_cbranch_execnz .LBB6_17130
	s_branch .LBB6_17131
.LBB6_17143:                            ;   in Loop: Header=BB6_7909 Depth=2
	s_or_b32 exec_lo, exec_lo, s17
.LBB6_17144:                            ;   in Loop: Header=BB6_7909 Depth=2
	buffer_load_dword v0, off, s[0:3], s33 offset:260 ; 4-byte Folded Reload
	s_waitcnt vmcnt(0)
	v_cmp_lt_i32_e64 s16, 0, v0
	s_and_saveexec_b32 s17, s6
	s_cbranch_execnz .LBB6_17145
; %bb.17823:                            ;   in Loop: Header=BB6_7909 Depth=2
	s_getpc_b64 s[34:35]
.Lpost_getpc49:
	s_add_u32 s34, s34, (.LBB6_7985-.Lpost_getpc49)&4294967295
	s_addc_u32 s35, s35, (.LBB6_7985-.Lpost_getpc49)>>32
	s_setpc_b64 s[34:35]
.LBB6_17145:                            ;   in Loop: Header=BB6_7909 Depth=2
	s_and_saveexec_b32 s18, s29
	s_xor_b32 s18, exec_lo, s18
	s_cbranch_execz .LBB6_17160
; %bb.17146:                            ;   in Loop: Header=BB6_7909 Depth=2
	s_and_saveexec_b32 s19, s11
	s_cbranch_execz .LBB6_17159
; %bb.17147:                            ;   in Loop: Header=BB6_7909 Depth=2
	s_mov_b32 s23, exec_lo
	s_mov_b32 s22, exec_lo
	v_mbcnt_lo_u32_b32 v0, s23, 0
	s_waitcnt vmcnt(0) lgkmcnt(0)
	s_waitcnt_vscnt null, 0x0
	buffer_gl1_inv
	buffer_gl0_inv
	v_cmpx_eq_u32_e32 0, v0
	s_cbranch_execz .LBB6_17149
; %bb.17148:                            ;   in Loop: Header=BB6_7909 Depth=2
	s_bcnt1_i32_b32 s23, s23
	v_mov_b32_e32 v1, v2
	v_mov_b32_e32 v0, s23
	ds_add_u64 v0, v[0:1]
	s_trap 2
.LBB6_17149:                            ;   in Loop: Header=BB6_7909 Depth=2
	s_or_b32 exec_lo, exec_lo, s22
	s_trap 2
	ds_read_b64 v[0:1], v0
	s_waitcnt lgkmcnt(0)
	buffer_gl0_inv
	v_add_co_u32 v38, vcc_lo, v38, v103
	v_add_co_ci_u32_e64 v39, null, 0, v39, vcc_lo
	s_mov_b32 s22, exec_lo
	v_cmpx_lt_u64_e64 v[0:1], v[38:39]
	s_cbranch_execz .LBB6_17158
; %bb.17150:                            ;   in Loop: Header=BB6_7909 Depth=2
	s_mov_b32 s23, 0
	s_mov_b32 s74, 0
                                        ; implicit-def: $sgpr72
                                        ; implicit-def: $sgpr73
	s_inst_prefetch 0x1
	s_branch .LBB6_17152
	.p2align	6
.LBB6_17151:                            ;   in Loop: Header=BB6_17152 Depth=3
	s_or_b32 exec_lo, exec_lo, s76
	s_and_b32 s75, exec_lo, s77
	s_or_b32 s23, s75, s23
	s_andn2_b32 s72, s72, exec_lo
	s_and_b32 s75, s73, exec_lo
	s_or_b32 s72, s72, s75
	s_andn2_b32 exec_lo, exec_lo, s23
	s_cbranch_execz .LBB6_17156
.LBB6_17152:                            ;   Parent Loop BB6_47 Depth=1
                                        ;     Parent Loop BB6_7909 Depth=2
                                        ; =>    This Inner Loop Header: Depth=3
	s_add_i32 s74, s74, 1
	s_cmpk_lg_i32 s74, 0x2710
	s_cselect_b32 s75, -1, 0
	s_and_b32 vcc_lo, exec_lo, s75
	s_cbranch_vccz .LBB6_17154
; %bb.17153:                            ;   in Loop: Header=BB6_17152 Depth=3
	s_mov_b32 s77, -1
	s_or_b32 s73, s73, exec_lo
	s_and_saveexec_b32 s76, s75
	s_cbranch_execz .LBB6_17151
	s_branch .LBB6_17155
	.p2align	6
.LBB6_17154:                            ;   in Loop: Header=BB6_17152 Depth=3
	s_trap 2
	ds_read_b64 v[0:1], v0
	s_andn2_b32 s75, s75, exec_lo
	s_mov_b32 s74, 0
	s_waitcnt lgkmcnt(0)
	flat_load_dword v0, v[0:1] glc dlc
	s_waitcnt vmcnt(0) lgkmcnt(0)
	buffer_gl1_inv
	buffer_gl0_inv
	v_cmp_eq_u32_e32 vcc_lo, 0, v0
	s_and_b32 s76, vcc_lo, exec_lo
	s_or_b32 s75, s75, s76
	s_mov_b32 s77, -1
	s_or_b32 s73, s73, exec_lo
	s_and_saveexec_b32 s76, s75
	s_cbranch_execz .LBB6_17151
.LBB6_17155:                            ;   in Loop: Header=BB6_17152 Depth=3
	s_sleep 1
	s_trap 2
	ds_read_b64 v[0:1], v0
	s_waitcnt lgkmcnt(0)
	buffer_gl0_inv
	s_andn2_b32 s73, s73, exec_lo
	v_cmp_ge_u64_e32 vcc_lo, v[0:1], v[38:39]
	s_orn2_b32 s77, vcc_lo, exec_lo
	s_branch .LBB6_17151
.LBB6_17156:                            ;   in Loop: Header=BB6_7909 Depth=2
	s_inst_prefetch 0x2
	s_or_b32 exec_lo, exec_lo, s23
	s_and_saveexec_b32 s23, s72
	s_xor_b32 s23, exec_lo, s23
	s_cbranch_execz .LBB6_17158
; %bb.17157:                            ;   in Loop: Header=BB6_7909 Depth=2
	v_mov_b32_e32 v0, 1
	ds_write_b32 v0, v0
	s_trap 2
.LBB6_17158:                            ;   in Loop: Header=BB6_7909 Depth=2
	s_or_b32 exec_lo, exec_lo, s22
	;;#ASMSTART
	s_wakeup
	;;#ASMEND
.LBB6_17159:                            ;   in Loop: Header=BB6_7909 Depth=2
	s_or_b32 exec_lo, exec_lo, s19
.LBB6_17160:                            ;   in Loop: Header=BB6_7909 Depth=2
	s_andn2_saveexec_b32 s18, s18
	s_cbranch_execz .LBB6_17162
; %bb.17161:                            ;   in Loop: Header=BB6_7909 Depth=2
	s_waitcnt vmcnt(0) lgkmcnt(0)
	s_waitcnt_vscnt null, 0x0
	buffer_gl1_inv
	buffer_gl0_inv
	s_barrier
.LBB6_17162:                            ;   in Loop: Header=BB6_7909 Depth=2
	s_or_b32 exec_lo, exec_lo, s18
	s_or_b32 exec_lo, exec_lo, s17
                                        ; implicit-def: $vgpr0
	s_and_saveexec_b32 s17, s15
	s_xor_b32 s17, exec_lo, s17
	s_cbranch_execz .LBB6_17163
; %bb.17825:                            ;   in Loop: Header=BB6_7909 Depth=2
	s_getpc_b64 s[34:35]
.Lpost_getpc50:
	s_add_u32 s34, s34, (.LBB6_7986-.Lpost_getpc50)&4294967295
	s_addc_u32 s35, s35, (.LBB6_7986-.Lpost_getpc50)>>32
	s_setpc_b64 s[34:35]
.LBB6_17163:                            ;   in Loop: Header=BB6_7909 Depth=2
	s_andn2_saveexec_b32 s16, s17
	s_cbranch_execz .LBB6_17182
.LBB6_17164:                            ;   in Loop: Header=BB6_7909 Depth=2
	s_and_saveexec_b32 s17, s29
	s_xor_b32 s17, exec_lo, s17
	s_cbranch_execz .LBB6_17179
; %bb.17165:                            ;   in Loop: Header=BB6_7909 Depth=2
	s_and_saveexec_b32 s18, s11
	s_cbranch_execz .LBB6_17178
; %bb.17166:                            ;   in Loop: Header=BB6_7909 Depth=2
	s_mov_b32 s22, exec_lo
	s_mov_b32 s19, exec_lo
	v_mbcnt_lo_u32_b32 v0, s22, 0
	;;#ASMSTART
	s_waitcnt lgkmcnt(0) vmcnt(0)
	;;#ASMEND
	v_cmpx_eq_u32_e32 0, v0
	s_cbranch_execz .LBB6_17168
; %bb.17167:                            ;   in Loop: Header=BB6_7909 Depth=2
	s_bcnt1_i32_b32 s22, s22
	v_mov_b32_e32 v1, v2
	v_mov_b32_e32 v0, s22
	s_waitcnt vmcnt(0) lgkmcnt(0)
	s_waitcnt_vscnt null, 0x0
	ds_add_u64 v0, v[0:1]
	s_trap 2
.LBB6_17168:                            ;   in Loop: Header=BB6_7909 Depth=2
	s_or_b32 exec_lo, exec_lo, s19
	s_trap 2
	ds_read_b64 v[0:1], v0
	s_waitcnt vmcnt(0) lgkmcnt(0)
	buffer_gl0_inv
	v_add_co_u32 v38, vcc_lo, v38, v103
	v_add_co_ci_u32_e64 v39, null, 0, v39, vcc_lo
	s_mov_b32 s19, exec_lo
	v_cmpx_lt_u64_e64 v[0:1], v[38:39]
	s_cbranch_execz .LBB6_17177
; %bb.17169:                            ;   in Loop: Header=BB6_7909 Depth=2
	s_mov_b32 s22, 0
	s_mov_b32 s73, 0
                                        ; implicit-def: $sgpr23
                                        ; implicit-def: $sgpr72
	s_inst_prefetch 0x1
	s_branch .LBB6_17171
	.p2align	6
.LBB6_17170:                            ;   in Loop: Header=BB6_17171 Depth=3
	s_or_b32 exec_lo, exec_lo, s75
	s_and_b32 s74, exec_lo, s76
	s_or_b32 s22, s74, s22
	s_andn2_b32 s23, s23, exec_lo
	s_and_b32 s74, s72, exec_lo
	s_or_b32 s23, s23, s74
	s_andn2_b32 exec_lo, exec_lo, s22
	s_cbranch_execz .LBB6_17175
.LBB6_17171:                            ;   Parent Loop BB6_47 Depth=1
                                        ;     Parent Loop BB6_7909 Depth=2
                                        ; =>    This Inner Loop Header: Depth=3
	s_add_i32 s73, s73, 1
	s_cmpk_lg_i32 s73, 0x2710
	s_cselect_b32 s74, -1, 0
	s_and_b32 vcc_lo, exec_lo, s74
	s_cbranch_vccz .LBB6_17173
; %bb.17172:                            ;   in Loop: Header=BB6_17171 Depth=3
	s_mov_b32 s76, -1
	s_or_b32 s72, s72, exec_lo
	s_and_saveexec_b32 s75, s74
	s_cbranch_execz .LBB6_17170
	s_branch .LBB6_17174
	.p2align	6
.LBB6_17173:                            ;   in Loop: Header=BB6_17171 Depth=3
	s_trap 2
	ds_read_b64 v[0:1], v0
	s_andn2_b32 s74, s74, exec_lo
	s_mov_b32 s73, 0
	s_waitcnt lgkmcnt(0)
	s_waitcnt_vscnt null, 0x0
	flat_load_dword v0, v[0:1] glc dlc
	s_waitcnt vmcnt(0) lgkmcnt(0)
	buffer_gl1_inv
	buffer_gl0_inv
	v_cmp_eq_u32_e32 vcc_lo, 0, v0
	s_and_b32 s75, vcc_lo, exec_lo
	s_or_b32 s74, s74, s75
	s_mov_b32 s76, -1
	s_or_b32 s72, s72, exec_lo
	s_and_saveexec_b32 s75, s74
	s_cbranch_execz .LBB6_17170
.LBB6_17174:                            ;   in Loop: Header=BB6_17171 Depth=3
	s_sleep 1
	s_trap 2
	ds_read_b64 v[0:1], v0
	s_waitcnt lgkmcnt(0)
	buffer_gl0_inv
	s_andn2_b32 s72, s72, exec_lo
	v_cmp_ge_u64_e32 vcc_lo, v[0:1], v[38:39]
	s_orn2_b32 s76, vcc_lo, exec_lo
	s_branch .LBB6_17170
.LBB6_17175:                            ;   in Loop: Header=BB6_7909 Depth=2
	s_inst_prefetch 0x2
	s_or_b32 exec_lo, exec_lo, s22
	s_and_saveexec_b32 s22, s23
	s_xor_b32 s22, exec_lo, s22
	s_cbranch_execz .LBB6_17177
; %bb.17176:                            ;   in Loop: Header=BB6_7909 Depth=2
	v_mov_b32_e32 v0, 1
	ds_write_b32 v0, v0
	s_trap 2
.LBB6_17177:                            ;   in Loop: Header=BB6_7909 Depth=2
	s_or_b32 exec_lo, exec_lo, s19
	;;#ASMSTART
	s_wakeup
	;;#ASMEND
.LBB6_17178:                            ;   in Loop: Header=BB6_7909 Depth=2
	s_or_b32 exec_lo, exec_lo, s18
.LBB6_17179:                            ;   in Loop: Header=BB6_7909 Depth=2
	s_andn2_saveexec_b32 s17, s17
	s_cbranch_execz .LBB6_17181
; %bb.17180:                            ;   in Loop: Header=BB6_7909 Depth=2
	;;#ASMSTART
	s_waitcnt lgkmcnt(0) vmcnt(0)
	;;#ASMEND
	s_barrier
.LBB6_17181:                            ;   in Loop: Header=BB6_7909 Depth=2
	s_or_b32 exec_lo, exec_lo, s17
	v_and_b32_e32 v0, 16, v100
.LBB6_17182:                            ;   in Loop: Header=BB6_7909 Depth=2
	s_or_b32 exec_lo, exec_lo, s16
	v_cmp_ne_u32_e32 vcc_lo, 0, v0
	s_xor_b32 s16, s7, -1
	s_and_b32 s17, vcc_lo, s16
	s_and_saveexec_b32 s16, s17
	s_cbranch_execz .LBB6_17184
; %bb.17183:                            ;   in Loop: Header=BB6_7909 Depth=2
	s_clause 0x1
	buffer_load_dword v0, off, s[0:3], s33 offset:240
	buffer_load_dword v1, off, s[0:3], s33 offset:244
	v_mov_b32_e32 v4, 1
	s_waitcnt vmcnt(0) lgkmcnt(0)
	s_waitcnt_vscnt null, 0x0
	flat_store_dword v[0:1], v4
.LBB6_17184:                            ;   in Loop: Header=BB6_7909 Depth=2
	s_or_b32 exec_lo, exec_lo, s16
	v_and_b32_e32 v0, 48, v100
	s_mov_b32 s16, exec_lo
	v_cmpx_ne_u32_e32 0, v0
	s_cbranch_execnz .LBB6_17185
; %bb.17827:                            ;   in Loop: Header=BB6_7909 Depth=2
	s_getpc_b64 s[34:35]
.Lpost_getpc51:
	s_add_u32 s34, s34, (.LBB6_7908-.Lpost_getpc51)&4294967295
	s_addc_u32 s35, s35, (.LBB6_7908-.Lpost_getpc51)>>32
	s_setpc_b64 s[34:35]
.LBB6_17185:                            ;   in Loop: Header=BB6_7909 Depth=2
	v_add_co_u32 v64, vcc_lo, v64, 2
	v_add_co_ci_u32_e64 v65, null, 0, v65, vcc_lo
	s_waitcnt vmcnt(0) lgkmcnt(0)
	s_waitcnt_vscnt null, 0x0
	flat_store_dwordx2 v[32:33], v[64:65]
; %bb.17775:                            ;   in Loop: Header=BB6_7909 Depth=2
	s_getpc_b64 s[34:35]
.Lpost_getpc25:
	s_add_u32 s34, s34, (.LBB6_7908-.Lpost_getpc25)&4294967295
	s_addc_u32 s35, s35, (.LBB6_7908-.Lpost_getpc25)>>32
	s_setpc_b64 s[34:35]
.LBB6_17186:                            ;   in Loop: Header=BB6_47 Depth=1
	s_or_b32 exec_lo, exec_lo, s61
.LBB6_17187:                            ;   in Loop: Header=BB6_47 Depth=1
	s_or_b32 exec_lo, exec_lo, s21
	s_mov_b32 s17, exec_lo
	v_cmpx_gt_i32_e32 2, v0
	s_cbranch_execz .LBB6_17263
; %bb.17188:                            ;   in Loop: Header=BB6_47 Depth=1
	v_cmp_eq_u32_e64 s19, 0, v0
	s_mov_b32 s18, 0
	s_branch .LBB6_17190
.LBB6_17189:                            ;   in Loop: Header=BB6_17190 Depth=2
	s_or_b32 exec_lo, exec_lo, s16
	v_add_nc_u32_e32 v71, v68, v71
	s_mov_b32 s19, 0
	s_andn2_b32 exec_lo, exec_lo, s18
	s_cbranch_execz .LBB6_17262
.LBB6_17190:                            ;   Parent Loop BB6_47 Depth=1
                                        ; =>  This Loop Header: Depth=2
                                        ;       Child Loop BB6_17196 Depth 3
                                        ;       Child Loop BB6_17224 Depth 3
	;; [unrolled: 1-line block ×3, first 2 shown]
	v_sub_nc_u32_e32 v0, v3, v71
	v_and_b32_e32 v1, 12, v100
	s_mov_b32 s21, exec_lo
	v_min_i32_e32 v68, v68, v0
	v_cmpx_ne_u32_e32 0, v1
	s_cbranch_execz .LBB6_17216
; %bb.17191:                            ;   in Loop: Header=BB6_17190 Depth=2
	v_and_b32_e32 v0, 8, v100
	s_mov_b32 s22, exec_lo
	s_waitcnt vmcnt(0) lgkmcnt(1)
	v_add_co_u32 v4, vcc_lo, v48, v0
	v_add_co_ci_u32_e64 v5, null, 0, v49, vcc_lo
	v_add_co_u32 v8, vcc_lo, v64, 2
	v_add_co_ci_u32_e64 v9, null, 0, v65, vcc_lo
	v_cmpx_lt_u64_e64 v[4:5], v[8:9]
	s_cbranch_execz .LBB6_17203
; %bb.17192:                            ;   in Loop: Header=BB6_17190 Depth=2
	v_and_b32_e32 v1, 64, v100
	s_mov_b32 s23, 0
	s_mov_b32 s72, 0
                                        ; implicit-def: $sgpr61
                                        ; implicit-def: $sgpr62
                                        ; implicit-def: $sgpr63
	v_cmp_eq_u32_e32 vcc_lo, 0, v1
	s_branch .LBB6_17196
.LBB6_17193:                            ;   in Loop: Header=BB6_17196 Depth=3
	s_waitcnt vmcnt(0) lgkmcnt(0)
	v_add_co_u32 v4, s16, v48, v0
	v_add_co_ci_u32_e64 v5, null, 0, v49, s16
	s_or_b32 s75, s75, exec_lo
	v_cmp_ge_u64_e64 s16, v[4:5], v[8:9]
	s_orn2_b32 s74, s16, exec_lo
.LBB6_17194:                            ;   in Loop: Header=BB6_17196 Depth=3
	s_or_b32 exec_lo, exec_lo, s77
	s_andn2_b32 s16, s63, exec_lo
	s_and_b32 s63, s75, exec_lo
	s_andn2_b32 s62, s62, exec_lo
	s_and_b32 s74, s74, exec_lo
	s_or_b32 s63, s16, s63
	s_or_b32 s62, s62, s74
.LBB6_17195:                            ;   in Loop: Header=BB6_17196 Depth=3
	s_or_b32 exec_lo, exec_lo, s73
	s_and_b32 s16, exec_lo, s62
	s_or_b32 s23, s16, s23
	s_andn2_b32 s16, s61, exec_lo
	s_and_b32 s61, s63, exec_lo
	s_or_b32 s61, s16, s61
	s_andn2_b32 exec_lo, exec_lo, s23
	s_cbranch_execz .LBB6_17200
.LBB6_17196:                            ;   Parent Loop BB6_47 Depth=1
                                        ;     Parent Loop BB6_17190 Depth=2
                                        ; =>    This Inner Loop Header: Depth=3
	s_sleep 1
	s_waitcnt vmcnt(0) lgkmcnt(0)
	flat_load_dwordx2 v[48:49], v[32:33] glc dlc
	s_or_b32 s63, s63, exec_lo
	s_or_b32 s62, s62, exec_lo
                                        ; implicit-def: $vgpr1
	s_and_saveexec_b32 s73, vcc_lo
	s_cbranch_execz .LBB6_17195
; %bb.17197:                            ;   in Loop: Header=BB6_17196 Depth=3
	s_cmpk_lt_i32 s72, 0x270f
	s_mov_b32 s74, -1
	s_cselect_b32 s76, -1, 0
	s_cmpk_gt_i32 s72, 0x270e
	s_cbranch_scc0 .LBB6_17199
; %bb.17198:                            ;   in Loop: Header=BB6_17196 Depth=3
	s_trap 2
	ds_read_b64 v[4:5], v0
	s_andn2_b32 s72, s76, exec_lo
	s_mov_b32 s75, 0
	s_waitcnt vmcnt(0) lgkmcnt(0)
	s_waitcnt_vscnt null, 0x0
	flat_load_dword v1, v[4:5] glc dlc
	s_waitcnt vmcnt(0) lgkmcnt(0)
	buffer_gl1_inv
	buffer_gl0_inv
	v_cmp_eq_u32_e64 s16, 0, v1
	s_and_b32 s16, s16, exec_lo
	s_or_b32 s76, s72, s16
	s_mov_b32 s72, 0
	s_and_saveexec_b32 s77, s76
	s_cbranch_execz .LBB6_17194
	s_branch .LBB6_17193
.LBB6_17199:                            ;   in Loop: Header=BB6_17196 Depth=3
	s_add_i32 s72, s72, 1
	s_mov_b32 s75, -1
                                        ; implicit-def: $vgpr1
	s_and_saveexec_b32 s77, s76
	s_cbranch_execz .LBB6_17194
	s_branch .LBB6_17193
.LBB6_17200:                            ;   in Loop: Header=BB6_17190 Depth=2
	s_or_b32 exec_lo, exec_lo, s23
	s_xor_b32 s16, s61, -1
	s_and_saveexec_b32 s23, s16
	s_xor_b32 s16, exec_lo, s23
	s_cbranch_execz .LBB6_17202
; %bb.17201:                            ;   in Loop: Header=BB6_17190 Depth=2
	v_or_b32_e32 v100, 64, v100
	s_waitcnt vmcnt(0) lgkmcnt(0)
	s_waitcnt_vscnt null, 0x0
	ds_write_b32 v0, v1
	s_trap 2
.LBB6_17202:                            ;   in Loop: Header=BB6_17190 Depth=2
	s_or_b32 exec_lo, exec_lo, s16
.LBB6_17203:                            ;   in Loop: Header=BB6_17190 Depth=2
	s_or_b32 exec_lo, exec_lo, s22
	v_and_b32_e32 v1, 0x108, v100
	s_mov_b32 s16, exec_lo
	;;#ASMSTART
	s_wakeup
	;;#ASMEND
                                        ; implicit-def: $vgpr10_vgpr11
	v_cmpx_ne_u32_e32 0x108, v1
	s_xor_b32 s16, exec_lo, s16
; %bb.17204:                            ;   in Loop: Header=BB6_17190 Depth=2
	v_and_b32_e32 v10, 7, v64
	v_mov_b32_e32 v11, v2
                                        ; implicit-def: $vgpr64_vgpr65
; %bb.17205:                            ;   in Loop: Header=BB6_17190 Depth=2
	s_andn2_saveexec_b32 s16, s16
	s_cbranch_execz .LBB6_17207
; %bb.17206:                            ;   in Loop: Header=BB6_17190 Depth=2
	s_clause 0x3
	buffer_load_dword v4, off, s[0:3], s33 offset:224
	buffer_load_dword v5, off, s[0:3], s33 offset:228
	;; [unrolled: 1-line block ×4, first 2 shown]
	v_and_b32_e32 v10, 7, v64
	v_ashrrev_i32_e32 v69, 31, v68
	v_mov_b32_e32 v11, v2
	s_waitcnt vmcnt(2)
	v_mad_u64_u32 v[4:5], null, v10, 24, v[4:5]
	flat_store_dwordx2 v[4:5], v[68:69] offset:8
.LBB6_17207:                            ;   in Loop: Header=BB6_17190 Depth=2
	s_or_b32 exec_lo, exec_lo, s16
	v_and_b32_e32 v1, 0x100, v100
	s_mov_b32 s16, -1
	s_mov_b32 s22, exec_lo
                                        ; implicit-def: $vgpr12_vgpr13
	v_cmpx_ne_u32_e32 0, v1
	s_cbranch_execz .LBB6_17211
; %bb.17208:                            ;   in Loop: Header=BB6_17190 Depth=2
	s_clause 0x3
	buffer_load_dword v4, off, s[0:3], s33 offset:224
	buffer_load_dword v5, off, s[0:3], s33 offset:228
	;; [unrolled: 1-line block ×4, first 2 shown]
	s_mov_b32 s23, exec_lo
                                        ; implicit-def: $vgpr12_vgpr13
	s_waitcnt vmcnt(2)
	v_mad_u64_u32 v[14:15], null, v10, 24, v[4:5]
	v_mov_b32_e32 v1, v15
	v_mad_u64_u32 v[4:5], null, v11, 24, v[1:2]
	v_mov_b32_e32 v15, v4
	flat_load_dword v1, v[14:15]
	s_waitcnt vmcnt(0) lgkmcnt(0)
	v_cmp_ne_u32_e32 vcc_lo, 1, v1
	v_cmpx_eq_u32_e32 1, v1
	s_cbranch_execz .LBB6_17210
; %bb.17209:                            ;   in Loop: Header=BB6_17190 Depth=2
	flat_load_dword v12, v[14:15] offset:4 glc dlc
	s_waitcnt vmcnt(0) lgkmcnt(0)
	v_ashrrev_i32_e32 v13, 31, v12
.LBB6_17210:                            ;   in Loop: Header=BB6_17190 Depth=2
	s_or_b32 exec_lo, exec_lo, s23
	s_orn2_b32 s16, vcc_lo, exec_lo
.LBB6_17211:                            ;   in Loop: Header=BB6_17190 Depth=2
	s_or_b32 exec_lo, exec_lo, s22
	s_and_saveexec_b32 s22, s16
	s_cbranch_execz .LBB6_17213
; %bb.17212:                            ;   in Loop: Header=BB6_17190 Depth=2
	s_clause 0x1
	buffer_load_dword v5, off, s[0:3], s33 offset:256
	buffer_load_dword v4, off, s[0:3], s33 offset:200
	s_waitcnt vmcnt(1)
	v_mul_lo_u32 v1, v11, v5
	s_waitcnt vmcnt(0)
	v_mul_lo_u32 v4, v10, v4
	v_mad_u64_u32 v[12:13], null, v10, v5, 0
	v_add3_u32 v13, v13, v4, v1
.LBB6_17213:                            ;   in Loop: Header=BB6_17190 Depth=2
	s_or_b32 exec_lo, exec_lo, s22
	v_cmp_eq_u32_e32 vcc_lo, 0, v0
	v_mov_b32_e32 v0, 0x90
	v_and_b32_e32 v5, 0x2000, v100
	s_mov_b32 s16, exec_lo
	v_cndmask_b32_e32 v4, 0xd0, v0, vcc_lo
	v_add_co_u32 v0, vcc_lo, v34, v12
	v_add_co_ci_u32_e64 v1, null, v35, v13, vcc_lo
	v_add_nc_u32_e32 v4, v0, v4
	ds_write_b64 v4, v[0:1] offset:584
	v_cmpx_ne_u32_e32 0, v5
	s_cbranch_execz .LBB6_17215
; %bb.17214:                            ;   in Loop: Header=BB6_17190 Depth=2
	ds_read_b64 v[0:1], v0 offset:872
	s_waitcnt lgkmcnt(0)
	v_add_co_u32 v0, vcc_lo, v0, 1
	v_add_co_ci_u32_e64 v1, null, 0, v1, vcc_lo
	ds_write_b64 v0, v[0:1] offset:872
.LBB6_17215:                            ;   in Loop: Header=BB6_17190 Depth=2
	s_or_b32 exec_lo, exec_lo, s16
	v_mov_b32_e32 v65, v9
	v_mov_b32_e32 v64, v8
.LBB6_17216:                            ;   in Loop: Header=BB6_17190 Depth=2
	s_or_b32 exec_lo, exec_lo, s21
	s_xor_b32 s16, s19, -1
	s_and_b32 s16, exec_lo, s16
	s_or_b32 s18, s16, s18
	s_and_saveexec_b32 s16, s6
	s_cbranch_execz .LBB6_17235
; %bb.17217:                            ;   in Loop: Header=BB6_17190 Depth=2
	s_and_saveexec_b32 s19, s29
	s_xor_b32 s19, exec_lo, s19
	s_cbranch_execz .LBB6_17232
; %bb.17218:                            ;   in Loop: Header=BB6_17190 Depth=2
	s_and_saveexec_b32 s21, s11
	s_cbranch_execz .LBB6_17231
; %bb.17219:                            ;   in Loop: Header=BB6_17190 Depth=2
	s_mov_b32 s23, exec_lo
	s_mov_b32 s22, exec_lo
	v_mbcnt_lo_u32_b32 v0, s23, 0
	s_waitcnt vmcnt(0) lgkmcnt(0)
	s_waitcnt_vscnt null, 0x0
	buffer_gl1_inv
	buffer_gl0_inv
	v_cmpx_eq_u32_e32 0, v0
	s_cbranch_execz .LBB6_17221
; %bb.17220:                            ;   in Loop: Header=BB6_17190 Depth=2
	s_bcnt1_i32_b32 s23, s23
	v_mov_b32_e32 v1, v2
	v_mov_b32_e32 v0, s23
	ds_add_u64 v0, v[0:1]
	s_trap 2
.LBB6_17221:                            ;   in Loop: Header=BB6_17190 Depth=2
	s_or_b32 exec_lo, exec_lo, s22
	s_trap 2
	ds_read_b64 v[0:1], v0
	s_waitcnt lgkmcnt(0)
	buffer_gl0_inv
	v_add_co_u32 v38, vcc_lo, v38, v103
	v_add_co_ci_u32_e64 v39, null, 0, v39, vcc_lo
	s_mov_b32 s22, exec_lo
	v_cmpx_lt_u64_e64 v[0:1], v[38:39]
	s_cbranch_execz .LBB6_17230
; %bb.17222:                            ;   in Loop: Header=BB6_17190 Depth=2
	s_mov_b32 s23, 0
	s_mov_b32 s63, 0
                                        ; implicit-def: $sgpr61
                                        ; implicit-def: $sgpr62
	s_inst_prefetch 0x1
	s_branch .LBB6_17224
	.p2align	6
.LBB6_17223:                            ;   in Loop: Header=BB6_17224 Depth=3
	s_or_b32 exec_lo, exec_lo, s73
	s_and_b32 s72, exec_lo, s74
	s_or_b32 s23, s72, s23
	s_andn2_b32 s61, s61, exec_lo
	s_and_b32 s72, s62, exec_lo
	s_or_b32 s61, s61, s72
	s_andn2_b32 exec_lo, exec_lo, s23
	s_cbranch_execz .LBB6_17228
.LBB6_17224:                            ;   Parent Loop BB6_47 Depth=1
                                        ;     Parent Loop BB6_17190 Depth=2
                                        ; =>    This Inner Loop Header: Depth=3
	s_add_i32 s63, s63, 1
	s_cmpk_lg_i32 s63, 0x2710
	s_cselect_b32 s72, -1, 0
	s_and_b32 vcc_lo, exec_lo, s72
	s_cbranch_vccz .LBB6_17226
; %bb.17225:                            ;   in Loop: Header=BB6_17224 Depth=3
	s_mov_b32 s74, -1
	s_or_b32 s62, s62, exec_lo
	s_and_saveexec_b32 s73, s72
	s_cbranch_execz .LBB6_17223
	s_branch .LBB6_17227
	.p2align	6
.LBB6_17226:                            ;   in Loop: Header=BB6_17224 Depth=3
	s_trap 2
	ds_read_b64 v[0:1], v0
	s_andn2_b32 s72, s72, exec_lo
	s_mov_b32 s63, 0
	s_waitcnt lgkmcnt(0)
	flat_load_dword v0, v[0:1] glc dlc
	s_waitcnt vmcnt(0) lgkmcnt(0)
	buffer_gl1_inv
	buffer_gl0_inv
	v_cmp_eq_u32_e32 vcc_lo, 0, v0
	s_and_b32 s73, vcc_lo, exec_lo
	s_or_b32 s72, s72, s73
	s_mov_b32 s74, -1
	s_or_b32 s62, s62, exec_lo
	s_and_saveexec_b32 s73, s72
	s_cbranch_execz .LBB6_17223
.LBB6_17227:                            ;   in Loop: Header=BB6_17224 Depth=3
	s_sleep 1
	s_trap 2
	ds_read_b64 v[0:1], v0
	s_waitcnt lgkmcnt(0)
	buffer_gl0_inv
	s_andn2_b32 s62, s62, exec_lo
	v_cmp_ge_u64_e32 vcc_lo, v[0:1], v[38:39]
	s_orn2_b32 s74, vcc_lo, exec_lo
	s_branch .LBB6_17223
.LBB6_17228:                            ;   in Loop: Header=BB6_17190 Depth=2
	s_inst_prefetch 0x2
	s_or_b32 exec_lo, exec_lo, s23
	s_and_saveexec_b32 s23, s61
	s_xor_b32 s23, exec_lo, s23
	s_cbranch_execz .LBB6_17230
; %bb.17229:                            ;   in Loop: Header=BB6_17190 Depth=2
	v_mov_b32_e32 v0, 1
	ds_write_b32 v0, v0
	s_trap 2
.LBB6_17230:                            ;   in Loop: Header=BB6_17190 Depth=2
	s_or_b32 exec_lo, exec_lo, s22
	;;#ASMSTART
	s_wakeup
	;;#ASMEND
.LBB6_17231:                            ;   in Loop: Header=BB6_17190 Depth=2
	s_or_b32 exec_lo, exec_lo, s21
.LBB6_17232:                            ;   in Loop: Header=BB6_17190 Depth=2
	s_andn2_saveexec_b32 s19, s19
	s_cbranch_execz .LBB6_17234
; %bb.17233:                            ;   in Loop: Header=BB6_17190 Depth=2
	s_waitcnt vmcnt(0) lgkmcnt(0)
	s_waitcnt_vscnt null, 0x0
	buffer_gl1_inv
	buffer_gl0_inv
	s_barrier
.LBB6_17234:                            ;   in Loop: Header=BB6_17190 Depth=2
	s_or_b32 exec_lo, exec_lo, s19
.LBB6_17235:                            ;   in Loop: Header=BB6_17190 Depth=2
	s_or_b32 exec_lo, exec_lo, s16
                                        ; implicit-def: $vgpr0
	s_and_saveexec_b32 s16, s15
	s_xor_b32 s19, exec_lo, s16
	s_cbranch_execz .LBB6_17239
; %bb.17236:                            ;   in Loop: Header=BB6_17190 Depth=2
	s_trap 2
	ds_read_b32 v0, v0
	v_cmp_lt_i32_e32 vcc_lo, 0, v68
	s_waitcnt lgkmcnt(0)
	v_readfirstlane_b32 s16, v0
	v_and_b32_e32 v0, 16, v100
	s_cmp_eq_u32 s16, 0
	v_cmp_ne_u32_e64 s16, 0, v0
	s_cselect_b32 s21, -1, 0
	v_and_b32_e32 v0, 16, v100
	s_and_b32 s21, vcc_lo, s21
	s_and_b32 s21, s16, s21
	s_and_saveexec_b32 s16, s21
	s_cbranch_execz .LBB6_17238
; %bb.17237:                            ;   in Loop: Header=BB6_17190 Depth=2
	v_mov_b32_e32 v0, 1
	s_waitcnt vmcnt(0)
	s_waitcnt_vscnt null, 0x0
	buffer_gl1_inv
	buffer_gl0_inv
.LBB6_17238:                            ;   in Loop: Header=BB6_17190 Depth=2
	s_or_b32 exec_lo, exec_lo, s16
	s_andn2_saveexec_b32 s16, s19
	s_cbranch_execz .LBB6_17258
	s_branch .LBB6_17240
.LBB6_17239:                            ;   in Loop: Header=BB6_17190 Depth=2
	s_andn2_saveexec_b32 s16, s19
	s_cbranch_execz .LBB6_17258
.LBB6_17240:                            ;   in Loop: Header=BB6_17190 Depth=2
	s_and_saveexec_b32 s19, s29
	s_xor_b32 s19, exec_lo, s19
	s_cbranch_execz .LBB6_17255
; %bb.17241:                            ;   in Loop: Header=BB6_17190 Depth=2
	s_and_saveexec_b32 s21, s11
	s_cbranch_execz .LBB6_17254
; %bb.17242:                            ;   in Loop: Header=BB6_17190 Depth=2
	s_mov_b32 s23, exec_lo
	s_mov_b32 s22, exec_lo
	v_mbcnt_lo_u32_b32 v0, s23, 0
	;;#ASMSTART
	s_waitcnt lgkmcnt(0) vmcnt(0)
	;;#ASMEND
	v_cmpx_eq_u32_e32 0, v0
	s_cbranch_execz .LBB6_17244
; %bb.17243:                            ;   in Loop: Header=BB6_17190 Depth=2
	s_bcnt1_i32_b32 s23, s23
	v_mov_b32_e32 v1, v2
	v_mov_b32_e32 v0, s23
	s_waitcnt vmcnt(0) lgkmcnt(0)
	s_waitcnt_vscnt null, 0x0
	ds_add_u64 v0, v[0:1]
	s_trap 2
.LBB6_17244:                            ;   in Loop: Header=BB6_17190 Depth=2
	s_or_b32 exec_lo, exec_lo, s22
	s_trap 2
	ds_read_b64 v[0:1], v0
	s_waitcnt vmcnt(0) lgkmcnt(0)
	buffer_gl0_inv
	v_add_co_u32 v38, vcc_lo, v38, v103
	v_add_co_ci_u32_e64 v39, null, 0, v39, vcc_lo
	s_mov_b32 s22, exec_lo
	v_cmpx_lt_u64_e64 v[0:1], v[38:39]
	s_cbranch_execz .LBB6_17253
; %bb.17245:                            ;   in Loop: Header=BB6_17190 Depth=2
	s_mov_b32 s23, 0
	s_mov_b32 s63, 0
                                        ; implicit-def: $sgpr61
                                        ; implicit-def: $sgpr62
	s_inst_prefetch 0x1
	s_branch .LBB6_17247
	.p2align	6
.LBB6_17246:                            ;   in Loop: Header=BB6_17247 Depth=3
	s_or_b32 exec_lo, exec_lo, s73
	s_and_b32 s72, exec_lo, s74
	s_or_b32 s23, s72, s23
	s_andn2_b32 s61, s61, exec_lo
	s_and_b32 s72, s62, exec_lo
	s_or_b32 s61, s61, s72
	s_andn2_b32 exec_lo, exec_lo, s23
	s_cbranch_execz .LBB6_17251
.LBB6_17247:                            ;   Parent Loop BB6_47 Depth=1
                                        ;     Parent Loop BB6_17190 Depth=2
                                        ; =>    This Inner Loop Header: Depth=3
	s_add_i32 s63, s63, 1
	s_cmpk_lg_i32 s63, 0x2710
	s_cselect_b32 s72, -1, 0
	s_and_b32 vcc_lo, exec_lo, s72
	s_cbranch_vccz .LBB6_17249
; %bb.17248:                            ;   in Loop: Header=BB6_17247 Depth=3
	s_mov_b32 s74, -1
	s_or_b32 s62, s62, exec_lo
	s_and_saveexec_b32 s73, s72
	s_cbranch_execz .LBB6_17246
	s_branch .LBB6_17250
	.p2align	6
.LBB6_17249:                            ;   in Loop: Header=BB6_17247 Depth=3
	s_trap 2
	ds_read_b64 v[0:1], v0
	s_andn2_b32 s72, s72, exec_lo
	s_mov_b32 s63, 0
	s_waitcnt lgkmcnt(0)
	s_waitcnt_vscnt null, 0x0
	flat_load_dword v0, v[0:1] glc dlc
	s_waitcnt vmcnt(0) lgkmcnt(0)
	buffer_gl1_inv
	buffer_gl0_inv
	v_cmp_eq_u32_e32 vcc_lo, 0, v0
	s_and_b32 s73, vcc_lo, exec_lo
	s_or_b32 s72, s72, s73
	s_mov_b32 s74, -1
	s_or_b32 s62, s62, exec_lo
	s_and_saveexec_b32 s73, s72
	s_cbranch_execz .LBB6_17246
.LBB6_17250:                            ;   in Loop: Header=BB6_17247 Depth=3
	s_sleep 1
	s_trap 2
	ds_read_b64 v[0:1], v0
	s_waitcnt lgkmcnt(0)
	buffer_gl0_inv
	s_andn2_b32 s62, s62, exec_lo
	v_cmp_ge_u64_e32 vcc_lo, v[0:1], v[38:39]
	s_orn2_b32 s74, vcc_lo, exec_lo
	s_branch .LBB6_17246
.LBB6_17251:                            ;   in Loop: Header=BB6_17190 Depth=2
	s_inst_prefetch 0x2
	s_or_b32 exec_lo, exec_lo, s23
	s_and_saveexec_b32 s23, s61
	s_xor_b32 s23, exec_lo, s23
	s_cbranch_execz .LBB6_17253
; %bb.17252:                            ;   in Loop: Header=BB6_17190 Depth=2
	v_mov_b32_e32 v0, 1
	ds_write_b32 v0, v0
	s_trap 2
.LBB6_17253:                            ;   in Loop: Header=BB6_17190 Depth=2
	s_or_b32 exec_lo, exec_lo, s22
	;;#ASMSTART
	s_wakeup
	;;#ASMEND
.LBB6_17254:                            ;   in Loop: Header=BB6_17190 Depth=2
	s_or_b32 exec_lo, exec_lo, s21
.LBB6_17255:                            ;   in Loop: Header=BB6_17190 Depth=2
	s_andn2_saveexec_b32 s19, s19
	s_cbranch_execz .LBB6_17257
; %bb.17256:                            ;   in Loop: Header=BB6_17190 Depth=2
	;;#ASMSTART
	s_waitcnt lgkmcnt(0) vmcnt(0)
	;;#ASMEND
	s_barrier
.LBB6_17257:                            ;   in Loop: Header=BB6_17190 Depth=2
	s_or_b32 exec_lo, exec_lo, s19
	v_and_b32_e32 v0, 16, v100
.LBB6_17258:                            ;   in Loop: Header=BB6_17190 Depth=2
	s_or_b32 exec_lo, exec_lo, s16
	v_cmp_ne_u32_e32 vcc_lo, 0, v0
	s_xor_b32 s16, s7, -1
	s_and_b32 s19, vcc_lo, s16
	s_and_saveexec_b32 s16, s19
	s_cbranch_execz .LBB6_17260
; %bb.17259:                            ;   in Loop: Header=BB6_17190 Depth=2
	s_clause 0x1
	buffer_load_dword v0, off, s[0:3], s33 offset:240
	buffer_load_dword v1, off, s[0:3], s33 offset:244
	v_mov_b32_e32 v4, 1
	s_waitcnt vmcnt(0) lgkmcnt(0)
	s_waitcnt_vscnt null, 0x0
	flat_store_dword v[0:1], v4
.LBB6_17260:                            ;   in Loop: Header=BB6_17190 Depth=2
	s_or_b32 exec_lo, exec_lo, s16
	v_and_b32_e32 v0, 48, v100
	s_mov_b32 s16, exec_lo
	v_cmpx_ne_u32_e32 0, v0
	s_cbranch_execz .LBB6_17189
; %bb.17261:                            ;   in Loop: Header=BB6_17190 Depth=2
	v_add_co_u32 v64, vcc_lo, v64, 2
	v_add_co_ci_u32_e64 v65, null, 0, v65, vcc_lo
	s_waitcnt vmcnt(0) lgkmcnt(0)
	s_waitcnt_vscnt null, 0x0
	flat_store_dwordx2 v[32:33], v[64:65]
	s_branch .LBB6_17189
.LBB6_17262:                            ;   in Loop: Header=BB6_47 Depth=1
	s_or_b32 exec_lo, exec_lo, s18
.LBB6_17263:                            ;   in Loop: Header=BB6_47 Depth=1
	s_or_b32 exec_lo, exec_lo, s17
	s_clause 0x6
	buffer_load_dword v3, off, s[0:3], s33 offset:224
	buffer_load_dword v4, off, s[0:3], s33 offset:228
	;; [unrolled: 1-line block ×7, first 2 shown]
	s_andn2_b32 vcc_lo, exec_lo, s46
	s_waitcnt vmcnt(5)
	v_mov_b32_e32 v113, v4
	v_mov_b32_e32 v112, v3
	s_cbranch_vccnz .LBB6_17520
; %bb.17264:                            ;   in Loop: Header=BB6_47 Depth=1
	s_mov_b32 s21, 1
.LBB6_17265:                            ;   Parent Loop BB6_47 Depth=1
                                        ; =>  This Loop Header: Depth=2
                                        ;       Child Loop BB6_17268 Depth 3
                                        ;         Child Loop BB6_17276 Depth 4
                                        ;         Child Loop BB6_17304 Depth 4
	;; [unrolled: 1-line block ×5, first 2 shown]
                                        ;           Child Loop BB6_17356 Depth 5
                                        ;         Child Loop BB6_17363 Depth 4
                                        ;         Child Loop BB6_17368 Depth 4
                                        ;           Child Loop BB6_17369 Depth 5
                                        ;         Child Loop BB6_17381 Depth 4
                                        ;         Child Loop BB6_17386 Depth 4
	;; [unrolled: 1-line block ×6, first 2 shown]
                                        ;       Child Loop BB6_17445 Depth 3
                                        ;         Child Loop BB6_17451 Depth 4
                                        ;         Child Loop BB6_17479 Depth 4
	;; [unrolled: 1-line block ×3, first 2 shown]
	s_clause 0x1
	buffer_load_dword v3, off, s[0:3], s33 offset:432
	buffer_load_dword v4, off, s[0:3], s33 offset:436
	s_sub_i32 s16, s42, s21
	s_waitcnt vmcnt(6)
	v_mov_b32_e32 v5, 0
	s_cmp_ge_i32 s16, s25
	s_mov_b32 s62, 0
	s_cselect_b32 s17, s25, 0
	s_sub_i32 s16, s16, s17
	s_ashr_i32 s17, s16, 31
	s_waitcnt vmcnt(1)
	v_mad_u64_u32 v[8:9], null, v3, s16, 0
	s_waitcnt vmcnt(0)
	v_mul_lo_u32 v0, v4, s16
	v_mul_lo_u32 v1, v3, s17
	v_add3_u32 v9, v9, v1, v0
	s_clause 0x1
	buffer_load_dword v0, off, s[0:3], s33 offset:424
	buffer_load_dword v1, off, s[0:3], s33 offset:428
	s_waitcnt vmcnt(1)
	v_sub_co_u32 v0, vcc_lo, v0, v8
	s_waitcnt vmcnt(0)
	v_sub_co_ci_u32_e64 v1, null, v1, v9, vcc_lo
	v_cmp_lt_i64_e32 vcc_lo, v[3:4], v[0:1]
	v_cndmask_b32_e32 v1, v0, v3, vcc_lo
	v_max_i32_e32 v0, 0, v1
	v_cmp_lt_i32_e32 vcc_lo, 0, v1
	v_mov_b32_e32 v1, 0
	v_add_nc_u32_e32 v3, 31, v0
	s_and_b32 s16, s57, vcc_lo
	v_lshrrev_b32_e32 v3, 1, v3
	v_and_b32_e32 v3, 0x3ffffff0, v3
	v_max_i32_e32 v12, s45, v3
	s_and_saveexec_b32 s61, s16
	s_cbranch_execz .LBB6_17442
; %bb.17266:                            ;   in Loop: Header=BB6_17265 Depth=2
	buffer_load_dword v1, off, s[0:3], s33 offset:248 ; 4-byte Folded Reload
	s_mov_b32 s72, 1
	s_mov_b32 s63, -1
	s_waitcnt vmcnt(0)
	v_add_co_u32 v3, vcc_lo, v8, v1
	buffer_load_dword v1, off, s[0:3], s33 offset:252 ; 4-byte Folded Reload
	s_waitcnt vmcnt(0)
	v_add_co_ci_u32_e64 v4, null, v9, v1, vcc_lo
	v_mov_b32_e32 v1, 0
	s_branch .LBB6_17268
.LBB6_17267:                            ;   in Loop: Header=BB6_17268 Depth=3
	s_or_b32 exec_lo, exec_lo, s16
	v_add_nc_u32_e32 v1, v12, v1
	s_xor_b32 s16, s63, -1
	v_mov_b32_e32 v5, s72
	s_mov_b32 s63, 0
	s_mov_b32 s72, 2
	v_cmp_ge_i32_e32 vcc_lo, v1, v0
	s_or_b32 s16, s16, vcc_lo
	s_and_b32 s16, exec_lo, s16
	s_or_b32 s62, s16, s62
	s_andn2_b32 exec_lo, exec_lo, s62
	s_cbranch_execz .LBB6_17441
.LBB6_17268:                            ;   Parent Loop BB6_47 Depth=1
                                        ;     Parent Loop BB6_17265 Depth=2
                                        ; =>    This Loop Header: Depth=3
                                        ;         Child Loop BB6_17276 Depth 4
                                        ;         Child Loop BB6_17304 Depth 4
	;; [unrolled: 1-line block ×5, first 2 shown]
                                        ;           Child Loop BB6_17356 Depth 5
                                        ;         Child Loop BB6_17363 Depth 4
                                        ;         Child Loop BB6_17368 Depth 4
                                        ;           Child Loop BB6_17369 Depth 5
                                        ;         Child Loop BB6_17381 Depth 4
                                        ;         Child Loop BB6_17386 Depth 4
	;; [unrolled: 1-line block ×6, first 2 shown]
	s_and_saveexec_b32 s17, s4
	s_cbranch_execz .LBB6_17270
; %bb.17269:                            ;   in Loop: Header=BB6_17268 Depth=3
	s_trap 2
	s_waitcnt vmcnt(0)
	ds_read_b128 v[5:8], v0
	v_ashrrev_i32_e32 v9, 31, v1
	s_waitcnt lgkmcnt(0)
	v_add_co_u32 v10, vcc_lo, v7, v3
	v_add_co_ci_u32_e64 v11, null, v8, v4, vcc_lo
	v_add_co_u32 v5, vcc_lo, v5, v3
	v_add_co_ci_u32_e64 v6, null, v6, v4, vcc_lo
	;; [unrolled: 2-line block ×3, first 2 shown]
	v_cmp_ne_u64_e32 vcc_lo, 0, v[7:8]
	v_add_co_u32 v5, s16, v5, v1
	v_add_co_ci_u32_e64 v6, null, v6, v9, s16
	v_cndmask_b32_e32 v8, 0, v11, vcc_lo
	v_cndmask_b32_e32 v7, 0, v10, vcc_lo
	ds_write_b64 v0, v[5:6]
	ds_write_b64 v0, v[7:8]
.LBB6_17270:                            ;   in Loop: Header=BB6_17268 Depth=3
	s_or_b32 exec_lo, exec_lo, s17
	v_sub_nc_u32_e32 v5, v0, v1
	v_and_b32_e32 v6, 12, v100
	s_mov_b32 s17, exec_lo
	v_min_i32_e32 v12, v12, v5
	v_cmpx_ne_u32_e32 0, v6
	s_cbranch_execz .LBB6_17296
; %bb.17271:                            ;   in Loop: Header=BB6_17268 Depth=3
	v_and_b32_e32 v5, 8, v100
	s_mov_b32 s18, exec_lo
	s_waitcnt vmcnt(0) lgkmcnt(1)
	v_add_co_u32 v6, vcc_lo, v48, v5
	v_add_co_ci_u32_e64 v7, null, 0, v49, vcc_lo
	v_add_co_u32 v8, vcc_lo, v64, 2
	v_add_co_ci_u32_e64 v9, null, 0, v65, vcc_lo
	v_cmpx_lt_u64_e64 v[6:7], v[8:9]
	s_cbranch_execz .LBB6_17283
; %bb.17272:                            ;   in Loop: Header=BB6_17268 Depth=3
	v_and_b32_e32 v6, 64, v100
	s_mov_b32 s19, 0
	s_mov_b32 s74, 0
                                        ; implicit-def: $sgpr22
                                        ; implicit-def: $sgpr23
                                        ; implicit-def: $sgpr73
	v_cmp_eq_u32_e32 vcc_lo, 0, v6
	s_branch .LBB6_17276
.LBB6_17273:                            ;   in Loop: Header=BB6_17276 Depth=4
	s_waitcnt vmcnt(0) lgkmcnt(0)
	v_add_co_u32 v10, s16, v48, v5
	v_add_co_ci_u32_e64 v11, null, 0, v49, s16
	s_or_b32 s77, s77, exec_lo
	v_cmp_ge_u64_e64 s16, v[10:11], v[8:9]
	s_orn2_b32 s76, s16, exec_lo
.LBB6_17274:                            ;   in Loop: Header=BB6_17276 Depth=4
	s_or_b32 exec_lo, exec_lo, s79
	s_andn2_b32 s16, s73, exec_lo
	s_and_b32 s73, s77, exec_lo
	s_andn2_b32 s23, s23, exec_lo
	s_and_b32 s76, s76, exec_lo
	s_or_b32 s73, s16, s73
	s_or_b32 s23, s23, s76
.LBB6_17275:                            ;   in Loop: Header=BB6_17276 Depth=4
	s_or_b32 exec_lo, exec_lo, s75
	s_and_b32 s16, exec_lo, s23
	s_or_b32 s19, s16, s19
	s_andn2_b32 s16, s22, exec_lo
	s_and_b32 s22, s73, exec_lo
	s_or_b32 s22, s16, s22
	s_andn2_b32 exec_lo, exec_lo, s19
	s_cbranch_execz .LBB6_17280
.LBB6_17276:                            ;   Parent Loop BB6_47 Depth=1
                                        ;     Parent Loop BB6_17265 Depth=2
                                        ;       Parent Loop BB6_17268 Depth=3
                                        ; =>      This Inner Loop Header: Depth=4
	s_sleep 1
	s_waitcnt vmcnt(0) lgkmcnt(0)
	flat_load_dwordx2 v[48:49], v[32:33] glc dlc
	s_or_b32 s73, s73, exec_lo
	s_or_b32 s23, s23, exec_lo
                                        ; implicit-def: $vgpr6
	s_and_saveexec_b32 s75, vcc_lo
	s_cbranch_execz .LBB6_17275
; %bb.17277:                            ;   in Loop: Header=BB6_17276 Depth=4
	s_cmpk_lt_i32 s74, 0x270f
	s_mov_b32 s76, -1
	s_cselect_b32 s78, -1, 0
	s_cmpk_gt_i32 s74, 0x270e
	s_cbranch_scc0 .LBB6_17279
; %bb.17278:                            ;   in Loop: Header=BB6_17276 Depth=4
	s_trap 2
	ds_read_b64 v[6:7], v0
	s_andn2_b32 s74, s78, exec_lo
	s_mov_b32 s77, 0
	s_waitcnt vmcnt(0) lgkmcnt(0)
	s_waitcnt_vscnt null, 0x0
	flat_load_dword v6, v[6:7] glc dlc
	s_waitcnt vmcnt(0) lgkmcnt(0)
	buffer_gl1_inv
	buffer_gl0_inv
	v_cmp_eq_u32_e64 s16, 0, v6
	s_and_b32 s16, s16, exec_lo
	s_or_b32 s78, s74, s16
	s_mov_b32 s74, 0
	s_and_saveexec_b32 s79, s78
	s_cbranch_execz .LBB6_17274
	s_branch .LBB6_17273
.LBB6_17279:                            ;   in Loop: Header=BB6_17276 Depth=4
	s_add_i32 s74, s74, 1
	s_mov_b32 s77, -1
                                        ; implicit-def: $vgpr6
	s_and_saveexec_b32 s79, s78
	s_cbranch_execz .LBB6_17274
	s_branch .LBB6_17273
.LBB6_17280:                            ;   in Loop: Header=BB6_17268 Depth=3
	s_or_b32 exec_lo, exec_lo, s19
	s_xor_b32 s16, s22, -1
	s_and_saveexec_b32 s19, s16
	s_xor_b32 s16, exec_lo, s19
	s_cbranch_execz .LBB6_17282
; %bb.17281:                            ;   in Loop: Header=BB6_17268 Depth=3
	v_or_b32_e32 v100, 64, v100
	s_waitcnt vmcnt(0) lgkmcnt(0)
	s_waitcnt_vscnt null, 0x0
	ds_write_b32 v0, v6
	s_trap 2
.LBB6_17282:                            ;   in Loop: Header=BB6_17268 Depth=3
	s_or_b32 exec_lo, exec_lo, s16
.LBB6_17283:                            ;   in Loop: Header=BB6_17268 Depth=3
	s_or_b32 exec_lo, exec_lo, s18
	v_and_b32_e32 v6, 0x108, v100
	s_mov_b32 s16, exec_lo
	;;#ASMSTART
	s_wakeup
	;;#ASMEND
                                        ; implicit-def: $vgpr10_vgpr11
	v_cmpx_ne_u32_e32 0x108, v6
	s_xor_b32 s16, exec_lo, s16
; %bb.17284:                            ;   in Loop: Header=BB6_17268 Depth=3
	v_and_b32_e32 v10, 7, v64
	v_mov_b32_e32 v11, v2
                                        ; implicit-def: $vgpr64_vgpr65
; %bb.17285:                            ;   in Loop: Header=BB6_17268 Depth=3
	s_andn2_saveexec_b32 s16, s16
	s_cbranch_execz .LBB6_17287
; %bb.17286:                            ;   in Loop: Header=BB6_17268 Depth=3
	v_and_b32_e32 v10, 7, v64
	v_ashrrev_i32_e32 v13, 31, v12
	v_mov_b32_e32 v11, v2
	v_mad_u64_u32 v[6:7], null, v10, 24, v[112:113]
	flat_store_dwordx2 v[6:7], v[12:13] offset:8
.LBB6_17287:                            ;   in Loop: Header=BB6_17268 Depth=3
	s_or_b32 exec_lo, exec_lo, s16
	v_and_b32_e32 v6, 0x100, v100
	s_mov_b32 s16, -1
	s_mov_b32 s18, exec_lo
                                        ; implicit-def: $vgpr13_vgpr14
	v_cmpx_ne_u32_e32 0, v6
	s_cbranch_execz .LBB6_17291
; %bb.17288:                            ;   in Loop: Header=BB6_17268 Depth=3
	v_mad_u64_u32 v[15:16], null, v10, 24, v[112:113]
	s_mov_b32 s19, exec_lo
                                        ; implicit-def: $vgpr13_vgpr14
	v_mov_b32_e32 v6, v16
	v_mad_u64_u32 v[6:7], null, v11, 24, v[6:7]
	v_mov_b32_e32 v16, v6
	flat_load_dword v6, v[15:16]
	s_waitcnt vmcnt(0) lgkmcnt(0)
	v_cmp_ne_u32_e32 vcc_lo, 1, v6
	v_cmpx_eq_u32_e32 1, v6
	s_cbranch_execz .LBB6_17290
; %bb.17289:                            ;   in Loop: Header=BB6_17268 Depth=3
	flat_load_dword v13, v[15:16] offset:4 glc dlc
	s_waitcnt vmcnt(0) lgkmcnt(0)
	v_ashrrev_i32_e32 v14, 31, v13
.LBB6_17290:                            ;   in Loop: Header=BB6_17268 Depth=3
	s_or_b32 exec_lo, exec_lo, s19
	s_orn2_b32 s16, vcc_lo, exec_lo
.LBB6_17291:                            ;   in Loop: Header=BB6_17268 Depth=3
	s_or_b32 exec_lo, exec_lo, s18
	s_and_saveexec_b32 s18, s16
	s_cbranch_execz .LBB6_17293
; %bb.17292:                            ;   in Loop: Header=BB6_17268 Depth=3
	buffer_load_dword v7, off, s[0:3], s33 offset:200 ; 4-byte Folded Reload
	v_mul_lo_u32 v6, v11, v54
	v_mad_u64_u32 v[13:14], null, v10, v54, 0
	s_waitcnt vmcnt(0)
	v_mul_lo_u32 v7, v10, v7
	v_add3_u32 v14, v14, v7, v6
.LBB6_17293:                            ;   in Loop: Header=BB6_17268 Depth=3
	s_or_b32 exec_lo, exec_lo, s18
	v_cmp_eq_u32_e32 vcc_lo, 0, v5
	v_mov_b32_e32 v5, 0x88
	v_and_b32_e32 v10, 0x2000, v100
	s_mov_b32 s16, exec_lo
	v_cndmask_b32_e32 v7, 0xd0, v5, vcc_lo
	v_add_co_u32 v5, vcc_lo, v34, v13
	v_add_co_ci_u32_e64 v6, null, v35, v14, vcc_lo
	v_add_nc_u32_e32 v7, v0, v7
	ds_write_b64 v7, v[5:6] offset:584
	v_cmpx_ne_u32_e32 0, v10
	s_cbranch_execz .LBB6_17295
; %bb.17294:                            ;   in Loop: Header=BB6_17268 Depth=3
	ds_read_b64 v[5:6], v0 offset:872
	s_waitcnt lgkmcnt(0)
	v_add_co_u32 v5, vcc_lo, v5, 1
	v_add_co_ci_u32_e64 v6, null, 0, v6, vcc_lo
	ds_write_b64 v0, v[5:6] offset:872
.LBB6_17295:                            ;   in Loop: Header=BB6_17268 Depth=3
	s_or_b32 exec_lo, exec_lo, s16
	v_mov_b32_e32 v65, v9
	v_mov_b32_e32 v64, v8
.LBB6_17296:                            ;   in Loop: Header=BB6_17268 Depth=3
	s_or_b32 exec_lo, exec_lo, s17
	s_and_saveexec_b32 s16, s6
	s_cbranch_execz .LBB6_17315
; %bb.17297:                            ;   in Loop: Header=BB6_17268 Depth=3
	s_and_saveexec_b32 s17, s29
	s_xor_b32 s17, exec_lo, s17
	s_cbranch_execz .LBB6_17312
; %bb.17298:                            ;   in Loop: Header=BB6_17268 Depth=3
	s_and_saveexec_b32 s18, s11
	s_cbranch_execz .LBB6_17311
; %bb.17299:                            ;   in Loop: Header=BB6_17268 Depth=3
	s_mov_b32 s22, exec_lo
	s_mov_b32 s19, exec_lo
	v_mbcnt_lo_u32_b32 v5, s22, 0
	s_waitcnt vmcnt(0) lgkmcnt(0)
	s_waitcnt_vscnt null, 0x0
	buffer_gl1_inv
	buffer_gl0_inv
	v_cmpx_eq_u32_e32 0, v5
	s_cbranch_execz .LBB6_17301
; %bb.17300:                            ;   in Loop: Header=BB6_17268 Depth=3
	s_bcnt1_i32_b32 s22, s22
	v_mov_b32_e32 v6, v2
	v_mov_b32_e32 v5, s22
	ds_add_u64 v0, v[5:6]
	s_trap 2
.LBB6_17301:                            ;   in Loop: Header=BB6_17268 Depth=3
	s_or_b32 exec_lo, exec_lo, s19
	s_trap 2
	ds_read_b64 v[5:6], v0
	s_waitcnt lgkmcnt(0)
	buffer_gl0_inv
	v_add_co_u32 v38, vcc_lo, v38, v103
	v_add_co_ci_u32_e64 v39, null, 0, v39, vcc_lo
	s_mov_b32 s19, exec_lo
	v_cmpx_lt_u64_e64 v[5:6], v[38:39]
	s_cbranch_execz .LBB6_17310
; %bb.17302:                            ;   in Loop: Header=BB6_17268 Depth=3
	s_mov_b32 s22, 0
	s_mov_b32 s74, 0
                                        ; implicit-def: $sgpr23
                                        ; implicit-def: $sgpr73
	s_inst_prefetch 0x1
	s_branch .LBB6_17304
	.p2align	6
.LBB6_17303:                            ;   in Loop: Header=BB6_17304 Depth=4
	s_or_b32 exec_lo, exec_lo, s76
	s_and_b32 s75, exec_lo, s77
	s_or_b32 s22, s75, s22
	s_andn2_b32 s23, s23, exec_lo
	s_and_b32 s75, s73, exec_lo
	s_or_b32 s23, s23, s75
	s_andn2_b32 exec_lo, exec_lo, s22
	s_cbranch_execz .LBB6_17308
.LBB6_17304:                            ;   Parent Loop BB6_47 Depth=1
                                        ;     Parent Loop BB6_17265 Depth=2
                                        ;       Parent Loop BB6_17268 Depth=3
                                        ; =>      This Inner Loop Header: Depth=4
	s_add_i32 s74, s74, 1
	s_cmpk_lg_i32 s74, 0x2710
	s_cselect_b32 s75, -1, 0
	s_and_b32 vcc_lo, exec_lo, s75
	s_cbranch_vccz .LBB6_17306
; %bb.17305:                            ;   in Loop: Header=BB6_17304 Depth=4
	s_mov_b32 s77, -1
	s_or_b32 s73, s73, exec_lo
	s_and_saveexec_b32 s76, s75
	s_cbranch_execz .LBB6_17303
	s_branch .LBB6_17307
	.p2align	6
.LBB6_17306:                            ;   in Loop: Header=BB6_17304 Depth=4
	s_trap 2
	ds_read_b64 v[5:6], v0
	s_andn2_b32 s75, s75, exec_lo
	s_mov_b32 s74, 0
	s_waitcnt lgkmcnt(0)
	flat_load_dword v5, v[5:6] glc dlc
	s_waitcnt vmcnt(0) lgkmcnt(0)
	buffer_gl1_inv
	buffer_gl0_inv
	v_cmp_eq_u32_e32 vcc_lo, 0, v5
	s_and_b32 s76, vcc_lo, exec_lo
	s_or_b32 s75, s75, s76
	s_mov_b32 s77, -1
	s_or_b32 s73, s73, exec_lo
	s_and_saveexec_b32 s76, s75
	s_cbranch_execz .LBB6_17303
.LBB6_17307:                            ;   in Loop: Header=BB6_17304 Depth=4
	s_sleep 1
	s_trap 2
	ds_read_b64 v[5:6], v0
	s_waitcnt lgkmcnt(0)
	buffer_gl0_inv
	s_andn2_b32 s73, s73, exec_lo
	v_cmp_ge_u64_e32 vcc_lo, v[5:6], v[38:39]
	s_orn2_b32 s77, vcc_lo, exec_lo
	s_branch .LBB6_17303
.LBB6_17308:                            ;   in Loop: Header=BB6_17268 Depth=3
	s_inst_prefetch 0x2
	s_or_b32 exec_lo, exec_lo, s22
	s_and_saveexec_b32 s22, s23
	s_xor_b32 s22, exec_lo, s22
	s_cbranch_execz .LBB6_17310
; %bb.17309:                            ;   in Loop: Header=BB6_17268 Depth=3
	v_mov_b32_e32 v5, 1
	ds_write_b32 v0, v5
	s_trap 2
.LBB6_17310:                            ;   in Loop: Header=BB6_17268 Depth=3
	s_or_b32 exec_lo, exec_lo, s19
	;;#ASMSTART
	s_wakeup
	;;#ASMEND
.LBB6_17311:                            ;   in Loop: Header=BB6_17268 Depth=3
	s_or_b32 exec_lo, exec_lo, s18
.LBB6_17312:                            ;   in Loop: Header=BB6_17268 Depth=3
	s_andn2_saveexec_b32 s17, s17
	s_cbranch_execz .LBB6_17314
; %bb.17313:                            ;   in Loop: Header=BB6_17268 Depth=3
	s_waitcnt vmcnt(0) lgkmcnt(0)
	s_waitcnt_vscnt null, 0x0
	buffer_gl1_inv
	buffer_gl0_inv
	s_barrier
.LBB6_17314:                            ;   in Loop: Header=BB6_17268 Depth=3
	s_or_b32 exec_lo, exec_lo, s17
.LBB6_17315:                            ;   in Loop: Header=BB6_17268 Depth=3
	s_or_b32 exec_lo, exec_lo, s16
	s_trap 2
	ds_read_b32 v5, v0
	v_and_b32_e32 v6, 0x4000, v100
	s_xor_b32 s16, s5, -1
	v_cmp_ne_u32_e32 vcc_lo, 0, v6
	s_and_b32 s17, s16, vcc_lo
	s_and_saveexec_b32 s16, s17
	s_cbranch_execz .LBB6_17334
; %bb.17316:                            ;   in Loop: Header=BB6_17268 Depth=3
	s_and_saveexec_b32 s17, s29
	s_xor_b32 s17, exec_lo, s17
	s_cbranch_execz .LBB6_17331
; %bb.17317:                            ;   in Loop: Header=BB6_17268 Depth=3
	s_and_saveexec_b32 s18, s11
	s_cbranch_execz .LBB6_17330
; %bb.17318:                            ;   in Loop: Header=BB6_17268 Depth=3
	s_mov_b32 s22, exec_lo
	s_mov_b32 s19, exec_lo
	v_mbcnt_lo_u32_b32 v6, s22, 0
	s_waitcnt vmcnt(0) lgkmcnt(0)
	s_waitcnt_vscnt null, 0x0
	buffer_gl1_inv
	buffer_gl0_inv
	v_cmpx_eq_u32_e32 0, v6
	s_cbranch_execz .LBB6_17320
; %bb.17319:                            ;   in Loop: Header=BB6_17268 Depth=3
	s_bcnt1_i32_b32 s22, s22
	v_mov_b32_e32 v7, v2
	v_mov_b32_e32 v6, s22
	ds_add_u64 v0, v[6:7]
	s_trap 2
.LBB6_17320:                            ;   in Loop: Header=BB6_17268 Depth=3
	s_or_b32 exec_lo, exec_lo, s19
	s_trap 2
	ds_read_b64 v[6:7], v0
	s_waitcnt lgkmcnt(0)
	buffer_gl0_inv
	v_add_co_u32 v38, vcc_lo, v38, v103
	v_add_co_ci_u32_e64 v39, null, 0, v39, vcc_lo
	s_mov_b32 s19, exec_lo
	v_cmpx_lt_u64_e64 v[6:7], v[38:39]
	s_cbranch_execz .LBB6_17329
; %bb.17321:                            ;   in Loop: Header=BB6_17268 Depth=3
	s_mov_b32 s22, 0
	s_mov_b32 s74, 0
                                        ; implicit-def: $sgpr23
                                        ; implicit-def: $sgpr73
	s_inst_prefetch 0x1
	s_branch .LBB6_17323
	.p2align	6
.LBB6_17322:                            ;   in Loop: Header=BB6_17323 Depth=4
	s_or_b32 exec_lo, exec_lo, s76
	s_and_b32 s75, exec_lo, s77
	s_or_b32 s22, s75, s22
	s_andn2_b32 s23, s23, exec_lo
	s_and_b32 s75, s73, exec_lo
	s_or_b32 s23, s23, s75
	s_andn2_b32 exec_lo, exec_lo, s22
	s_cbranch_execz .LBB6_17327
.LBB6_17323:                            ;   Parent Loop BB6_47 Depth=1
                                        ;     Parent Loop BB6_17265 Depth=2
                                        ;       Parent Loop BB6_17268 Depth=3
                                        ; =>      This Inner Loop Header: Depth=4
	s_add_i32 s74, s74, 1
	s_cmpk_lg_i32 s74, 0x2710
	s_cselect_b32 s75, -1, 0
	s_and_b32 vcc_lo, exec_lo, s75
	s_cbranch_vccz .LBB6_17325
; %bb.17324:                            ;   in Loop: Header=BB6_17323 Depth=4
	s_mov_b32 s77, -1
	s_or_b32 s73, s73, exec_lo
	s_and_saveexec_b32 s76, s75
	s_cbranch_execz .LBB6_17322
	s_branch .LBB6_17326
	.p2align	6
.LBB6_17325:                            ;   in Loop: Header=BB6_17323 Depth=4
	s_trap 2
	ds_read_b64 v[6:7], v0
	s_andn2_b32 s75, s75, exec_lo
	s_mov_b32 s74, 0
	s_waitcnt lgkmcnt(0)
	flat_load_dword v6, v[6:7] glc dlc
	s_waitcnt vmcnt(0) lgkmcnt(0)
	buffer_gl1_inv
	buffer_gl0_inv
	v_cmp_eq_u32_e32 vcc_lo, 0, v6
	s_and_b32 s76, vcc_lo, exec_lo
	s_or_b32 s75, s75, s76
	s_mov_b32 s77, -1
	s_or_b32 s73, s73, exec_lo
	s_and_saveexec_b32 s76, s75
	s_cbranch_execz .LBB6_17322
.LBB6_17326:                            ;   in Loop: Header=BB6_17323 Depth=4
	s_sleep 1
	s_trap 2
	ds_read_b64 v[6:7], v0
	s_waitcnt lgkmcnt(0)
	buffer_gl0_inv
	s_andn2_b32 s73, s73, exec_lo
	v_cmp_ge_u64_e32 vcc_lo, v[6:7], v[38:39]
	s_orn2_b32 s77, vcc_lo, exec_lo
	s_branch .LBB6_17322
.LBB6_17327:                            ;   in Loop: Header=BB6_17268 Depth=3
	s_inst_prefetch 0x2
	s_or_b32 exec_lo, exec_lo, s22
	s_and_saveexec_b32 s22, s23
	s_xor_b32 s22, exec_lo, s22
	s_cbranch_execz .LBB6_17329
; %bb.17328:                            ;   in Loop: Header=BB6_17268 Depth=3
	v_mov_b32_e32 v6, 1
	ds_write_b32 v0, v6
	s_trap 2
.LBB6_17329:                            ;   in Loop: Header=BB6_17268 Depth=3
	s_or_b32 exec_lo, exec_lo, s19
	;;#ASMSTART
	s_wakeup
	;;#ASMEND
.LBB6_17330:                            ;   in Loop: Header=BB6_17268 Depth=3
	s_or_b32 exec_lo, exec_lo, s18
.LBB6_17331:                            ;   in Loop: Header=BB6_17268 Depth=3
	s_andn2_saveexec_b32 s17, s17
	s_cbranch_execz .LBB6_17333
; %bb.17332:                            ;   in Loop: Header=BB6_17268 Depth=3
	s_waitcnt vmcnt(0) lgkmcnt(0)
	s_waitcnt_vscnt null, 0x0
	buffer_gl1_inv
	buffer_gl0_inv
	s_barrier
.LBB6_17333:                            ;   in Loop: Header=BB6_17268 Depth=3
	s_or_b32 exec_lo, exec_lo, s17
.LBB6_17334:                            ;   in Loop: Header=BB6_17268 Depth=3
	s_or_b32 exec_lo, exec_lo, s16
	s_trap 2
	ds_read_b64 v[13:14], v0
	s_waitcnt lgkmcnt(0)
	v_cmp_eq_u64_e32 vcc_lo, 0, v[13:14]
	s_cbranch_vccnz .LBB6_17343
; %bb.17335:                            ;   in Loop: Header=BB6_17268 Depth=3
	s_trap 2
	s_waitcnt vmcnt(3)
	ds_read_b64 v[15:16], v0
	s_waitcnt lgkmcnt(0)
	v_cmp_eq_u64_e32 vcc_lo, 0, v[15:16]
	s_cbranch_vccnz .LBB6_17343
; %bb.17336:                            ;   in Loop: Header=BB6_17268 Depth=3
	s_trap 2
	ds_read_b64 v[17:18], v0
	v_cmp_eq_u32_e64 s16, 0, v5
	v_cndmask_b32_e64 v5, 0, v12, s16
	s_mov_b32 s16, -1
	s_waitcnt lgkmcnt(0)
	v_cmp_ne_u64_e32 vcc_lo, 0, v[17:18]
	s_cbranch_vccz .LBB6_17372
; %bb.17337:                            ;   in Loop: Header=BB6_17268 Depth=3
	s_and_saveexec_b32 s17, s13
	s_cbranch_execz .LBB6_17339
; %bb.17338:                            ;   in Loop: Header=BB6_17268 Depth=3
	ds_read_b32 v6, v0 offset:720
	s_waitcnt lgkmcnt(0)
	v_and_b32_e32 v6, 15, v6
	v_cmp_eq_u32_e32 vcc_lo, 0, v6
	s_orn2_b32 s16, vcc_lo, exec_lo
.LBB6_17339:                            ;   in Loop: Header=BB6_17268 Depth=3
	s_or_b32 exec_lo, exec_lo, s17
	s_and_saveexec_b32 s17, s14
	s_cbranch_execz .LBB6_17341
; %bb.17340:                            ;   in Loop: Header=BB6_17268 Depth=3
	ds_read_b32 v6, v0 offset:784
	s_waitcnt lgkmcnt(0)
	v_and_b32_e32 v6, 15, v6
	v_cmp_eq_u32_e32 vcc_lo, 0, v6
	s_and_b32 s18, s16, vcc_lo
	s_andn2_b32 s16, s16, exec_lo
	s_and_b32 s18, s18, exec_lo
	s_or_b32 s16, s16, s18
.LBB6_17341:                            ;   in Loop: Header=BB6_17268 Depth=3
	s_or_b32 exec_lo, exec_lo, s17
	buffer_load_dword v19, off, s[0:3], s33 offset:204 ; 4-byte Folded Reload
	s_xor_b32 s16, s16, -1
	v_mov_b32_e32 v7, v5
	v_cndmask_b32_e64 v6, 0, 1, s16
	s_mov_b32 s16, -1
	v_cmp_ne_u32_e32 vcc_lo, 0, v6
	v_mov_b32_e32 v6, 0
	s_cbranch_vccz .LBB6_17348
; %bb.17342:                            ;   in Loop: Header=BB6_17268 Depth=3
	s_and_saveexec_b32 s22, s16
	s_cbranch_execnz .LBB6_17361
	s_branch .LBB6_17371
.LBB6_17343:                            ;   in Loop: Header=BB6_17268 Depth=3
	s_mov_b32 s16, 0
	s_and_saveexec_b32 s17, s6
	s_cbranch_execnz .LBB6_17400
.LBB6_17344:                            ;   in Loop: Header=BB6_17268 Depth=3
	s_or_b32 exec_lo, exec_lo, s17
                                        ; implicit-def: $vgpr5
	s_and_saveexec_b32 s17, s15
	s_xor_b32 s17, exec_lo, s17
	s_cbranch_execz .LBB6_17418
.LBB6_17345:                            ;   in Loop: Header=BB6_17268 Depth=3
	v_and_b32_e32 v5, 16, v100
	v_cmp_ne_u32_e32 vcc_lo, 0, v5
	v_and_b32_e32 v5, 16, v100
	s_and_b32 s18, vcc_lo, s16
	s_and_saveexec_b32 s16, s18
	s_cbranch_execz .LBB6_17347
; %bb.17346:                            ;   in Loop: Header=BB6_17268 Depth=3
	v_mov_b32_e32 v5, 1
	s_waitcnt vmcnt(0) lgkmcnt(0)
	s_waitcnt_vscnt null, 0x0
	buffer_gl1_inv
	buffer_gl0_inv
.LBB6_17347:                            ;   in Loop: Header=BB6_17268 Depth=3
	s_or_b32 exec_lo, exec_lo, s16
	s_andn2_saveexec_b32 s16, s17
	s_cbranch_execz .LBB6_17437
	s_branch .LBB6_17419
.LBB6_17348:                            ;   in Loop: Header=BB6_17268 Depth=3
	buffer_load_dword v7, off, s[0:3], s33 offset:332 ; 4-byte Folded Reload
	v_ashrrev_i32_e32 v6, 31, v5
	s_mov_b32 s17, exec_lo
	v_lshrrev_b32_e32 v6, 21, v6
	v_add_nc_u32_e32 v6, v5, v6
	v_ashrrev_i32_e32 v6, 11, v6
	s_waitcnt vmcnt(0)
	v_sub_nc_u32_e32 v22, v6, v7
	v_cmpx_lt_i32_e32 0, v22
	s_cbranch_execz .LBB6_17352
; %bb.17349:                            ;   in Loop: Header=BB6_17268 Depth=3
	buffer_load_dword v7, off, s[0:3], s33 offset:440 ; 4-byte Folded Reload
	s_mov_b32 s18, 0
	s_waitcnt vmcnt(0)
	v_add_co_u32 v8, vcc_lo, v13, v7
	v_add_co_ci_u32_e64 v9, null, 0, v14, vcc_lo
	v_add_co_u32 v10, vcc_lo, v15, v7
	v_add_co_ci_u32_e64 v11, null, 0, v16, vcc_lo
	;; [unrolled: 2-line block ×3, first 2 shown]
	s_inst_prefetch 0x1
	.p2align	6
.LBB6_17350:                            ;   Parent Loop BB6_47 Depth=1
                                        ;     Parent Loop BB6_17265 Depth=2
                                        ;       Parent Loop BB6_17268 Depth=3
                                        ; =>      This Inner Loop Header: Depth=4
	s_clause 0x3
	global_load_dwordx4 v[23:26], v[8:9], off slc
	global_load_dwordx4 v[27:30], v[8:9], off offset:512 slc
	global_load_dwordx4 v[50:53], v[8:9], off offset:1024 slc
	;; [unrolled: 1-line block ×3, first 2 shown]
	v_sub_nc_u32_e32 v22, v22, v103
	v_add_co_u32 v8, vcc_lo, v8, v47
	v_add_co_ci_u32_e64 v9, null, 0, v9, vcc_lo
	v_cmp_gt_i32_e32 vcc_lo, 1, v22
	s_waitcnt vmcnt(3)
	global_store_dwordx4 v[10:11], v[23:26], off glc slc
	s_waitcnt vmcnt(2)
	global_store_dwordx4 v[10:11], v[27:30], off offset:512 glc slc
	s_waitcnt vmcnt(1)
	global_store_dwordx4 v[10:11], v[50:53], off offset:1024 glc slc
	;; [unrolled: 2-line block ×3, first 2 shown]
	global_store_dwordx4 v[19:20], v[23:26], off glc slc
	global_store_dwordx4 v[19:20], v[27:30], off offset:512 glc slc
	global_store_dwordx4 v[19:20], v[50:53], off offset:1024 glc slc
	;; [unrolled: 1-line block ×3, first 2 shown]
	v_add_co_u32 v10, s16, v10, v47
	v_add_co_ci_u32_e64 v11, null, 0, v11, s16
	v_add_co_u32 v19, s16, v19, v47
	v_add_co_ci_u32_e64 v20, null, 0, v20, s16
	s_or_b32 s18, vcc_lo, s18
	s_andn2_b32 exec_lo, exec_lo, s18
	s_cbranch_execnz .LBB6_17350
; %bb.17351:                            ;   in Loop: Header=BB6_17268 Depth=3
	s_inst_prefetch 0x2
	s_or_b32 exec_lo, exec_lo, s18
.LBB6_17352:                            ;   in Loop: Header=BB6_17268 Depth=3
	s_or_b32 exec_lo, exec_lo, s17
	v_lshlrev_b32_e32 v21, 11, v6
	v_mov_b32_e32 v6, 0
	s_mov_b32 s16, 0
	s_mov_b32 s19, exec_lo
                                        ; implicit-def: $vgpr7
                                        ; implicit-def: $vgpr19
	v_cmpx_ne_u32_e64 v5, v21
	s_cbranch_execz .LBB6_17360
; %bb.17353:                            ;   in Loop: Header=BB6_17268 Depth=3
	buffer_load_dword v7, off, s[0:3], s33 offset:420 ; 4-byte Folded Reload
	v_lshlrev_b32_e32 v6, 5, v22
	v_sub_nc_u32_e32 v9, v5, v21
	s_mov_b32 s73, exec_lo
	v_ashrrev_i32_e32 v8, 31, v9
	v_lshrrev_b32_e32 v8, 23, v8
	v_add_nc_u32_e32 v8, v9, v8
	v_ashrrev_i32_e32 v19, 9, v8
	s_waitcnt vmcnt(0)
	v_sub_nc_u32_e32 v6, v7, v6
	v_ashrrev_i32_e32 v7, 31, v6
	v_lshrrev_b32_e32 v7, 27, v7
	v_add_nc_u32_e32 v7, v6, v7
	v_and_b32_e32 v10, 0xffffffe0, v7
	v_sub_nc_u32_e32 v22, v6, v10
	v_and_b32_e32 v6, 0xfffffe00, v8
	v_ashrrev_i32_e32 v10, 5, v7
	v_lshlrev_b32_e32 v11, 4, v22
	v_sub_nc_u32_e32 v7, v9, v6
	v_lshl_add_u32 v8, v10, 9, v11
	v_cmp_lt_i32_e64 s16, 15, v7
	v_sub_nc_u32_e32 v24, v9, v8
	v_add_co_ci_u32_e64 v11, null, 0, v19, s16
	v_sub_nc_u32_e32 v23, v11, v10
	v_cmpx_lt_i32_e32 15, v24
	s_cbranch_execz .LBB6_17359
; %bb.17354:                            ;   in Loop: Header=BB6_17268 Depth=3
	v_add_nc_u32_e32 v8, v8, v21
	s_mov_b32 s74, 0
	v_ashrrev_i32_e32 v9, 31, v8
	v_add_co_u32 v19, vcc_lo, v8, v13
	v_add_co_ci_u32_e64 v20, null, v9, v14, vcc_lo
	v_add_co_u32 v25, vcc_lo, v8, v15
	v_add_co_ci_u32_e64 v26, null, v9, v16, vcc_lo
	;; [unrolled: 2-line block ×3, first 2 shown]
.LBB6_17355:                            ;   Parent Loop BB6_47 Depth=1
                                        ;     Parent Loop BB6_17265 Depth=2
                                        ;       Parent Loop BB6_17268 Depth=3
                                        ; =>      This Loop Header: Depth=4
                                        ;           Child Loop BB6_17356 Depth 5
	global_load_dwordx4 v[8:11], v[19:20], off slc
	s_mov_b64 s[22:23], 0
	s_mov_b32 s75, -1
	.p2align	6
.LBB6_17356:                            ;   Parent Loop BB6_47 Depth=1
                                        ;     Parent Loop BB6_17265 Depth=2
                                        ;       Parent Loop BB6_17268 Depth=3
                                        ;         Parent Loop BB6_17355 Depth=4
                                        ; =>        This Inner Loop Header: Depth=5
	s_cmp_eq_u32 s22, 1
	s_cselect_b32 vcc_lo, -1, 0
	s_cmp_eq_u32 s22, 0
	v_cndmask_b32_e32 v29, v25, v27, vcc_lo
	v_cndmask_b32_e32 v30, v26, v28, vcc_lo
	s_mov_b64 s[22:23], 1
	v_add_co_u32 v31, s17, 0x200, v29
	v_add_co_ci_u32_e64 v36, null, 0, v30, s17
	s_cselect_b32 s17, -1, 0
	v_cndmask_b32_e32 v27, v27, v31, vcc_lo
	v_cndmask_b32_e64 v25, v25, v31, s17
	v_cndmask_b32_e32 v28, v28, v36, vcc_lo
	v_cndmask_b32_e64 v26, v26, v36, s17
	s_and_b32 s18, exec_lo, s75
	s_mov_b32 s75, 0
	s_mov_b32 vcc_lo, s18
	s_waitcnt vmcnt(0)
	global_store_dwordx4 v[29:30], v[8:11], off glc slc
	s_cbranch_vccnz .LBB6_17356
; %bb.17357:                            ;   in Loop: Header=BB6_17355 Depth=4
	v_lshlrev_b32_e32 v8, 9, v103
	s_clause 0x1
	buffer_load_dword v9, off, s[0:3], s33 offset:208
	buffer_load_dword v10, off, s[0:3], s33 offset:212
	v_sub_nc_u32_e32 v23, v23, v103
	v_sub_nc_u32_e32 v24, v24, v8
	buffer_load_dword v8, off, s[0:3], s33 offset:216 ; 4-byte Folded Reload
	s_waitcnt vmcnt(2)
	v_add_co_u32 v25, vcc_lo, v25, v9
	s_waitcnt vmcnt(1)
	v_add_co_ci_u32_e64 v26, null, v26, v10, vcc_lo
	v_add_co_u32 v27, vcc_lo, v27, v9
	s_waitcnt vmcnt(0)
	v_add_co_u32 v19, s17, v8, v19
	buffer_load_dword v8, off, s[0:3], s33 offset:220 ; 4-byte Folded Reload
	v_add_co_ci_u32_e64 v28, null, v28, v10, vcc_lo
	v_cmp_gt_i32_e32 vcc_lo, 16, v24
	s_or_b32 s74, vcc_lo, s74
	s_waitcnt vmcnt(0)
	v_add_co_ci_u32_e64 v20, null, v8, v20, s17
	s_andn2_b32 exec_lo, exec_lo, s74
	s_cbranch_execnz .LBB6_17355
; %bb.17358:                            ;   in Loop: Header=BB6_17268 Depth=3
	s_or_b32 exec_lo, exec_lo, s74
.LBB6_17359:                            ;   in Loop: Header=BB6_17268 Depth=3
	s_or_b32 exec_lo, exec_lo, s73
	v_and_b32_e32 v8, 15, v5
	v_cmp_lt_i32_e32 vcc_lo, 0, v23
	v_sub_nc_u32_e32 v9, v7, v8
	v_cndmask_b32_e32 v10, 0, v103, vcc_lo
	v_cndmask_b32_e64 v7, v7, v8, s16
	v_cndmask_b32_e64 v8, 0, v9, s16
	v_sub_nc_u32_e32 v9, v10, v23
	v_cmp_ne_u32_e32 vcc_lo, 0, v7
	v_add3_u32 v6, v6, v21, v8
	v_lshl_add_u32 v19, v9, 5, v22
	s_and_b32 s16, vcc_lo, exec_lo
.LBB6_17360:                            ;   in Loop: Header=BB6_17268 Depth=3
	s_or_b32 exec_lo, exec_lo, s19
	s_and_saveexec_b32 s22, s16
	s_cbranch_execz .LBB6_17371
.LBB6_17361:                            ;   in Loop: Header=BB6_17268 Depth=3
	s_waitcnt vmcnt(0)
	v_ashrrev_i32_e32 v8, 31, v19
	v_ashrrev_i32_e32 v9, 31, v7
	s_mov_b32 s16, exec_lo
	v_lshrrev_b32_e32 v8, 27, v8
	v_lshrrev_b32_e32 v9, 22, v9
	v_add_nc_u32_e32 v8, v19, v8
	v_add_nc_u32_e32 v9, v7, v9
	v_ashrrev_i32_e32 v20, 5, v8
	v_ashrrev_i32_e32 v22, 10, v9
	v_sub_nc_u32_e32 v21, v22, v20
	v_cmpx_lt_i32_e32 0, v21
	s_cbranch_execz .LBB6_17365
; %bb.17362:                            ;   in Loop: Header=BB6_17268 Depth=3
	v_and_b32_e32 v8, 0xffffffe0, v8
	v_lshlrev_b32_e32 v9, 10, v20
	v_add_co_u32 v25, vcc_lo, 0x3e0, v13
	v_add_co_ci_u32_e64 v26, null, 0, v14, vcc_lo
	v_sub_nc_u32_e32 v8, v19, v8
	s_mov_b32 s17, 0
	v_add3_u32 v23, v6, v8, v9
	v_ashrrev_i32_e32 v24, 31, v23
	v_add_co_u32 v8, vcc_lo, v23, v15
	v_add_co_ci_u32_e64 v9, null, v24, v16, vcc_lo
	v_add_co_u32 v10, vcc_lo, v23, v17
	v_add_co_ci_u32_e64 v11, null, v24, v18, vcc_lo
	;; [unrolled: 2-line block ×3, first 2 shown]
.LBB6_17363:                            ;   Parent Loop BB6_47 Depth=1
                                        ;     Parent Loop BB6_17265 Depth=2
                                        ;       Parent Loop BB6_17268 Depth=3
                                        ; =>      This Inner Loop Header: Depth=4
	v_add_co_u32 v23, vcc_lo, 0xfffffc20, v17
	v_add_co_ci_u32_e64 v24, null, -1, v18, vcc_lo
	v_sub_nc_u32_e32 v21, v21, v103
	flat_load_ubyte v23, v[23:24] slc
	v_add_co_u32 v24, vcc_lo, 0xfffffc40, v17
	v_add_co_ci_u32_e64 v25, null, -1, v18, vcc_lo
	flat_load_ubyte v24, v[24:25] slc
	v_add_co_u32 v25, vcc_lo, 0xfffffc60, v17
	v_add_co_ci_u32_e64 v26, null, -1, v18, vcc_lo
	;; [unrolled: 3-line block ×7, first 2 shown]
	v_add_co_u32 v36, vcc_lo, 0xfffffd20, v17
	v_add_co_ci_u32_e64 v37, null, -1, v18, vcc_lo
	flat_load_ubyte v30, v[30:31] slc
	flat_load_ubyte v31, v[36:37] slc
	v_add_co_u32 v36, vcc_lo, 0xfffffd40, v17
	v_add_co_ci_u32_e64 v37, null, -1, v18, vcc_lo
	v_add_co_u32 v50, vcc_lo, 0xfffffd60, v17
	v_add_co_ci_u32_e64 v51, null, -1, v18, vcc_lo
	flat_load_ubyte v36, v[36:37] slc
	flat_load_ubyte v37, v[50:51] slc
	v_add_co_u32 v50, vcc_lo, 0xfffffd80, v17
	v_add_co_ci_u32_e64 v51, null, -1, v18, vcc_lo
	flat_load_ubyte v50, v[50:51] slc
	v_add_co_u32 v51, vcc_lo, 0xfffffda0, v17
	v_add_co_ci_u32_e64 v52, null, -1, v18, vcc_lo
	;; [unrolled: 3-line block ×20, first 2 shown]
	flat_load_ubyte v53, v[53:54] slc
	flat_load_ubyte v54, v[17:18] slc
	s_waitcnt vmcnt(31) lgkmcnt(31)
	flat_store_byte v[8:9], v23 glc slc
	s_waitcnt vmcnt(30) lgkmcnt(31)
	flat_store_byte v[8:9], v24 offset:32 glc slc
	s_waitcnt vmcnt(29) lgkmcnt(31)
	flat_store_byte v[8:9], v25 offset:64 glc slc
	;; [unrolled: 2-line block ×31, first 2 shown]
	flat_store_byte v[10:11], v23 glc slc
	flat_store_byte v[10:11], v24 offset:32 glc slc
	flat_store_byte v[10:11], v25 offset:64 glc slc
	;; [unrolled: 1-line block ×31, first 2 shown]
	v_add_co_u32 v8, vcc_lo, v8, v46
	v_add_co_ci_u32_e64 v9, null, 0, v9, vcc_lo
	v_add_co_u32 v10, vcc_lo, v10, v46
	v_add_co_ci_u32_e64 v11, null, 0, v11, vcc_lo
	v_add_co_u32 v17, vcc_lo, v17, v46
	v_add_co_ci_u32_e64 v18, null, 0, v18, vcc_lo
	v_cmp_gt_i32_e32 vcc_lo, 1, v21
	s_or_b32 s17, vcc_lo, s17
	s_andn2_b32 exec_lo, exec_lo, s17
	s_cbranch_execnz .LBB6_17363
; %bb.17364:                            ;   in Loop: Header=BB6_17268 Depth=3
	s_or_b32 exec_lo, exec_lo, s17
	s_clause 0x6
	buffer_load_dword v8, off, s[0:3], s33 offset:224
	buffer_load_dword v9, off, s[0:3], s33 offset:228
	;; [unrolled: 1-line block ×7, first 2 shown]
	s_waitcnt vmcnt(5)
	v_mov_b32_e32 v113, v9
	v_mov_b32_e32 v112, v8
.LBB6_17365:                            ;   in Loop: Header=BB6_17268 Depth=3
	s_or_b32 exec_lo, exec_lo, s16
	v_lshlrev_b32_e32 v8, 10, v22
	v_cmp_ne_u32_e32 vcc_lo, v7, v8
	s_and_b32 exec_lo, exec_lo, vcc_lo
	s_cbranch_execz .LBB6_17371
; %bb.17366:                            ;   in Loop: Header=BB6_17268 Depth=3
	v_lshlrev_b32_e32 v9, 5, v20
	s_waitcnt vmcnt(4)
	v_lshlrev_b32_e32 v10, 5, v21
	v_sub_nc_u32_e32 v9, v19, v9
	v_sub_nc_u32_e32 v9, v9, v10
	v_add_nc_u32_e32 v8, v8, v9
	v_sub_nc_u32_e32 v7, v7, v8
	v_cmp_lt_i32_e32 vcc_lo, 0, v7
	s_and_b32 exec_lo, exec_lo, vcc_lo
	s_cbranch_execz .LBB6_17371
; %bb.17367:                            ;   in Loop: Header=BB6_17268 Depth=3
	s_trap 2
	ds_read_b64 v[9:10], v0
	ds_read_b128 v[17:20], v0
	s_waitcnt vmcnt(3)
	v_add_nc_u32_e32 v11, v8, v6
	s_mov_b32 s23, 0
	v_ashrrev_i32_e32 v21, 31, v11
	s_waitcnt lgkmcnt(1)
	v_add_co_u32 v8, vcc_lo, v9, v11
	v_add_co_ci_u32_e64 v9, null, v10, v21, vcc_lo
	s_waitcnt lgkmcnt(0)
	v_add_co_u32 v6, vcc_lo, v17, v11
	v_add_co_ci_u32_e64 v10, null, v18, v21, vcc_lo
	v_add_co_u32 v11, vcc_lo, v19, v11
	v_add_co_ci_u32_e64 v17, null, v20, v21, vcc_lo
.LBB6_17368:                            ;   Parent Loop BB6_47 Depth=1
                                        ;     Parent Loop BB6_17265 Depth=2
                                        ;       Parent Loop BB6_17268 Depth=3
                                        ; =>      This Loop Header: Depth=4
                                        ;           Child Loop BB6_17369 Depth 5
	flat_load_ubyte v18, v[8:9] slc
	s_mov_b64 s[18:19], 0
	s_mov_b32 s73, -1
	.p2align	6
.LBB6_17369:                            ;   Parent Loop BB6_47 Depth=1
                                        ;     Parent Loop BB6_17265 Depth=2
                                        ;       Parent Loop BB6_17268 Depth=3
                                        ;         Parent Loop BB6_17368 Depth=4
                                        ; =>        This Inner Loop Header: Depth=5
	s_cmp_eq_u32 s18, 1
	s_cselect_b32 vcc_lo, -1, 0
	s_cmp_eq_u32 s18, 0
	v_cndmask_b32_e32 v19, v6, v11, vcc_lo
	v_cndmask_b32_e32 v20, v10, v17, vcc_lo
	s_mov_b64 s[18:19], 1
	v_add_co_u32 v21, s16, v19, 32
	v_add_co_ci_u32_e64 v22, null, 0, v20, s16
	s_cselect_b32 s16, -1, 0
	v_cndmask_b32_e32 v11, v11, v21, vcc_lo
	v_cndmask_b32_e64 v6, v6, v21, s16
	v_cndmask_b32_e32 v17, v17, v22, vcc_lo
	v_cndmask_b32_e64 v10, v10, v22, s16
	s_and_b32 s17, exec_lo, s73
	s_mov_b32 s73, 0
	s_mov_b32 vcc_lo, s17
	s_waitcnt vmcnt(0) lgkmcnt(0)
	flat_store_byte v[19:20], v18 glc slc
	s_cbranch_vccnz .LBB6_17369
; %bb.17370:                            ;   in Loop: Header=BB6_17368 Depth=4
	buffer_load_dword v19, off, s[0:3], s33 offset:188 ; 4-byte Folded Reload
	v_subrev_nc_u32_e32 v18, 32, v114
	v_sub_nc_u32_e32 v7, v7, v114
	v_add_co_u32 v6, vcc_lo, v6, v18
	s_waitcnt vmcnt(0)
	v_add_co_ci_u32_e64 v10, null, v10, v19, vcc_lo
	v_add_co_u32 v11, vcc_lo, v11, v18
	buffer_load_dword v18, off, s[0:3], s33 offset:192 ; 4-byte Folded Reload
	v_add_co_ci_u32_e64 v17, null, v17, v19, vcc_lo
	v_cmp_gt_i32_e32 vcc_lo, 1, v7
	s_or_b32 s23, vcc_lo, s23
	s_waitcnt vmcnt(0)
	v_add_co_u32 v8, s16, v18, v8
	buffer_load_dword v18, off, s[0:3], s33 offset:196 ; 4-byte Folded Reload
	s_waitcnt vmcnt(0)
	v_add_co_ci_u32_e64 v9, null, v18, v9, s16
	s_andn2_b32 exec_lo, exec_lo, s23
	s_cbranch_execnz .LBB6_17368
.LBB6_17371:                            ;   in Loop: Header=BB6_17268 Depth=3
	s_or_b32 exec_lo, exec_lo, s22
	s_mov_b32 s16, 0
.LBB6_17372:                            ;   in Loop: Header=BB6_17268 Depth=3
	s_and_b32 vcc_lo, exec_lo, s16
	s_cbranch_vccz .LBB6_17399
; %bb.17373:                            ;   in Loop: Header=BB6_17268 Depth=3
	s_mov_b32 s16, -1
	s_and_saveexec_b32 s17, s13
	s_cbranch_execz .LBB6_17375
; %bb.17374:                            ;   in Loop: Header=BB6_17268 Depth=3
	ds_read_b32 v6, v0 offset:720
	s_waitcnt lgkmcnt(0)
	v_and_b32_e32 v6, 15, v6
	v_cmp_eq_u32_e32 vcc_lo, 0, v6
	s_orn2_b32 s16, vcc_lo, exec_lo
.LBB6_17375:                            ;   in Loop: Header=BB6_17268 Depth=3
	s_or_b32 exec_lo, exec_lo, s17
	s_and_saveexec_b32 s17, s12
	s_cbranch_execz .LBB6_17377
; %bb.17376:                            ;   in Loop: Header=BB6_17268 Depth=3
	ds_read_b32 v6, v0 offset:784
	s_waitcnt lgkmcnt(0)
	v_and_b32_e32 v6, 15, v6
	v_cmp_eq_u32_e32 vcc_lo, 0, v6
	s_and_b32 s18, s16, vcc_lo
	s_andn2_b32 s16, s16, exec_lo
	s_and_b32 s18, s18, exec_lo
	s_or_b32 s16, s16, s18
.LBB6_17377:                            ;   in Loop: Header=BB6_17268 Depth=3
	s_or_b32 exec_lo, exec_lo, s17
	buffer_load_dword v8, off, s[0:3], s33 offset:204 ; 4-byte Folded Reload
	s_xor_b32 s16, s16, -1
	v_mov_b32_e32 v7, v5
	v_cndmask_b32_e64 v6, 0, 1, s16
	s_mov_b32 s16, -1
	v_cmp_ne_u32_e32 vcc_lo, 0, v6
	v_mov_b32_e32 v6, 0
	s_cbranch_vccz .LBB6_17379
; %bb.17378:                            ;   in Loop: Header=BB6_17268 Depth=3
	s_and_saveexec_b32 s17, s16
	s_cbranch_execnz .LBB6_17390
	s_branch .LBB6_17398
.LBB6_17379:                            ;   in Loop: Header=BB6_17268 Depth=3
	buffer_load_dword v7, off, s[0:3], s33 offset:332 ; 4-byte Folded Reload
	v_ashrrev_i32_e32 v6, 31, v5
	s_mov_b32 s17, exec_lo
	v_lshrrev_b32_e32 v6, 20, v6
	v_add_nc_u32_e32 v6, v5, v6
	v_ashrrev_i32_e32 v6, 12, v6
	s_waitcnt vmcnt(0)
	v_sub_nc_u32_e32 v17, v6, v7
	v_cmpx_lt_i32_e32 0, v17
	s_cbranch_execz .LBB6_17383
; %bb.17380:                            ;   in Loop: Header=BB6_17268 Depth=3
	buffer_load_dword v55, off, s[0:3], s33 offset:336 ; 4-byte Folded Reload
	v_mov_b32_e32 v8, v15
	v_mov_b32_e32 v10, v13
	;; [unrolled: 1-line block ×4, first 2 shown]
	v_lshlrev_b32_e32 v7, 12, v103
	s_mov_b32 s18, 0
.LBB6_17381:                            ;   Parent Loop BB6_47 Depth=1
                                        ;     Parent Loop BB6_17265 Depth=2
                                        ;       Parent Loop BB6_17268 Depth=3
                                        ; =>      This Inner Loop Header: Depth=4
	s_waitcnt vmcnt(0)
	v_add_co_u32 v30, vcc_lo, v55, v10
	v_add_co_ci_u32_e64 v31, null, 0, v11, vcc_lo
	v_sub_nc_u32_e32 v17, v17, v103
	v_add_co_u32 v36, vcc_lo, 0x800, v30
	v_add_co_ci_u32_e64 v37, null, 0, v31, vcc_lo
	s_clause 0x3
	global_load_dwordx4 v[18:21], v[30:31], off slc
	global_load_dwordx4 v[22:25], v[30:31], off offset:512 slc
	global_load_dwordx4 v[26:29], v[30:31], off offset:1024 slc
	;; [unrolled: 1-line block ×3, first 2 shown]
	s_clause 0x3
	global_load_dwordx4 v[66:69], v[36:37], off slc
	global_load_dwordx4 v[80:83], v[36:37], off offset:512 slc
	global_load_dwordx4 v[84:87], v[36:37], off offset:1024 slc
	;; [unrolled: 1-line block ×3, first 2 shown]
	v_add_co_u32 v30, vcc_lo, v55, v8
	v_add_co_ci_u32_e64 v31, null, 0, v9, vcc_lo
	v_add_co_u32 v10, vcc_lo, v10, v7
	v_add_co_ci_u32_e64 v11, null, 0, v11, vcc_lo
	;; [unrolled: 2-line block ×3, first 2 shown]
	v_cmp_gt_i32_e32 vcc_lo, 1, v17
	v_add_co_u32 v36, s16, 0x800, v30
	v_add_co_ci_u32_e64 v37, null, 0, v31, s16
	s_or_b32 s18, vcc_lo, s18
	s_waitcnt vmcnt(7)
	global_store_dwordx4 v[30:31], v[18:21], off glc slc
	s_waitcnt vmcnt(6)
	global_store_dwordx4 v[30:31], v[22:25], off offset:512 glc slc
	s_waitcnt vmcnt(5)
	global_store_dwordx4 v[30:31], v[26:29], off offset:1024 glc slc
	;; [unrolled: 2-line block ×3, first 2 shown]
	s_waitcnt vmcnt(3)
	global_store_dwordx4 v[36:37], v[66:69], off glc slc
	s_waitcnt vmcnt(2)
	global_store_dwordx4 v[36:37], v[80:83], off offset:512 glc slc
	s_waitcnt vmcnt(1)
	global_store_dwordx4 v[36:37], v[84:87], off offset:1024 glc slc
	;; [unrolled: 2-line block ×3, first 2 shown]
	s_andn2_b32 exec_lo, exec_lo, s18
	s_cbranch_execnz .LBB6_17381
; %bb.17382:                            ;   in Loop: Header=BB6_17268 Depth=3
	s_or_b32 exec_lo, exec_lo, s18
.LBB6_17383:                            ;   in Loop: Header=BB6_17268 Depth=3
	s_or_b32 exec_lo, exec_lo, s17
	v_lshlrev_b32_e32 v9, 12, v6
	v_mov_b32_e32 v6, 0
	s_mov_b32 s16, 0
	s_mov_b32 s18, exec_lo
                                        ; implicit-def: $vgpr7
                                        ; implicit-def: $vgpr8
	v_cmpx_ne_u32_e64 v5, v9
	s_cbranch_execz .LBB6_17389
; %bb.17384:                            ;   in Loop: Header=BB6_17268 Depth=3
	buffer_load_dword v7, off, s[0:3], s33 offset:420 ; 4-byte Folded Reload
	v_lshlrev_b32_e32 v6, 5, v17
	v_sub_nc_u32_e32 v10, v5, v9
	s_mov_b32 s19, exec_lo
	v_ashrrev_i32_e32 v8, 31, v10
	v_lshrrev_b32_e32 v8, 23, v8
	v_add_nc_u32_e32 v17, v10, v8
	v_ashrrev_i32_e32 v19, 9, v17
	s_waitcnt vmcnt(0)
	v_sub_nc_u32_e32 v6, v7, v6
	v_ashrrev_i32_e32 v7, 31, v6
	v_lshrrev_b32_e32 v7, 27, v7
	v_add_nc_u32_e32 v7, v6, v7
	v_and_b32_e32 v11, 0xffffffe0, v7
	v_ashrrev_i32_e32 v18, 5, v7
	v_sub_nc_u32_e32 v8, v6, v11
	v_and_b32_e32 v6, 0xfffffe00, v17
	v_lshlrev_b32_e32 v11, 4, v8
	v_sub_nc_u32_e32 v7, v10, v6
	v_lshl_add_u32 v17, v18, 9, v11
	v_cmp_lt_i32_e32 vcc_lo, 15, v7
	v_sub_nc_u32_e32 v11, v10, v17
	v_add_co_ci_u32_e64 v19, null, 0, v19, vcc_lo
	v_sub_nc_u32_e32 v10, v19, v18
	v_cmpx_lt_i32_e32 15, v11
	s_cbranch_execz .LBB6_17388
; %bb.17385:                            ;   in Loop: Header=BB6_17268 Depth=3
	v_add_nc_u32_e32 v17, v17, v9
	v_lshlrev_b32_e32 v25, 9, v103
	s_mov_b32 s22, 0
	v_ashrrev_i32_e32 v18, 31, v17
	.p2align	6
.LBB6_17386:                            ;   Parent Loop BB6_47 Depth=1
                                        ;     Parent Loop BB6_17265 Depth=2
                                        ;       Parent Loop BB6_17268 Depth=3
                                        ; =>      This Inner Loop Header: Depth=4
	v_add_co_u32 v19, s16, v13, v17
	v_add_co_ci_u32_e64 v20, null, v14, v18, s16
	v_sub_nc_u32_e32 v11, v11, v25
	v_add_co_u32 v23, s16, v15, v17
	global_load_dwordx4 v[19:22], v[19:20], off slc
	v_add_co_ci_u32_e64 v24, null, v16, v18, s16
	v_cmp_gt_i32_e64 s16, 16, v11
	v_add_co_u32 v17, s17, v17, v25
	v_sub_nc_u32_e32 v10, v10, v103
	v_add_co_ci_u32_e64 v18, null, 0, v18, s17
	s_or_b32 s22, s16, s22
	s_waitcnt vmcnt(0)
	global_store_dwordx4 v[23:24], v[19:22], off glc slc
	s_andn2_b32 exec_lo, exec_lo, s22
	s_cbranch_execnz .LBB6_17386
; %bb.17387:                            ;   in Loop: Header=BB6_17268 Depth=3
	s_or_b32 exec_lo, exec_lo, s22
.LBB6_17388:                            ;   in Loop: Header=BB6_17268 Depth=3
	s_or_b32 exec_lo, exec_lo, s19
	v_and_b32_e32 v11, 15, v5
	v_cmp_lt_i32_e64 s16, 0, v10
	v_sub_nc_u32_e32 v17, v7, v11
	v_cndmask_b32_e64 v18, 0, v103, s16
	v_cndmask_b32_e32 v7, v7, v11, vcc_lo
	v_cndmask_b32_e32 v11, 0, v17, vcc_lo
	v_sub_nc_u32_e32 v10, v18, v10
	v_cmp_ne_u32_e32 vcc_lo, 0, v7
	v_add3_u32 v6, v6, v9, v11
	v_lshl_add_u32 v8, v10, 5, v8
	s_and_b32 s16, vcc_lo, exec_lo
.LBB6_17389:                            ;   in Loop: Header=BB6_17268 Depth=3
	s_or_b32 exec_lo, exec_lo, s18
	s_and_saveexec_b32 s17, s16
	s_cbranch_execz .LBB6_17398
.LBB6_17390:                            ;   in Loop: Header=BB6_17268 Depth=3
	s_waitcnt vmcnt(0)
	v_ashrrev_i32_e32 v9, 31, v8
	v_ashrrev_i32_e32 v10, 31, v7
	s_mov_b32 s16, exec_lo
	v_lshrrev_b32_e32 v9, 27, v9
	v_lshrrev_b32_e32 v10, 22, v10
	v_add_nc_u32_e32 v17, v8, v9
	v_add_nc_u32_e32 v10, v7, v10
	v_ashrrev_i32_e32 v9, 5, v17
	v_ashrrev_i32_e32 v11, 10, v10
	v_sub_nc_u32_e32 v10, v11, v9
	v_cmpx_lt_i32_e32 0, v10
	s_cbranch_execz .LBB6_17394
; %bb.17391:                            ;   in Loop: Header=BB6_17268 Depth=3
	v_and_b32_e32 v17, 0xffffffe0, v17
	v_lshlrev_b32_e32 v18, 10, v9
	s_mov_b32 s18, 0
	v_sub_nc_u32_e32 v17, v8, v17
	v_add3_u32 v17, v6, v17, v18
	v_ashrrev_i32_e32 v18, 31, v17
.LBB6_17392:                            ;   Parent Loop BB6_47 Depth=1
                                        ;     Parent Loop BB6_17265 Depth=2
                                        ;       Parent Loop BB6_17268 Depth=3
                                        ; =>      This Inner Loop Header: Depth=4
	v_add_co_u32 v19, vcc_lo, v17, v13
	v_add_co_ci_u32_e64 v20, null, v18, v14, vcc_lo
	v_sub_nc_u32_e32 v10, v10, v103
	s_clause 0x1f
	flat_load_ubyte v21, v[19:20] slc
	flat_load_ubyte v22, v[19:20] offset:32 slc
	flat_load_ubyte v23, v[19:20] offset:64 slc
	flat_load_ubyte v24, v[19:20] offset:96 slc
	flat_load_ubyte v25, v[19:20] offset:128 slc
	flat_load_ubyte v26, v[19:20] offset:160 slc
	flat_load_ubyte v27, v[19:20] offset:192 slc
	flat_load_ubyte v28, v[19:20] offset:224 slc
	flat_load_ubyte v29, v[19:20] offset:256 slc
	flat_load_ubyte v30, v[19:20] offset:288 slc
	flat_load_ubyte v31, v[19:20] offset:320 slc
	flat_load_ubyte v36, v[19:20] offset:352 slc
	flat_load_ubyte v37, v[19:20] offset:384 slc
	flat_load_ubyte v50, v[19:20] offset:416 slc
	flat_load_ubyte v51, v[19:20] offset:448 slc
	flat_load_ubyte v52, v[19:20] offset:480 slc
	flat_load_ubyte v53, v[19:20] offset:512 slc
	flat_load_ubyte v54, v[19:20] offset:544 slc
	flat_load_ubyte v55, v[19:20] offset:576 slc
	flat_load_ubyte v66, v[19:20] offset:608 slc
	flat_load_ubyte v67, v[19:20] offset:640 slc
	flat_load_ubyte v68, v[19:20] offset:672 slc
	flat_load_ubyte v69, v[19:20] offset:704 slc
	flat_load_ubyte v70, v[19:20] offset:736 slc
	flat_load_ubyte v71, v[19:20] offset:768 slc
	flat_load_ubyte v80, v[19:20] offset:800 slc
	flat_load_ubyte v81, v[19:20] offset:832 slc
	flat_load_ubyte v82, v[19:20] offset:864 slc
	flat_load_ubyte v83, v[19:20] offset:896 slc
	flat_load_ubyte v84, v[19:20] offset:928 slc
	flat_load_ubyte v85, v[19:20] offset:960 slc
	flat_load_ubyte v86, v[19:20] offset:992 slc
	v_add_co_u32 v19, vcc_lo, v17, v15
	v_add_co_ci_u32_e64 v20, null, v18, v16, vcc_lo
	v_add_co_u32 v13, vcc_lo, v13, v46
	v_add_co_ci_u32_e64 v14, null, 0, v14, vcc_lo
	;; [unrolled: 2-line block ×3, first 2 shown]
	v_cmp_gt_i32_e32 vcc_lo, 1, v10
	s_waitcnt vmcnt(31) lgkmcnt(31)
	flat_store_byte v[19:20], v21 glc slc
	s_waitcnt vmcnt(30) lgkmcnt(31)
	flat_store_byte v[19:20], v22 offset:32 glc slc
	s_waitcnt vmcnt(29) lgkmcnt(31)
	flat_store_byte v[19:20], v23 offset:64 glc slc
	;; [unrolled: 2-line block ×31, first 2 shown]
	s_or_b32 s18, vcc_lo, s18
	s_andn2_b32 exec_lo, exec_lo, s18
	s_cbranch_execnz .LBB6_17392
; %bb.17393:                            ;   in Loop: Header=BB6_17268 Depth=3
	s_or_b32 exec_lo, exec_lo, s18
	s_clause 0x6
	buffer_load_dword v13, off, s[0:3], s33 offset:224
	buffer_load_dword v14, off, s[0:3], s33 offset:228
	;; [unrolled: 1-line block ×7, first 2 shown]
	s_waitcnt vmcnt(5)
	v_mov_b32_e32 v113, v14
	v_mov_b32_e32 v112, v13
.LBB6_17394:                            ;   in Loop: Header=BB6_17268 Depth=3
	s_or_b32 exec_lo, exec_lo, s16
	v_lshlrev_b32_e32 v11, 10, v11
	v_cmp_ne_u32_e32 vcc_lo, v7, v11
	s_and_b32 exec_lo, exec_lo, vcc_lo
	s_cbranch_execz .LBB6_17398
; %bb.17395:                            ;   in Loop: Header=BB6_17268 Depth=3
	v_lshlrev_b32_e32 v9, 5, v9
	v_sub_nc_u32_e32 v8, v8, v9
	v_lshlrev_b32_e32 v9, 5, v10
	v_sub_nc_u32_e32 v8, v8, v9
	v_add_nc_u32_e32 v10, v11, v8
	v_sub_nc_u32_e32 v7, v7, v10
	v_cmp_lt_i32_e32 vcc_lo, 0, v7
	s_and_b32 exec_lo, exec_lo, vcc_lo
	s_cbranch_execz .LBB6_17398
; %bb.17396:                            ;   in Loop: Header=BB6_17268 Depth=3
	s_trap 2
	ds_read_b64 v[8:9], v0
	v_add_nc_u32_e32 v6, v10, v6
	s_mov_b32 s18, 0
	v_ashrrev_i32_e32 v10, 31, v6
	.p2align	6
.LBB6_17397:                            ;   Parent Loop BB6_47 Depth=1
                                        ;     Parent Loop BB6_17265 Depth=2
                                        ;       Parent Loop BB6_17268 Depth=3
                                        ; =>      This Inner Loop Header: Depth=4
	s_waitcnt lgkmcnt(0)
	v_add_co_u32 v13, vcc_lo, v8, v6
	v_add_co_ci_u32_e64 v14, null, v9, v10, vcc_lo
	v_sub_nc_u32_e32 v7, v7, v114
	v_add_co_u32 v6, s16, v6, v114
	flat_load_ubyte v11, v[13:14] slc
	v_add_co_ci_u32_e64 v10, null, 0, v10, s16
	v_cmp_gt_i32_e32 vcc_lo, 1, v7
	s_or_b32 s18, vcc_lo, s18
	s_waitcnt vmcnt(0) lgkmcnt(0)
	flat_store_byte v[13:14], v11 glc slc
	s_andn2_b32 exec_lo, exec_lo, s18
	s_cbranch_execnz .LBB6_17397
.LBB6_17398:                            ;   in Loop: Header=BB6_17268 Depth=3
	s_or_b32 exec_lo, exec_lo, s17
.LBB6_17399:                            ;   in Loop: Header=BB6_17268 Depth=3
	v_cmp_lt_i32_e64 s16, 0, v5
	s_and_saveexec_b32 s17, s6
	s_cbranch_execz .LBB6_17344
.LBB6_17400:                            ;   in Loop: Header=BB6_17268 Depth=3
	s_and_saveexec_b32 s18, s29
	s_xor_b32 s18, exec_lo, s18
	s_cbranch_execz .LBB6_17415
; %bb.17401:                            ;   in Loop: Header=BB6_17268 Depth=3
	s_and_saveexec_b32 s19, s11
	s_cbranch_execz .LBB6_17414
; %bb.17402:                            ;   in Loop: Header=BB6_17268 Depth=3
	s_mov_b32 s23, exec_lo
	s_mov_b32 s22, exec_lo
	v_mbcnt_lo_u32_b32 v5, s23, 0
	s_waitcnt vmcnt(0) lgkmcnt(0)
	s_waitcnt_vscnt null, 0x0
	buffer_gl1_inv
	buffer_gl0_inv
	v_cmpx_eq_u32_e32 0, v5
	s_cbranch_execz .LBB6_17404
; %bb.17403:                            ;   in Loop: Header=BB6_17268 Depth=3
	s_bcnt1_i32_b32 s23, s23
	v_mov_b32_e32 v6, v2
	v_mov_b32_e32 v5, s23
	ds_add_u64 v0, v[5:6]
	s_trap 2
.LBB6_17404:                            ;   in Loop: Header=BB6_17268 Depth=3
	s_or_b32 exec_lo, exec_lo, s22
	s_trap 2
	ds_read_b64 v[5:6], v0
	s_waitcnt lgkmcnt(0)
	buffer_gl0_inv
	v_add_co_u32 v38, vcc_lo, v38, v103
	v_add_co_ci_u32_e64 v39, null, 0, v39, vcc_lo
	s_mov_b32 s22, exec_lo
	v_cmpx_lt_u64_e64 v[5:6], v[38:39]
	s_cbranch_execz .LBB6_17413
; %bb.17405:                            ;   in Loop: Header=BB6_17268 Depth=3
	s_mov_b32 s23, 0
	s_mov_b32 s75, 0
                                        ; implicit-def: $sgpr73
                                        ; implicit-def: $sgpr74
	s_inst_prefetch 0x1
	s_branch .LBB6_17407
	.p2align	6
.LBB6_17406:                            ;   in Loop: Header=BB6_17407 Depth=4
	s_or_b32 exec_lo, exec_lo, s77
	s_and_b32 s76, exec_lo, s78
	s_or_b32 s23, s76, s23
	s_andn2_b32 s73, s73, exec_lo
	s_and_b32 s76, s74, exec_lo
	s_or_b32 s73, s73, s76
	s_andn2_b32 exec_lo, exec_lo, s23
	s_cbranch_execz .LBB6_17411
.LBB6_17407:                            ;   Parent Loop BB6_47 Depth=1
                                        ;     Parent Loop BB6_17265 Depth=2
                                        ;       Parent Loop BB6_17268 Depth=3
                                        ; =>      This Inner Loop Header: Depth=4
	s_add_i32 s75, s75, 1
	s_cmpk_lg_i32 s75, 0x2710
	s_cselect_b32 s76, -1, 0
	s_and_b32 vcc_lo, exec_lo, s76
	s_cbranch_vccz .LBB6_17409
; %bb.17408:                            ;   in Loop: Header=BB6_17407 Depth=4
	s_mov_b32 s78, -1
	s_or_b32 s74, s74, exec_lo
	s_and_saveexec_b32 s77, s76
	s_cbranch_execz .LBB6_17406
	s_branch .LBB6_17410
	.p2align	6
.LBB6_17409:                            ;   in Loop: Header=BB6_17407 Depth=4
	s_trap 2
	ds_read_b64 v[5:6], v0
	s_andn2_b32 s76, s76, exec_lo
	s_mov_b32 s75, 0
	s_waitcnt lgkmcnt(0)
	flat_load_dword v5, v[5:6] glc dlc
	s_waitcnt vmcnt(0) lgkmcnt(0)
	buffer_gl1_inv
	buffer_gl0_inv
	v_cmp_eq_u32_e32 vcc_lo, 0, v5
	s_and_b32 s77, vcc_lo, exec_lo
	s_or_b32 s76, s76, s77
	s_mov_b32 s78, -1
	s_or_b32 s74, s74, exec_lo
	s_and_saveexec_b32 s77, s76
	s_cbranch_execz .LBB6_17406
.LBB6_17410:                            ;   in Loop: Header=BB6_17407 Depth=4
	s_sleep 1
	s_trap 2
	ds_read_b64 v[5:6], v0
	s_waitcnt lgkmcnt(0)
	buffer_gl0_inv
	s_andn2_b32 s74, s74, exec_lo
	v_cmp_ge_u64_e32 vcc_lo, v[5:6], v[38:39]
	s_orn2_b32 s78, vcc_lo, exec_lo
	s_branch .LBB6_17406
.LBB6_17411:                            ;   in Loop: Header=BB6_17268 Depth=3
	s_inst_prefetch 0x2
	s_or_b32 exec_lo, exec_lo, s23
	s_and_saveexec_b32 s23, s73
	s_xor_b32 s23, exec_lo, s23
	s_cbranch_execz .LBB6_17413
; %bb.17412:                            ;   in Loop: Header=BB6_17268 Depth=3
	v_mov_b32_e32 v5, 1
	ds_write_b32 v0, v5
	s_trap 2
.LBB6_17413:                            ;   in Loop: Header=BB6_17268 Depth=3
	s_or_b32 exec_lo, exec_lo, s22
	;;#ASMSTART
	s_wakeup
	;;#ASMEND
.LBB6_17414:                            ;   in Loop: Header=BB6_17268 Depth=3
	s_or_b32 exec_lo, exec_lo, s19
.LBB6_17415:                            ;   in Loop: Header=BB6_17268 Depth=3
	s_andn2_saveexec_b32 s18, s18
	s_cbranch_execz .LBB6_17417
; %bb.17416:                            ;   in Loop: Header=BB6_17268 Depth=3
	s_waitcnt vmcnt(0) lgkmcnt(0)
	s_waitcnt_vscnt null, 0x0
	buffer_gl1_inv
	buffer_gl0_inv
	s_barrier
.LBB6_17417:                            ;   in Loop: Header=BB6_17268 Depth=3
	s_or_b32 exec_lo, exec_lo, s18
	s_or_b32 exec_lo, exec_lo, s17
                                        ; implicit-def: $vgpr5
	s_and_saveexec_b32 s17, s15
	s_xor_b32 s17, exec_lo, s17
	s_cbranch_execnz .LBB6_17345
.LBB6_17418:                            ;   in Loop: Header=BB6_17268 Depth=3
	s_andn2_saveexec_b32 s16, s17
	s_cbranch_execz .LBB6_17437
.LBB6_17419:                            ;   in Loop: Header=BB6_17268 Depth=3
	s_and_saveexec_b32 s17, s29
	s_xor_b32 s17, exec_lo, s17
	s_cbranch_execz .LBB6_17434
; %bb.17420:                            ;   in Loop: Header=BB6_17268 Depth=3
	s_and_saveexec_b32 s18, s11
	s_cbranch_execz .LBB6_17433
; %bb.17421:                            ;   in Loop: Header=BB6_17268 Depth=3
	s_mov_b32 s22, exec_lo
	s_mov_b32 s19, exec_lo
	v_mbcnt_lo_u32_b32 v5, s22, 0
	;;#ASMSTART
	s_waitcnt lgkmcnt(0) vmcnt(0)
	;;#ASMEND
	v_cmpx_eq_u32_e32 0, v5
	s_cbranch_execz .LBB6_17423
; %bb.17422:                            ;   in Loop: Header=BB6_17268 Depth=3
	s_bcnt1_i32_b32 s22, s22
	v_mov_b32_e32 v6, v2
	v_mov_b32_e32 v5, s22
	s_waitcnt vmcnt(0) lgkmcnt(0)
	s_waitcnt_vscnt null, 0x0
	ds_add_u64 v0, v[5:6]
	s_trap 2
.LBB6_17423:                            ;   in Loop: Header=BB6_17268 Depth=3
	s_or_b32 exec_lo, exec_lo, s19
	s_trap 2
	ds_read_b64 v[5:6], v0
	s_waitcnt vmcnt(0) lgkmcnt(0)
	buffer_gl0_inv
	v_add_co_u32 v38, vcc_lo, v38, v103
	v_add_co_ci_u32_e64 v39, null, 0, v39, vcc_lo
	s_mov_b32 s19, exec_lo
	v_cmpx_lt_u64_e64 v[5:6], v[38:39]
	s_cbranch_execz .LBB6_17432
; %bb.17424:                            ;   in Loop: Header=BB6_17268 Depth=3
	s_mov_b32 s22, 0
	s_mov_b32 s74, 0
                                        ; implicit-def: $sgpr23
                                        ; implicit-def: $sgpr73
	s_inst_prefetch 0x1
	s_branch .LBB6_17426
	.p2align	6
.LBB6_17425:                            ;   in Loop: Header=BB6_17426 Depth=4
	s_or_b32 exec_lo, exec_lo, s76
	s_and_b32 s75, exec_lo, s77
	s_or_b32 s22, s75, s22
	s_andn2_b32 s23, s23, exec_lo
	s_and_b32 s75, s73, exec_lo
	s_or_b32 s23, s23, s75
	s_andn2_b32 exec_lo, exec_lo, s22
	s_cbranch_execz .LBB6_17430
.LBB6_17426:                            ;   Parent Loop BB6_47 Depth=1
                                        ;     Parent Loop BB6_17265 Depth=2
                                        ;       Parent Loop BB6_17268 Depth=3
                                        ; =>      This Inner Loop Header: Depth=4
	s_add_i32 s74, s74, 1
	s_cmpk_lg_i32 s74, 0x2710
	s_cselect_b32 s75, -1, 0
	s_and_b32 vcc_lo, exec_lo, s75
	s_cbranch_vccz .LBB6_17428
; %bb.17427:                            ;   in Loop: Header=BB6_17426 Depth=4
	s_mov_b32 s77, -1
	s_or_b32 s73, s73, exec_lo
	s_and_saveexec_b32 s76, s75
	s_cbranch_execz .LBB6_17425
	s_branch .LBB6_17429
	.p2align	6
.LBB6_17428:                            ;   in Loop: Header=BB6_17426 Depth=4
	s_trap 2
	ds_read_b64 v[5:6], v0
	s_andn2_b32 s75, s75, exec_lo
	s_mov_b32 s74, 0
	s_waitcnt lgkmcnt(0)
	s_waitcnt_vscnt null, 0x0
	flat_load_dword v5, v[5:6] glc dlc
	s_waitcnt vmcnt(0) lgkmcnt(0)
	buffer_gl1_inv
	buffer_gl0_inv
	v_cmp_eq_u32_e32 vcc_lo, 0, v5
	s_and_b32 s76, vcc_lo, exec_lo
	s_or_b32 s75, s75, s76
	s_mov_b32 s77, -1
	s_or_b32 s73, s73, exec_lo
	s_and_saveexec_b32 s76, s75
	s_cbranch_execz .LBB6_17425
.LBB6_17429:                            ;   in Loop: Header=BB6_17426 Depth=4
	s_sleep 1
	s_trap 2
	ds_read_b64 v[5:6], v0
	s_waitcnt lgkmcnt(0)
	buffer_gl0_inv
	s_andn2_b32 s73, s73, exec_lo
	v_cmp_ge_u64_e32 vcc_lo, v[5:6], v[38:39]
	s_orn2_b32 s77, vcc_lo, exec_lo
	s_branch .LBB6_17425
.LBB6_17430:                            ;   in Loop: Header=BB6_17268 Depth=3
	s_inst_prefetch 0x2
	s_or_b32 exec_lo, exec_lo, s22
	s_and_saveexec_b32 s22, s23
	s_xor_b32 s22, exec_lo, s22
	s_cbranch_execz .LBB6_17432
; %bb.17431:                            ;   in Loop: Header=BB6_17268 Depth=3
	v_mov_b32_e32 v5, 1
	ds_write_b32 v0, v5
	s_trap 2
.LBB6_17432:                            ;   in Loop: Header=BB6_17268 Depth=3
	s_or_b32 exec_lo, exec_lo, s19
	;;#ASMSTART
	s_wakeup
	;;#ASMEND
.LBB6_17433:                            ;   in Loop: Header=BB6_17268 Depth=3
	s_or_b32 exec_lo, exec_lo, s18
.LBB6_17434:                            ;   in Loop: Header=BB6_17268 Depth=3
	s_andn2_saveexec_b32 s17, s17
	s_cbranch_execz .LBB6_17436
; %bb.17435:                            ;   in Loop: Header=BB6_17268 Depth=3
	;;#ASMSTART
	s_waitcnt lgkmcnt(0) vmcnt(0)
	;;#ASMEND
	s_barrier
.LBB6_17436:                            ;   in Loop: Header=BB6_17268 Depth=3
	s_or_b32 exec_lo, exec_lo, s17
	v_and_b32_e32 v5, 16, v100
.LBB6_17437:                            ;   in Loop: Header=BB6_17268 Depth=3
	s_or_b32 exec_lo, exec_lo, s16
	v_cmp_ne_u32_e32 vcc_lo, 0, v5
	s_xor_b32 s16, s7, -1
	s_and_b32 s17, vcc_lo, s16
	s_and_saveexec_b32 s16, s17
	s_cbranch_execz .LBB6_17439
; %bb.17438:                            ;   in Loop: Header=BB6_17268 Depth=3
	v_mov_b32_e32 v5, 1
	s_waitcnt vmcnt(0) lgkmcnt(0)
	s_waitcnt_vscnt null, 0x0
	flat_store_dword v[70:71], v5
.LBB6_17439:                            ;   in Loop: Header=BB6_17268 Depth=3
	s_or_b32 exec_lo, exec_lo, s16
	v_and_b32_e32 v5, 48, v100
	s_mov_b32 s16, exec_lo
	v_cmpx_ne_u32_e32 0, v5
	s_cbranch_execz .LBB6_17267
; %bb.17440:                            ;   in Loop: Header=BB6_17268 Depth=3
	v_add_co_u32 v64, vcc_lo, v64, 2
	v_add_co_ci_u32_e64 v65, null, 0, v65, vcc_lo
	s_waitcnt vmcnt(0) lgkmcnt(0)
	s_waitcnt_vscnt null, 0x0
	flat_store_dwordx2 v[32:33], v[64:65]
	s_branch .LBB6_17267
.LBB6_17441:                            ;   in Loop: Header=BB6_17265 Depth=2
	s_or_b32 exec_lo, exec_lo, s62
.LBB6_17442:                            ;   in Loop: Header=BB6_17265 Depth=2
	s_or_b32 exec_lo, exec_lo, s61
	s_mov_b32 s17, exec_lo
	v_cmpx_gt_i32_e32 2, v5
	s_cbranch_execz .LBB6_17518
; %bb.17443:                            ;   in Loop: Header=BB6_17265 Depth=2
	v_cmp_eq_u32_e64 s19, 0, v5
	s_mov_b32 s18, 0
	s_branch .LBB6_17445
.LBB6_17444:                            ;   in Loop: Header=BB6_17445 Depth=3
	s_or_b32 exec_lo, exec_lo, s16
	v_add_nc_u32_e32 v1, v12, v1
	s_mov_b32 s19, 0
	s_andn2_b32 exec_lo, exec_lo, s18
	s_cbranch_execz .LBB6_17517
.LBB6_17445:                            ;   Parent Loop BB6_47 Depth=1
                                        ;     Parent Loop BB6_17265 Depth=2
                                        ; =>    This Loop Header: Depth=3
                                        ;         Child Loop BB6_17451 Depth 4
                                        ;         Child Loop BB6_17479 Depth 4
	;; [unrolled: 1-line block ×3, first 2 shown]
	v_sub_nc_u32_e32 v3, v0, v1
	v_and_b32_e32 v4, 12, v100
	s_mov_b32 s22, exec_lo
	v_min_i32_e32 v12, v12, v3
	v_cmpx_ne_u32_e32 0, v4
	s_cbranch_execz .LBB6_17471
; %bb.17446:                            ;   in Loop: Header=BB6_17445 Depth=3
	v_and_b32_e32 v3, 8, v100
	s_mov_b32 s23, exec_lo
	s_waitcnt vmcnt(0) lgkmcnt(1)
	v_add_co_u32 v4, vcc_lo, v48, v3
	v_add_co_ci_u32_e64 v5, null, 0, v49, vcc_lo
	v_add_co_u32 v8, vcc_lo, v64, 2
	v_add_co_ci_u32_e64 v9, null, 0, v65, vcc_lo
	v_cmpx_lt_u64_e64 v[4:5], v[8:9]
	s_cbranch_execz .LBB6_17458
; %bb.17447:                            ;   in Loop: Header=BB6_17445 Depth=3
	v_and_b32_e32 v4, 64, v100
	s_mov_b32 s61, 0
	s_mov_b32 s73, 0
                                        ; implicit-def: $sgpr62
                                        ; implicit-def: $sgpr63
                                        ; implicit-def: $sgpr72
	v_cmp_eq_u32_e32 vcc_lo, 0, v4
	s_branch .LBB6_17451
.LBB6_17448:                            ;   in Loop: Header=BB6_17451 Depth=4
	s_waitcnt vmcnt(0) lgkmcnt(0)
	v_add_co_u32 v5, s16, v48, v3
	v_add_co_ci_u32_e64 v6, null, 0, v49, s16
	s_or_b32 s76, s76, exec_lo
	v_cmp_ge_u64_e64 s16, v[5:6], v[8:9]
	s_orn2_b32 s75, s16, exec_lo
.LBB6_17449:                            ;   in Loop: Header=BB6_17451 Depth=4
	s_or_b32 exec_lo, exec_lo, s78
	s_andn2_b32 s16, s72, exec_lo
	s_and_b32 s72, s76, exec_lo
	s_andn2_b32 s63, s63, exec_lo
	s_and_b32 s75, s75, exec_lo
	s_or_b32 s72, s16, s72
	s_or_b32 s63, s63, s75
.LBB6_17450:                            ;   in Loop: Header=BB6_17451 Depth=4
	s_or_b32 exec_lo, exec_lo, s74
	s_and_b32 s16, exec_lo, s63
	s_or_b32 s61, s16, s61
	s_andn2_b32 s16, s62, exec_lo
	s_and_b32 s62, s72, exec_lo
	s_or_b32 s62, s16, s62
	s_andn2_b32 exec_lo, exec_lo, s61
	s_cbranch_execz .LBB6_17455
.LBB6_17451:                            ;   Parent Loop BB6_47 Depth=1
                                        ;     Parent Loop BB6_17265 Depth=2
                                        ;       Parent Loop BB6_17445 Depth=3
                                        ; =>      This Inner Loop Header: Depth=4
	s_sleep 1
	s_waitcnt vmcnt(0) lgkmcnt(0)
	flat_load_dwordx2 v[48:49], v[32:33] glc dlc
	s_or_b32 s72, s72, exec_lo
	s_or_b32 s63, s63, exec_lo
                                        ; implicit-def: $vgpr4
	s_and_saveexec_b32 s74, vcc_lo
	s_cbranch_execz .LBB6_17450
; %bb.17452:                            ;   in Loop: Header=BB6_17451 Depth=4
	s_cmpk_lt_i32 s73, 0x270f
	s_mov_b32 s75, -1
	s_cselect_b32 s77, -1, 0
	s_cmpk_gt_i32 s73, 0x270e
	s_cbranch_scc0 .LBB6_17454
; %bb.17453:                            ;   in Loop: Header=BB6_17451 Depth=4
	s_trap 2
	ds_read_b64 v[4:5], v0
	s_andn2_b32 s73, s77, exec_lo
	s_mov_b32 s76, 0
	s_waitcnt vmcnt(0) lgkmcnt(0)
	s_waitcnt_vscnt null, 0x0
	flat_load_dword v4, v[4:5] glc dlc
	s_waitcnt vmcnt(0) lgkmcnt(0)
	buffer_gl1_inv
	buffer_gl0_inv
	v_cmp_eq_u32_e64 s16, 0, v4
	s_and_b32 s16, s16, exec_lo
	s_or_b32 s77, s73, s16
	s_mov_b32 s73, 0
	s_and_saveexec_b32 s78, s77
	s_cbranch_execz .LBB6_17449
	s_branch .LBB6_17448
.LBB6_17454:                            ;   in Loop: Header=BB6_17451 Depth=4
	s_add_i32 s73, s73, 1
	s_mov_b32 s76, -1
                                        ; implicit-def: $vgpr4
	s_and_saveexec_b32 s78, s77
	s_cbranch_execz .LBB6_17449
	s_branch .LBB6_17448
.LBB6_17455:                            ;   in Loop: Header=BB6_17445 Depth=3
	s_or_b32 exec_lo, exec_lo, s61
	s_xor_b32 s16, s62, -1
	s_and_saveexec_b32 s61, s16
	s_xor_b32 s16, exec_lo, s61
	s_cbranch_execz .LBB6_17457
; %bb.17456:                            ;   in Loop: Header=BB6_17445 Depth=3
	v_or_b32_e32 v100, 64, v100
	s_waitcnt vmcnt(0) lgkmcnt(0)
	s_waitcnt_vscnt null, 0x0
	ds_write_b32 v0, v4
	s_trap 2
.LBB6_17457:                            ;   in Loop: Header=BB6_17445 Depth=3
	s_or_b32 exec_lo, exec_lo, s16
.LBB6_17458:                            ;   in Loop: Header=BB6_17445 Depth=3
	s_or_b32 exec_lo, exec_lo, s23
	v_and_b32_e32 v4, 0x108, v100
	s_mov_b32 s16, exec_lo
	;;#ASMSTART
	s_wakeup
	;;#ASMEND
                                        ; implicit-def: $vgpr10_vgpr11
	v_cmpx_ne_u32_e32 0x108, v4
	s_xor_b32 s16, exec_lo, s16
; %bb.17459:                            ;   in Loop: Header=BB6_17445 Depth=3
	v_and_b32_e32 v10, 7, v64
	v_mov_b32_e32 v11, v2
                                        ; implicit-def: $vgpr64_vgpr65
; %bb.17460:                            ;   in Loop: Header=BB6_17445 Depth=3
	s_andn2_saveexec_b32 s16, s16
	s_cbranch_execz .LBB6_17462
; %bb.17461:                            ;   in Loop: Header=BB6_17445 Depth=3
	v_and_b32_e32 v10, 7, v64
	v_ashrrev_i32_e32 v13, 31, v12
	v_mov_b32_e32 v11, v2
	v_mad_u64_u32 v[4:5], null, v10, 24, v[112:113]
	flat_store_dwordx2 v[4:5], v[12:13] offset:8
.LBB6_17462:                            ;   in Loop: Header=BB6_17445 Depth=3
	s_or_b32 exec_lo, exec_lo, s16
	v_and_b32_e32 v4, 0x100, v100
	s_mov_b32 s16, -1
	s_mov_b32 s23, exec_lo
                                        ; implicit-def: $vgpr13_vgpr14
	v_cmpx_ne_u32_e32 0, v4
	s_cbranch_execz .LBB6_17466
; %bb.17463:                            ;   in Loop: Header=BB6_17445 Depth=3
	v_mad_u64_u32 v[15:16], null, v10, 24, v[112:113]
	s_mov_b32 s61, exec_lo
                                        ; implicit-def: $vgpr13_vgpr14
	v_mov_b32_e32 v4, v16
	v_mad_u64_u32 v[4:5], null, v11, 24, v[4:5]
	v_mov_b32_e32 v16, v4
	flat_load_dword v4, v[15:16]
	s_waitcnt vmcnt(0) lgkmcnt(0)
	v_cmp_ne_u32_e32 vcc_lo, 1, v4
	v_cmpx_eq_u32_e32 1, v4
	s_cbranch_execz .LBB6_17465
; %bb.17464:                            ;   in Loop: Header=BB6_17445 Depth=3
	flat_load_dword v13, v[15:16] offset:4 glc dlc
	s_waitcnt vmcnt(0) lgkmcnt(0)
	v_ashrrev_i32_e32 v14, 31, v13
.LBB6_17465:                            ;   in Loop: Header=BB6_17445 Depth=3
	s_or_b32 exec_lo, exec_lo, s61
	s_orn2_b32 s16, vcc_lo, exec_lo
.LBB6_17466:                            ;   in Loop: Header=BB6_17445 Depth=3
	s_or_b32 exec_lo, exec_lo, s23
	s_and_saveexec_b32 s23, s16
	s_cbranch_execz .LBB6_17468
; %bb.17467:                            ;   in Loop: Header=BB6_17445 Depth=3
	buffer_load_dword v5, off, s[0:3], s33 offset:200 ; 4-byte Folded Reload
	v_mul_lo_u32 v4, v11, v54
	v_mad_u64_u32 v[13:14], null, v10, v54, 0
	s_waitcnt vmcnt(0)
	v_mul_lo_u32 v5, v10, v5
	v_add3_u32 v14, v14, v5, v4
.LBB6_17468:                            ;   in Loop: Header=BB6_17445 Depth=3
	s_or_b32 exec_lo, exec_lo, s23
	v_cmp_eq_u32_e32 vcc_lo, 0, v3
	v_mov_b32_e32 v3, 0x88
	v_and_b32_e32 v6, 0x2000, v100
	s_mov_b32 s16, exec_lo
	v_cndmask_b32_e32 v5, 0xd0, v3, vcc_lo
	v_add_co_u32 v3, vcc_lo, v34, v13
	v_add_co_ci_u32_e64 v4, null, v35, v14, vcc_lo
	v_add_nc_u32_e32 v5, v0, v5
	ds_write_b64 v5, v[3:4] offset:584
	v_cmpx_ne_u32_e32 0, v6
	s_cbranch_execz .LBB6_17470
; %bb.17469:                            ;   in Loop: Header=BB6_17445 Depth=3
	ds_read_b64 v[3:4], v0 offset:872
	s_waitcnt lgkmcnt(0)
	v_add_co_u32 v3, vcc_lo, v3, 1
	v_add_co_ci_u32_e64 v4, null, 0, v4, vcc_lo
	ds_write_b64 v0, v[3:4] offset:872
.LBB6_17470:                            ;   in Loop: Header=BB6_17445 Depth=3
	s_or_b32 exec_lo, exec_lo, s16
	v_mov_b32_e32 v65, v9
	v_mov_b32_e32 v64, v8
.LBB6_17471:                            ;   in Loop: Header=BB6_17445 Depth=3
	s_or_b32 exec_lo, exec_lo, s22
	s_xor_b32 s16, s19, -1
	s_and_b32 s16, exec_lo, s16
	s_or_b32 s18, s16, s18
	s_and_saveexec_b32 s16, s6
	s_cbranch_execz .LBB6_17490
; %bb.17472:                            ;   in Loop: Header=BB6_17445 Depth=3
	s_and_saveexec_b32 s19, s29
	s_xor_b32 s19, exec_lo, s19
	s_cbranch_execz .LBB6_17487
; %bb.17473:                            ;   in Loop: Header=BB6_17445 Depth=3
	s_and_saveexec_b32 s22, s11
	s_cbranch_execz .LBB6_17486
; %bb.17474:                            ;   in Loop: Header=BB6_17445 Depth=3
	s_mov_b32 s61, exec_lo
	s_mov_b32 s23, exec_lo
	v_mbcnt_lo_u32_b32 v3, s61, 0
	s_waitcnt vmcnt(0) lgkmcnt(0)
	s_waitcnt_vscnt null, 0x0
	buffer_gl1_inv
	buffer_gl0_inv
	v_cmpx_eq_u32_e32 0, v3
	s_cbranch_execz .LBB6_17476
; %bb.17475:                            ;   in Loop: Header=BB6_17445 Depth=3
	s_bcnt1_i32_b32 s61, s61
	v_mov_b32_e32 v4, v2
	v_mov_b32_e32 v3, s61
	ds_add_u64 v0, v[3:4]
	s_trap 2
.LBB6_17476:                            ;   in Loop: Header=BB6_17445 Depth=3
	s_or_b32 exec_lo, exec_lo, s23
	s_trap 2
	ds_read_b64 v[3:4], v0
	s_waitcnt lgkmcnt(0)
	buffer_gl0_inv
	v_add_co_u32 v38, vcc_lo, v38, v103
	v_add_co_ci_u32_e64 v39, null, 0, v39, vcc_lo
	s_mov_b32 s23, exec_lo
	v_cmpx_lt_u64_e64 v[3:4], v[38:39]
	s_cbranch_execz .LBB6_17485
; %bb.17477:                            ;   in Loop: Header=BB6_17445 Depth=3
	s_mov_b32 s61, 0
	s_mov_b32 s72, 0
                                        ; implicit-def: $sgpr62
                                        ; implicit-def: $sgpr63
	s_inst_prefetch 0x1
	s_branch .LBB6_17479
	.p2align	6
.LBB6_17478:                            ;   in Loop: Header=BB6_17479 Depth=4
	s_or_b32 exec_lo, exec_lo, s74
	s_and_b32 s73, exec_lo, s75
	s_or_b32 s61, s73, s61
	s_andn2_b32 s62, s62, exec_lo
	s_and_b32 s73, s63, exec_lo
	s_or_b32 s62, s62, s73
	s_andn2_b32 exec_lo, exec_lo, s61
	s_cbranch_execz .LBB6_17483
.LBB6_17479:                            ;   Parent Loop BB6_47 Depth=1
                                        ;     Parent Loop BB6_17265 Depth=2
                                        ;       Parent Loop BB6_17445 Depth=3
                                        ; =>      This Inner Loop Header: Depth=4
	s_add_i32 s72, s72, 1
	s_cmpk_lg_i32 s72, 0x2710
	s_cselect_b32 s73, -1, 0
	s_and_b32 vcc_lo, exec_lo, s73
	s_cbranch_vccz .LBB6_17481
; %bb.17480:                            ;   in Loop: Header=BB6_17479 Depth=4
	s_mov_b32 s75, -1
	s_or_b32 s63, s63, exec_lo
	s_and_saveexec_b32 s74, s73
	s_cbranch_execz .LBB6_17478
	s_branch .LBB6_17482
	.p2align	6
.LBB6_17481:                            ;   in Loop: Header=BB6_17479 Depth=4
	s_trap 2
	ds_read_b64 v[3:4], v0
	s_andn2_b32 s73, s73, exec_lo
	s_mov_b32 s72, 0
	s_waitcnt lgkmcnt(0)
	flat_load_dword v3, v[3:4] glc dlc
	s_waitcnt vmcnt(0) lgkmcnt(0)
	buffer_gl1_inv
	buffer_gl0_inv
	v_cmp_eq_u32_e32 vcc_lo, 0, v3
	s_and_b32 s74, vcc_lo, exec_lo
	s_or_b32 s73, s73, s74
	s_mov_b32 s75, -1
	s_or_b32 s63, s63, exec_lo
	s_and_saveexec_b32 s74, s73
	s_cbranch_execz .LBB6_17478
.LBB6_17482:                            ;   in Loop: Header=BB6_17479 Depth=4
	s_sleep 1
	s_trap 2
	ds_read_b64 v[3:4], v0
	s_waitcnt lgkmcnt(0)
	buffer_gl0_inv
	s_andn2_b32 s63, s63, exec_lo
	v_cmp_ge_u64_e32 vcc_lo, v[3:4], v[38:39]
	s_orn2_b32 s75, vcc_lo, exec_lo
	s_branch .LBB6_17478
.LBB6_17483:                            ;   in Loop: Header=BB6_17445 Depth=3
	s_inst_prefetch 0x2
	s_or_b32 exec_lo, exec_lo, s61
	s_and_saveexec_b32 s61, s62
	s_xor_b32 s61, exec_lo, s61
	s_cbranch_execz .LBB6_17485
; %bb.17484:                            ;   in Loop: Header=BB6_17445 Depth=3
	v_mov_b32_e32 v3, 1
	ds_write_b32 v0, v3
	s_trap 2
.LBB6_17485:                            ;   in Loop: Header=BB6_17445 Depth=3
	s_or_b32 exec_lo, exec_lo, s23
	;;#ASMSTART
	s_wakeup
	;;#ASMEND
.LBB6_17486:                            ;   in Loop: Header=BB6_17445 Depth=3
	s_or_b32 exec_lo, exec_lo, s22
.LBB6_17487:                            ;   in Loop: Header=BB6_17445 Depth=3
	s_andn2_saveexec_b32 s19, s19
	s_cbranch_execz .LBB6_17489
; %bb.17488:                            ;   in Loop: Header=BB6_17445 Depth=3
	s_waitcnt vmcnt(0) lgkmcnt(0)
	s_waitcnt_vscnt null, 0x0
	buffer_gl1_inv
	buffer_gl0_inv
	s_barrier
.LBB6_17489:                            ;   in Loop: Header=BB6_17445 Depth=3
	s_or_b32 exec_lo, exec_lo, s19
.LBB6_17490:                            ;   in Loop: Header=BB6_17445 Depth=3
	s_or_b32 exec_lo, exec_lo, s16
                                        ; implicit-def: $vgpr3
	s_and_saveexec_b32 s16, s15
	s_xor_b32 s19, exec_lo, s16
	s_cbranch_execz .LBB6_17494
; %bb.17491:                            ;   in Loop: Header=BB6_17445 Depth=3
	s_trap 2
	ds_read_b32 v3, v0
	v_cmp_lt_i32_e32 vcc_lo, 0, v12
	s_waitcnt lgkmcnt(0)
	v_readfirstlane_b32 s16, v3
	v_and_b32_e32 v3, 16, v100
	s_cmp_eq_u32 s16, 0
	v_cmp_ne_u32_e64 s16, 0, v3
	s_cselect_b32 s22, -1, 0
	v_and_b32_e32 v3, 16, v100
	s_and_b32 s22, vcc_lo, s22
	s_and_b32 s22, s16, s22
	s_and_saveexec_b32 s16, s22
	s_cbranch_execz .LBB6_17493
; %bb.17492:                            ;   in Loop: Header=BB6_17445 Depth=3
	v_mov_b32_e32 v3, 1
	s_waitcnt vmcnt(0)
	s_waitcnt_vscnt null, 0x0
	buffer_gl1_inv
	buffer_gl0_inv
.LBB6_17493:                            ;   in Loop: Header=BB6_17445 Depth=3
	s_or_b32 exec_lo, exec_lo, s16
	s_andn2_saveexec_b32 s16, s19
	s_cbranch_execz .LBB6_17513
	s_branch .LBB6_17495
.LBB6_17494:                            ;   in Loop: Header=BB6_17445 Depth=3
	s_andn2_saveexec_b32 s16, s19
	s_cbranch_execz .LBB6_17513
.LBB6_17495:                            ;   in Loop: Header=BB6_17445 Depth=3
	s_and_saveexec_b32 s19, s29
	s_xor_b32 s19, exec_lo, s19
	s_cbranch_execz .LBB6_17510
; %bb.17496:                            ;   in Loop: Header=BB6_17445 Depth=3
	s_and_saveexec_b32 s22, s11
	s_cbranch_execz .LBB6_17509
; %bb.17497:                            ;   in Loop: Header=BB6_17445 Depth=3
	s_mov_b32 s61, exec_lo
	s_mov_b32 s23, exec_lo
	v_mbcnt_lo_u32_b32 v3, s61, 0
	;;#ASMSTART
	s_waitcnt lgkmcnt(0) vmcnt(0)
	;;#ASMEND
	v_cmpx_eq_u32_e32 0, v3
	s_cbranch_execz .LBB6_17499
; %bb.17498:                            ;   in Loop: Header=BB6_17445 Depth=3
	s_bcnt1_i32_b32 s61, s61
	v_mov_b32_e32 v4, v2
	v_mov_b32_e32 v3, s61
	s_waitcnt vmcnt(0) lgkmcnt(0)
	s_waitcnt_vscnt null, 0x0
	ds_add_u64 v0, v[3:4]
	s_trap 2
.LBB6_17499:                            ;   in Loop: Header=BB6_17445 Depth=3
	s_or_b32 exec_lo, exec_lo, s23
	s_trap 2
	ds_read_b64 v[3:4], v0
	s_waitcnt vmcnt(0) lgkmcnt(0)
	buffer_gl0_inv
	v_add_co_u32 v38, vcc_lo, v38, v103
	v_add_co_ci_u32_e64 v39, null, 0, v39, vcc_lo
	s_mov_b32 s23, exec_lo
	v_cmpx_lt_u64_e64 v[3:4], v[38:39]
	s_cbranch_execz .LBB6_17508
; %bb.17500:                            ;   in Loop: Header=BB6_17445 Depth=3
	s_mov_b32 s61, 0
	s_mov_b32 s72, 0
                                        ; implicit-def: $sgpr62
                                        ; implicit-def: $sgpr63
	s_inst_prefetch 0x1
	s_branch .LBB6_17502
	.p2align	6
.LBB6_17501:                            ;   in Loop: Header=BB6_17502 Depth=4
	s_or_b32 exec_lo, exec_lo, s74
	s_and_b32 s73, exec_lo, s75
	s_or_b32 s61, s73, s61
	s_andn2_b32 s62, s62, exec_lo
	s_and_b32 s73, s63, exec_lo
	s_or_b32 s62, s62, s73
	s_andn2_b32 exec_lo, exec_lo, s61
	s_cbranch_execz .LBB6_17506
.LBB6_17502:                            ;   Parent Loop BB6_47 Depth=1
                                        ;     Parent Loop BB6_17265 Depth=2
                                        ;       Parent Loop BB6_17445 Depth=3
                                        ; =>      This Inner Loop Header: Depth=4
	s_add_i32 s72, s72, 1
	s_cmpk_lg_i32 s72, 0x2710
	s_cselect_b32 s73, -1, 0
	s_and_b32 vcc_lo, exec_lo, s73
	s_cbranch_vccz .LBB6_17504
; %bb.17503:                            ;   in Loop: Header=BB6_17502 Depth=4
	s_mov_b32 s75, -1
	s_or_b32 s63, s63, exec_lo
	s_and_saveexec_b32 s74, s73
	s_cbranch_execz .LBB6_17501
	s_branch .LBB6_17505
	.p2align	6
.LBB6_17504:                            ;   in Loop: Header=BB6_17502 Depth=4
	s_trap 2
	ds_read_b64 v[3:4], v0
	s_andn2_b32 s73, s73, exec_lo
	s_mov_b32 s72, 0
	s_waitcnt lgkmcnt(0)
	s_waitcnt_vscnt null, 0x0
	flat_load_dword v3, v[3:4] glc dlc
	s_waitcnt vmcnt(0) lgkmcnt(0)
	buffer_gl1_inv
	buffer_gl0_inv
	v_cmp_eq_u32_e32 vcc_lo, 0, v3
	s_and_b32 s74, vcc_lo, exec_lo
	s_or_b32 s73, s73, s74
	s_mov_b32 s75, -1
	s_or_b32 s63, s63, exec_lo
	s_and_saveexec_b32 s74, s73
	s_cbranch_execz .LBB6_17501
.LBB6_17505:                            ;   in Loop: Header=BB6_17502 Depth=4
	s_sleep 1
	s_trap 2
	ds_read_b64 v[3:4], v0
	s_waitcnt lgkmcnt(0)
	buffer_gl0_inv
	s_andn2_b32 s63, s63, exec_lo
	v_cmp_ge_u64_e32 vcc_lo, v[3:4], v[38:39]
	s_orn2_b32 s75, vcc_lo, exec_lo
	s_branch .LBB6_17501
.LBB6_17506:                            ;   in Loop: Header=BB6_17445 Depth=3
	s_inst_prefetch 0x2
	s_or_b32 exec_lo, exec_lo, s61
	s_and_saveexec_b32 s61, s62
	s_xor_b32 s61, exec_lo, s61
	s_cbranch_execz .LBB6_17508
; %bb.17507:                            ;   in Loop: Header=BB6_17445 Depth=3
	v_mov_b32_e32 v3, 1
	ds_write_b32 v0, v3
	s_trap 2
.LBB6_17508:                            ;   in Loop: Header=BB6_17445 Depth=3
	s_or_b32 exec_lo, exec_lo, s23
	;;#ASMSTART
	s_wakeup
	;;#ASMEND
.LBB6_17509:                            ;   in Loop: Header=BB6_17445 Depth=3
	s_or_b32 exec_lo, exec_lo, s22
.LBB6_17510:                            ;   in Loop: Header=BB6_17445 Depth=3
	s_andn2_saveexec_b32 s19, s19
	s_cbranch_execz .LBB6_17512
; %bb.17511:                            ;   in Loop: Header=BB6_17445 Depth=3
	;;#ASMSTART
	s_waitcnt lgkmcnt(0) vmcnt(0)
	;;#ASMEND
	s_barrier
.LBB6_17512:                            ;   in Loop: Header=BB6_17445 Depth=3
	s_or_b32 exec_lo, exec_lo, s19
	v_and_b32_e32 v3, 16, v100
.LBB6_17513:                            ;   in Loop: Header=BB6_17445 Depth=3
	s_or_b32 exec_lo, exec_lo, s16
	v_cmp_ne_u32_e32 vcc_lo, 0, v3
	s_xor_b32 s16, s7, -1
	s_and_b32 s19, vcc_lo, s16
	s_and_saveexec_b32 s16, s19
	s_cbranch_execz .LBB6_17515
; %bb.17514:                            ;   in Loop: Header=BB6_17445 Depth=3
	v_mov_b32_e32 v3, 1
	s_waitcnt vmcnt(0) lgkmcnt(0)
	s_waitcnt_vscnt null, 0x0
	flat_store_dword v[70:71], v3
.LBB6_17515:                            ;   in Loop: Header=BB6_17445 Depth=3
	s_or_b32 exec_lo, exec_lo, s16
	v_and_b32_e32 v3, 48, v100
	s_mov_b32 s16, exec_lo
	v_cmpx_ne_u32_e32 0, v3
	s_cbranch_execz .LBB6_17444
; %bb.17516:                            ;   in Loop: Header=BB6_17445 Depth=3
	v_add_co_u32 v64, vcc_lo, v64, 2
	v_add_co_ci_u32_e64 v65, null, 0, v65, vcc_lo
	s_waitcnt vmcnt(0) lgkmcnt(0)
	s_waitcnt_vscnt null, 0x0
	flat_store_dwordx2 v[32:33], v[64:65]
	s_branch .LBB6_17444
.LBB6_17517:                            ;   in Loop: Header=BB6_17265 Depth=2
	s_or_b32 exec_lo, exec_lo, s18
.LBB6_17518:                            ;   in Loop: Header=BB6_17265 Depth=2
	s_or_b32 exec_lo, exec_lo, s17
	s_add_i32 s16, s21, 1
	s_cmp_eq_u32 s21, s56
	s_cbranch_scc1 .LBB6_17520
; %bb.17519:                            ;   in Loop: Header=BB6_17265 Depth=2
	s_mov_b32 s21, s16
	s_branch .LBB6_17265
.LBB6_17520:                            ;   in Loop: Header=BB6_47 Depth=1
	s_clause 0x1
	buffer_load_dword v3, off, s[0:3], s33 offset:432
	buffer_load_dword v4, off, s[0:3], s33 offset:436
	s_waitcnt vmcnt(5)
	v_mov_b32_e32 v6, 0
	s_waitcnt vmcnt(1)
	v_mul_lo_u32 v1, v3, s59
	s_waitcnt vmcnt(0)
	v_mul_lo_u32 v0, v4, s58
	v_mad_u64_u32 v[8:9], null, v3, s58, 0
	v_add3_u32 v9, v9, v1, v0
	s_clause 0x1
	buffer_load_dword v0, off, s[0:3], s33 offset:424
	buffer_load_dword v1, off, s[0:3], s33 offset:428
	s_waitcnt vmcnt(1)
	v_sub_co_u32 v0, vcc_lo, v0, v8
	s_waitcnt vmcnt(0)
	v_sub_co_ci_u32_e64 v1, null, v1, v9, vcc_lo
	v_cmp_lt_i64_e32 vcc_lo, v[3:4], v[0:1]
	v_cndmask_b32_e32 v1, v0, v3, vcc_lo
	v_max_i32_e32 v0, 0, v1
	v_cmp_lt_i32_e32 vcc_lo, 0, v1
	v_add_nc_u32_e32 v3, 31, v0
	s_and_b32 s16, s57, vcc_lo
	v_lshrrev_b32_e32 v3, 1, v3
	v_and_b32_e32 v3, 0x3ffffff0, v3
	v_max_i32_e32 v1, s45, v3
	v_mov_b32_e32 v3, 0
	s_and_saveexec_b32 s18, s16
	s_cbranch_execz .LBB6_17658
; %bb.17521:                            ;   in Loop: Header=BB6_47 Depth=1
	buffer_load_dword v3, off, s[0:3], s33 offset:248 ; 4-byte Folded Reload
	s_mov_b32 s22, 1
	s_mov_b32 s21, -1
	s_mov_b32 s19, 0
	s_waitcnt vmcnt(0)
	v_add_co_u32 v4, vcc_lo, v8, v3
	buffer_load_dword v3, off, s[0:3], s33 offset:252 ; 4-byte Folded Reload
	s_waitcnt vmcnt(0)
	v_add_co_ci_u32_e64 v5, null, v9, v3, vcc_lo
	v_mov_b32_e32 v3, 0
	s_branch .LBB6_17523
.LBB6_17522:                            ;   in Loop: Header=BB6_17523 Depth=2
	s_or_b32 exec_lo, exec_lo, s16
	v_add_nc_u32_e32 v3, v1, v3
	s_xor_b32 s16, s21, -1
	v_mov_b32_e32 v6, s22
	s_mov_b32 s21, 0
	s_mov_b32 s22, 2
	v_cmp_ge_i32_e32 vcc_lo, v3, v0
	s_or_b32 s16, s16, vcc_lo
	s_and_b32 s16, exec_lo, s16
	s_or_b32 s19, s16, s19
	s_andn2_b32 exec_lo, exec_lo, s19
	s_cbranch_execz .LBB6_17657
.LBB6_17523:                            ;   Parent Loop BB6_47 Depth=1
                                        ; =>  This Loop Header: Depth=2
                                        ;       Child Loop BB6_17531 Depth 3
                                        ;       Child Loop BB6_17555 Depth 3
                                        ;       Child Loop BB6_17574 Depth 3
                                        ;       Child Loop BB6_17600 Depth 3
                                        ;       Child Loop BB6_17605 Depth 3
                                        ;       Child Loop BB6_17611 Depth 3
                                        ;       Child Loop BB6_17616 Depth 3
                                        ;       Child Loop BB6_17625 Depth 3
                                        ;       Child Loop BB6_17644 Depth 3
	s_and_saveexec_b32 s17, s4
	s_cbranch_execz .LBB6_17525
; %bb.17524:                            ;   in Loop: Header=BB6_17523 Depth=2
	s_trap 2
	ds_read_b128 v[6:9], v0
	s_waitcnt vmcnt(4)
	v_ashrrev_i32_e32 v10, 31, v3
	s_waitcnt vmcnt(3) lgkmcnt(0)
	v_add_co_u32 v11, vcc_lo, v8, v4
	v_add_co_ci_u32_e64 v12, null, v9, v5, vcc_lo
	v_add_co_u32 v6, vcc_lo, v6, v4
	v_add_co_ci_u32_e64 v7, null, v7, v5, vcc_lo
	v_add_co_u32 v11, vcc_lo, v11, v3
	v_add_co_ci_u32_e64 v12, null, v12, v10, vcc_lo
	v_cmp_ne_u64_e32 vcc_lo, 0, v[8:9]
	v_add_co_u32 v6, s16, v6, v3
	v_add_co_ci_u32_e64 v7, null, v7, v10, s16
	v_cndmask_b32_e32 v9, 0, v12, vcc_lo
	v_cndmask_b32_e32 v8, 0, v11, vcc_lo
	ds_write_b64 v0, v[6:7]
	ds_write_b64 v0, v[8:9]
.LBB6_17525:                            ;   in Loop: Header=BB6_17523 Depth=2
	s_or_b32 exec_lo, exec_lo, s17
	v_and_b32_e32 v6, 4, v100
	s_mov_b32 s17, exec_lo
	v_cmpx_ne_u32_e32 0, v6
	s_cbranch_execz .LBB6_17547
; %bb.17526:                            ;   in Loop: Header=BB6_17523 Depth=2
	v_add_co_u32 v8, vcc_lo, v64, 2
	v_add_co_ci_u32_e64 v9, null, 0, v65, vcc_lo
	s_mov_b32 s23, exec_lo
	s_waitcnt vmcnt(0) lgkmcnt(1)
	v_cmpx_lt_u64_e64 v[48:49], v[8:9]
	s_cbranch_execz .LBB6_17538
; %bb.17527:                            ;   in Loop: Header=BB6_17523 Depth=2
	v_and_b32_e32 v6, 64, v100
	s_mov_b32 s61, 0
	s_mov_b32 s73, 0
                                        ; implicit-def: $sgpr62
                                        ; implicit-def: $sgpr63
                                        ; implicit-def: $sgpr72
	v_cmp_eq_u32_e32 vcc_lo, 0, v6
	s_branch .LBB6_17531
.LBB6_17528:                            ;   in Loop: Header=BB6_17531 Depth=3
	s_waitcnt vmcnt(0) lgkmcnt(0)
	v_cmp_ge_u64_e64 s16, v[48:49], v[8:9]
	s_or_b32 s76, s76, exec_lo
	s_orn2_b32 s75, s16, exec_lo
.LBB6_17529:                            ;   in Loop: Header=BB6_17531 Depth=3
	s_or_b32 exec_lo, exec_lo, s78
	s_andn2_b32 s16, s72, exec_lo
	s_and_b32 s72, s76, exec_lo
	s_andn2_b32 s63, s63, exec_lo
	s_and_b32 s75, s75, exec_lo
	s_or_b32 s72, s16, s72
	s_or_b32 s63, s63, s75
.LBB6_17530:                            ;   in Loop: Header=BB6_17531 Depth=3
	s_or_b32 exec_lo, exec_lo, s74
	s_and_b32 s16, exec_lo, s63
	s_or_b32 s61, s16, s61
	s_andn2_b32 s16, s62, exec_lo
	s_and_b32 s62, s72, exec_lo
	s_or_b32 s62, s16, s62
	s_andn2_b32 exec_lo, exec_lo, s61
	s_cbranch_execz .LBB6_17535
.LBB6_17531:                            ;   Parent Loop BB6_47 Depth=1
                                        ;     Parent Loop BB6_17523 Depth=2
                                        ; =>    This Inner Loop Header: Depth=3
	s_sleep 1
	s_waitcnt vmcnt(0) lgkmcnt(0)
	flat_load_dwordx2 v[48:49], v[32:33] glc dlc
	s_or_b32 s72, s72, exec_lo
	s_or_b32 s63, s63, exec_lo
                                        ; implicit-def: $vgpr6
	s_and_saveexec_b32 s74, vcc_lo
	s_cbranch_execz .LBB6_17530
; %bb.17532:                            ;   in Loop: Header=BB6_17531 Depth=3
	s_cmpk_lt_i32 s73, 0x270f
	s_mov_b32 s75, -1
	s_cselect_b32 s77, -1, 0
	s_cmpk_gt_i32 s73, 0x270e
	s_cbranch_scc0 .LBB6_17534
; %bb.17533:                            ;   in Loop: Header=BB6_17531 Depth=3
	s_trap 2
	ds_read_b64 v[6:7], v0
	s_andn2_b32 s73, s77, exec_lo
	s_mov_b32 s76, 0
	s_waitcnt vmcnt(0) lgkmcnt(0)
	s_waitcnt_vscnt null, 0x0
	flat_load_dword v6, v[6:7] glc dlc
	s_waitcnt vmcnt(0) lgkmcnt(0)
	buffer_gl1_inv
	buffer_gl0_inv
	v_cmp_eq_u32_e64 s16, 0, v6
	s_and_b32 s16, s16, exec_lo
	s_or_b32 s77, s73, s16
	s_mov_b32 s73, 0
	s_and_saveexec_b32 s78, s77
	s_cbranch_execz .LBB6_17529
	s_branch .LBB6_17528
.LBB6_17534:                            ;   in Loop: Header=BB6_17531 Depth=3
	s_add_i32 s73, s73, 1
	s_mov_b32 s76, -1
                                        ; implicit-def: $vgpr6
	s_and_saveexec_b32 s78, s77
	s_cbranch_execz .LBB6_17529
	s_branch .LBB6_17528
.LBB6_17535:                            ;   in Loop: Header=BB6_17523 Depth=2
	s_or_b32 exec_lo, exec_lo, s61
	s_xor_b32 s16, s62, -1
	s_and_saveexec_b32 s61, s16
	s_xor_b32 s16, exec_lo, s61
	s_cbranch_execz .LBB6_17537
; %bb.17536:                            ;   in Loop: Header=BB6_17523 Depth=2
	v_or_b32_e32 v100, 64, v100
	s_waitcnt vmcnt(0) lgkmcnt(0)
	s_waitcnt_vscnt null, 0x0
	ds_write_b32 v0, v6
	s_trap 2
.LBB6_17537:                            ;   in Loop: Header=BB6_17523 Depth=2
	s_or_b32 exec_lo, exec_lo, s16
.LBB6_17538:                            ;   in Loop: Header=BB6_17523 Depth=2
	s_or_b32 exec_lo, exec_lo, s23
	v_and_b32_e32 v6, 0x100, v100
	s_mov_b32 s16, -1
	;;#ASMSTART
	s_wakeup
	;;#ASMEND
                                        ; implicit-def: $vgpr10_vgpr11
	v_cmp_ne_u32_e32 vcc_lo, 0, v6
	v_and_b32_e32 v6, 7, v64
	s_and_saveexec_b32 s23, vcc_lo
	s_cbranch_execz .LBB6_17542
; %bb.17539:                            ;   in Loop: Header=BB6_17523 Depth=2
	v_mad_u64_u32 v[12:13], null, v6, 24, v[112:113]
	s_mov_b32 s61, exec_lo
                                        ; implicit-def: $vgpr10_vgpr11
	flat_load_dword v7, v[12:13]
	s_waitcnt vmcnt(0) lgkmcnt(0)
	v_cmp_ne_u32_e32 vcc_lo, 1, v7
	v_cmpx_eq_u32_e32 1, v7
	s_cbranch_execz .LBB6_17541
; %bb.17540:                            ;   in Loop: Header=BB6_17523 Depth=2
	flat_load_dword v10, v[12:13] offset:4 glc dlc
	s_waitcnt vmcnt(0) lgkmcnt(0)
	v_ashrrev_i32_e32 v11, 31, v10
.LBB6_17541:                            ;   in Loop: Header=BB6_17523 Depth=2
	s_or_b32 exec_lo, exec_lo, s61
	s_orn2_b32 s16, vcc_lo, exec_lo
.LBB6_17542:                            ;   in Loop: Header=BB6_17523 Depth=2
	s_or_b32 exec_lo, exec_lo, s23
	s_and_saveexec_b32 s23, s16
; %bb.17543:                            ;   in Loop: Header=BB6_17523 Depth=2
	v_mad_i64_i32 v[10:11], null, v6, v54, 0
; %bb.17544:                            ;   in Loop: Header=BB6_17523 Depth=2
	s_or_b32 exec_lo, exec_lo, s23
	v_add_co_u32 v6, vcc_lo, v34, v10
	v_and_b32_e32 v12, 0x2000, v100
	v_add_co_ci_u32_e64 v7, null, v35, v11, vcc_lo
	s_mov_b32 s16, exec_lo
	ds_write_b64 v0, v[6:7] offset:720
	v_cmpx_ne_u32_e32 0, v12
	s_cbranch_execz .LBB6_17546
; %bb.17545:                            ;   in Loop: Header=BB6_17523 Depth=2
	ds_read_b64 v[6:7], v0 offset:872
	s_waitcnt lgkmcnt(0)
	v_add_co_u32 v6, vcc_lo, v6, 1
	v_add_co_ci_u32_e64 v7, null, 0, v7, vcc_lo
	ds_write_b64 v0, v[6:7] offset:872
.LBB6_17546:                            ;   in Loop: Header=BB6_17523 Depth=2
	s_or_b32 exec_lo, exec_lo, s16
	v_mov_b32_e32 v65, v9
	v_mov_b32_e32 v64, v8
.LBB6_17547:                            ;   in Loop: Header=BB6_17523 Depth=2
	s_or_b32 exec_lo, exec_lo, s17
	s_and_saveexec_b32 s16, s6
	s_cbranch_execz .LBB6_17566
; %bb.17548:                            ;   in Loop: Header=BB6_17523 Depth=2
	s_and_saveexec_b32 s17, s29
	s_xor_b32 s17, exec_lo, s17
	s_cbranch_execz .LBB6_17563
; %bb.17549:                            ;   in Loop: Header=BB6_17523 Depth=2
	s_and_saveexec_b32 s23, s11
	s_cbranch_execz .LBB6_17562
; %bb.17550:                            ;   in Loop: Header=BB6_17523 Depth=2
	s_mov_b32 s62, exec_lo
	s_mov_b32 s61, exec_lo
	v_mbcnt_lo_u32_b32 v6, s62, 0
	s_waitcnt vmcnt(0) lgkmcnt(0)
	s_waitcnt_vscnt null, 0x0
	buffer_gl1_inv
	buffer_gl0_inv
	v_cmpx_eq_u32_e32 0, v6
	s_cbranch_execz .LBB6_17552
; %bb.17551:                            ;   in Loop: Header=BB6_17523 Depth=2
	s_bcnt1_i32_b32 s62, s62
	v_mov_b32_e32 v7, v2
	v_mov_b32_e32 v6, s62
	ds_add_u64 v0, v[6:7]
	s_trap 2
.LBB6_17552:                            ;   in Loop: Header=BB6_17523 Depth=2
	s_or_b32 exec_lo, exec_lo, s61
	s_trap 2
	ds_read_b64 v[6:7], v0
	s_waitcnt lgkmcnt(0)
	buffer_gl0_inv
	v_add_co_u32 v38, vcc_lo, v38, v103
	v_add_co_ci_u32_e64 v39, null, 0, v39, vcc_lo
	s_mov_b32 s61, exec_lo
	v_cmpx_lt_u64_e64 v[6:7], v[38:39]
	s_cbranch_execz .LBB6_17561
; %bb.17553:                            ;   in Loop: Header=BB6_17523 Depth=2
	s_mov_b32 s62, 0
	s_mov_b32 s73, 0
                                        ; implicit-def: $sgpr63
                                        ; implicit-def: $sgpr72
	s_inst_prefetch 0x1
	s_branch .LBB6_17555
	.p2align	6
.LBB6_17554:                            ;   in Loop: Header=BB6_17555 Depth=3
	s_or_b32 exec_lo, exec_lo, s75
	s_and_b32 s74, exec_lo, s76
	s_or_b32 s62, s74, s62
	s_andn2_b32 s63, s63, exec_lo
	s_and_b32 s74, s72, exec_lo
	s_or_b32 s63, s63, s74
	s_andn2_b32 exec_lo, exec_lo, s62
	s_cbranch_execz .LBB6_17559
.LBB6_17555:                            ;   Parent Loop BB6_47 Depth=1
                                        ;     Parent Loop BB6_17523 Depth=2
                                        ; =>    This Inner Loop Header: Depth=3
	s_add_i32 s73, s73, 1
	s_cmpk_lg_i32 s73, 0x2710
	s_cselect_b32 s74, -1, 0
	s_and_b32 vcc_lo, exec_lo, s74
	s_cbranch_vccz .LBB6_17557
; %bb.17556:                            ;   in Loop: Header=BB6_17555 Depth=3
	s_mov_b32 s76, -1
	s_or_b32 s72, s72, exec_lo
	s_and_saveexec_b32 s75, s74
	s_cbranch_execz .LBB6_17554
	s_branch .LBB6_17558
	.p2align	6
.LBB6_17557:                            ;   in Loop: Header=BB6_17555 Depth=3
	s_trap 2
	ds_read_b64 v[6:7], v0
	s_andn2_b32 s74, s74, exec_lo
	s_mov_b32 s73, 0
	s_waitcnt lgkmcnt(0)
	flat_load_dword v6, v[6:7] glc dlc
	s_waitcnt vmcnt(0) lgkmcnt(0)
	buffer_gl1_inv
	buffer_gl0_inv
	v_cmp_eq_u32_e32 vcc_lo, 0, v6
	s_and_b32 s75, vcc_lo, exec_lo
	s_or_b32 s74, s74, s75
	s_mov_b32 s76, -1
	s_or_b32 s72, s72, exec_lo
	s_and_saveexec_b32 s75, s74
	s_cbranch_execz .LBB6_17554
.LBB6_17558:                            ;   in Loop: Header=BB6_17555 Depth=3
	s_sleep 1
	s_trap 2
	ds_read_b64 v[6:7], v0
	s_waitcnt lgkmcnt(0)
	buffer_gl0_inv
	s_andn2_b32 s72, s72, exec_lo
	v_cmp_ge_u64_e32 vcc_lo, v[6:7], v[38:39]
	s_orn2_b32 s76, vcc_lo, exec_lo
	s_branch .LBB6_17554
.LBB6_17559:                            ;   in Loop: Header=BB6_17523 Depth=2
	s_inst_prefetch 0x2
	s_or_b32 exec_lo, exec_lo, s62
	s_and_saveexec_b32 s62, s63
	s_xor_b32 s62, exec_lo, s62
	s_cbranch_execz .LBB6_17561
; %bb.17560:                            ;   in Loop: Header=BB6_17523 Depth=2
	v_mov_b32_e32 v6, 1
	ds_write_b32 v0, v6
	s_trap 2
.LBB6_17561:                            ;   in Loop: Header=BB6_17523 Depth=2
	s_or_b32 exec_lo, exec_lo, s61
	;;#ASMSTART
	s_wakeup
	;;#ASMEND
.LBB6_17562:                            ;   in Loop: Header=BB6_17523 Depth=2
	s_or_b32 exec_lo, exec_lo, s23
.LBB6_17563:                            ;   in Loop: Header=BB6_17523 Depth=2
	s_andn2_saveexec_b32 s17, s17
	s_cbranch_execz .LBB6_17565
; %bb.17564:                            ;   in Loop: Header=BB6_17523 Depth=2
	s_waitcnt vmcnt(0) lgkmcnt(0)
	s_waitcnt_vscnt null, 0x0
	buffer_gl1_inv
	buffer_gl0_inv
	s_barrier
.LBB6_17565:                            ;   in Loop: Header=BB6_17523 Depth=2
	s_or_b32 exec_lo, exec_lo, s17
.LBB6_17566:                            ;   in Loop: Header=BB6_17523 Depth=2
	s_or_b32 exec_lo, exec_lo, s16
	s_trap 2
	ds_read_b32 v6, v0
	v_and_b32_e32 v7, 0x4000, v100
	s_xor_b32 s16, s5, -1
	v_cmp_ne_u32_e32 vcc_lo, 0, v7
	s_and_b32 s17, s16, vcc_lo
	s_and_saveexec_b32 s16, s17
	s_cbranch_execz .LBB6_17585
; %bb.17567:                            ;   in Loop: Header=BB6_17523 Depth=2
	s_and_saveexec_b32 s17, s29
	s_xor_b32 s17, exec_lo, s17
	s_cbranch_execz .LBB6_17582
; %bb.17568:                            ;   in Loop: Header=BB6_17523 Depth=2
	s_and_saveexec_b32 s23, s11
	s_cbranch_execz .LBB6_17581
; %bb.17569:                            ;   in Loop: Header=BB6_17523 Depth=2
	s_mov_b32 s62, exec_lo
	s_mov_b32 s61, exec_lo
	v_mbcnt_lo_u32_b32 v7, s62, 0
	s_waitcnt vmcnt(0) lgkmcnt(0)
	s_waitcnt_vscnt null, 0x0
	buffer_gl1_inv
	buffer_gl0_inv
	v_cmpx_eq_u32_e32 0, v7
	s_cbranch_execz .LBB6_17571
; %bb.17570:                            ;   in Loop: Header=BB6_17523 Depth=2
	s_bcnt1_i32_b32 s62, s62
	v_mov_b32_e32 v8, v2
	v_mov_b32_e32 v7, s62
	ds_add_u64 v0, v[7:8]
	s_trap 2
.LBB6_17571:                            ;   in Loop: Header=BB6_17523 Depth=2
	s_or_b32 exec_lo, exec_lo, s61
	s_trap 2
	ds_read_b64 v[7:8], v0
	s_waitcnt lgkmcnt(0)
	buffer_gl0_inv
	v_add_co_u32 v38, vcc_lo, v38, v103
	v_add_co_ci_u32_e64 v39, null, 0, v39, vcc_lo
	s_mov_b32 s61, exec_lo
	v_cmpx_lt_u64_e64 v[7:8], v[38:39]
	s_cbranch_execz .LBB6_17580
; %bb.17572:                            ;   in Loop: Header=BB6_17523 Depth=2
	s_mov_b32 s62, 0
	s_mov_b32 s73, 0
                                        ; implicit-def: $sgpr63
                                        ; implicit-def: $sgpr72
	s_inst_prefetch 0x1
	s_branch .LBB6_17574
	.p2align	6
.LBB6_17573:                            ;   in Loop: Header=BB6_17574 Depth=3
	s_or_b32 exec_lo, exec_lo, s75
	s_and_b32 s74, exec_lo, s76
	s_or_b32 s62, s74, s62
	s_andn2_b32 s63, s63, exec_lo
	s_and_b32 s74, s72, exec_lo
	s_or_b32 s63, s63, s74
	s_andn2_b32 exec_lo, exec_lo, s62
	s_cbranch_execz .LBB6_17578
.LBB6_17574:                            ;   Parent Loop BB6_47 Depth=1
                                        ;     Parent Loop BB6_17523 Depth=2
                                        ; =>    This Inner Loop Header: Depth=3
	s_add_i32 s73, s73, 1
	s_cmpk_lg_i32 s73, 0x2710
	s_cselect_b32 s74, -1, 0
	s_and_b32 vcc_lo, exec_lo, s74
	s_cbranch_vccz .LBB6_17576
; %bb.17575:                            ;   in Loop: Header=BB6_17574 Depth=3
	s_mov_b32 s76, -1
	s_or_b32 s72, s72, exec_lo
	s_and_saveexec_b32 s75, s74
	s_cbranch_execz .LBB6_17573
	s_branch .LBB6_17577
	.p2align	6
.LBB6_17576:                            ;   in Loop: Header=BB6_17574 Depth=3
	s_trap 2
	ds_read_b64 v[7:8], v0
	s_andn2_b32 s74, s74, exec_lo
	s_mov_b32 s73, 0
	s_waitcnt lgkmcnt(0)
	flat_load_dword v7, v[7:8] glc dlc
	s_waitcnt vmcnt(0) lgkmcnt(0)
	buffer_gl1_inv
	buffer_gl0_inv
	v_cmp_eq_u32_e32 vcc_lo, 0, v7
	s_and_b32 s75, vcc_lo, exec_lo
	s_or_b32 s74, s74, s75
	s_mov_b32 s76, -1
	s_or_b32 s72, s72, exec_lo
	s_and_saveexec_b32 s75, s74
	s_cbranch_execz .LBB6_17573
.LBB6_17577:                            ;   in Loop: Header=BB6_17574 Depth=3
	s_sleep 1
	s_trap 2
	ds_read_b64 v[7:8], v0
	s_waitcnt lgkmcnt(0)
	buffer_gl0_inv
	s_andn2_b32 s72, s72, exec_lo
	v_cmp_ge_u64_e32 vcc_lo, v[7:8], v[38:39]
	s_orn2_b32 s76, vcc_lo, exec_lo
	s_branch .LBB6_17573
.LBB6_17578:                            ;   in Loop: Header=BB6_17523 Depth=2
	s_inst_prefetch 0x2
	s_or_b32 exec_lo, exec_lo, s62
	s_and_saveexec_b32 s62, s63
	s_xor_b32 s62, exec_lo, s62
	s_cbranch_execz .LBB6_17580
; %bb.17579:                            ;   in Loop: Header=BB6_17523 Depth=2
	v_mov_b32_e32 v7, 1
	ds_write_b32 v0, v7
	s_trap 2
.LBB6_17580:                            ;   in Loop: Header=BB6_17523 Depth=2
	s_or_b32 exec_lo, exec_lo, s61
	;;#ASMSTART
	s_wakeup
	;;#ASMEND
.LBB6_17581:                            ;   in Loop: Header=BB6_17523 Depth=2
	s_or_b32 exec_lo, exec_lo, s23
.LBB6_17582:                            ;   in Loop: Header=BB6_17523 Depth=2
	s_andn2_saveexec_b32 s17, s17
	s_cbranch_execz .LBB6_17584
; %bb.17583:                            ;   in Loop: Header=BB6_17523 Depth=2
	s_waitcnt vmcnt(0) lgkmcnt(0)
	s_waitcnt_vscnt null, 0x0
	buffer_gl1_inv
	buffer_gl0_inv
	s_barrier
.LBB6_17584:                            ;   in Loop: Header=BB6_17523 Depth=2
	s_or_b32 exec_lo, exec_lo, s17
.LBB6_17585:                            ;   in Loop: Header=BB6_17523 Depth=2
	s_or_b32 exec_lo, exec_lo, s16
	s_trap 2
	ds_read_b64 v[8:9], v0
	v_sub_nc_u32_e32 v7, v0, v3
	v_min_i32_e32 v1, v1, v7
	s_waitcnt lgkmcnt(0)
	v_cmp_eq_u64_e32 vcc_lo, 0, v[8:9]
	s_cbranch_vccnz .LBB6_17593
; %bb.17586:                            ;   in Loop: Header=BB6_17523 Depth=2
	s_trap 2
	s_waitcnt vmcnt(3)
	ds_read_b64 v[10:11], v0
	s_waitcnt lgkmcnt(0)
	v_cmp_eq_u64_e32 vcc_lo, 0, v[10:11]
	s_cbranch_vccnz .LBB6_17593
; %bb.17587:                            ;   in Loop: Header=BB6_17523 Depth=2
	s_mov_b32 s16, -1
	s_and_saveexec_b32 s17, s13
	s_cbranch_execz .LBB6_17589
; %bb.17588:                            ;   in Loop: Header=BB6_17523 Depth=2
	ds_read_b32 v7, v0 offset:720
	s_waitcnt lgkmcnt(0)
	v_and_b32_e32 v7, 15, v7
	v_cmp_eq_u32_e32 vcc_lo, 0, v7
	s_orn2_b32 s16, vcc_lo, exec_lo
.LBB6_17589:                            ;   in Loop: Header=BB6_17523 Depth=2
	s_or_b32 exec_lo, exec_lo, s17
	s_and_saveexec_b32 s17, s12
	s_cbranch_execz .LBB6_17591
; %bb.17590:                            ;   in Loop: Header=BB6_17523 Depth=2
	ds_read_b32 v7, v0 offset:784
	s_waitcnt lgkmcnt(0)
	v_and_b32_e32 v7, 15, v7
	v_cmp_eq_u32_e32 vcc_lo, 0, v7
	s_and_b32 s23, s16, vcc_lo
	s_andn2_b32 s16, s16, exec_lo
	s_and_b32 s23, s23, exec_lo
	s_or_b32 s16, s16, s23
.LBB6_17591:                            ;   in Loop: Header=BB6_17523 Depth=2
	s_or_b32 exec_lo, exec_lo, s17
	buffer_load_dword v13, off, s[0:3], s33 offset:204 ; 4-byte Folded Reload
	v_cmp_eq_u32_e32 vcc_lo, 0, v6
	s_xor_b32 s16, s16, -1
	v_cndmask_b32_e64 v7, 0, 1, s16
	s_mov_b32 s16, -1
	v_cndmask_b32_e32 v6, 0, v1, vcc_lo
	v_cmp_ne_u32_e32 vcc_lo, 0, v7
	v_mov_b32_e32 v7, 0
	v_mov_b32_e32 v12, v6
	s_cbranch_vccz .LBB6_17598
; %bb.17592:                            ;   in Loop: Header=BB6_17523 Depth=2
	s_and_saveexec_b32 s17, s16
	s_cbranch_execnz .LBB6_17609
	s_branch .LBB6_17617
.LBB6_17593:                            ;   in Loop: Header=BB6_17523 Depth=2
	s_mov_b32 s16, 0
	s_and_saveexec_b32 s17, s6
	s_cbranch_execnz .LBB6_17618
.LBB6_17594:                            ;   in Loop: Header=BB6_17523 Depth=2
	s_or_b32 exec_lo, exec_lo, s17
	s_and_saveexec_b32 s17, s15
	s_xor_b32 s17, exec_lo, s17
	s_cbranch_execz .LBB6_17636
.LBB6_17595:                            ;   in Loop: Header=BB6_17523 Depth=2
	v_and_b32_e32 v6, 16, v100
	v_cmp_ne_u32_e32 vcc_lo, 0, v6
	s_and_b32 s23, vcc_lo, s16
	s_and_saveexec_b32 s16, s23
	s_cbranch_execz .LBB6_17597
; %bb.17596:                            ;   in Loop: Header=BB6_17523 Depth=2
	s_waitcnt vmcnt(0) lgkmcnt(0)
	s_waitcnt_vscnt null, 0x0
	buffer_gl1_inv
	buffer_gl0_inv
.LBB6_17597:                            ;   in Loop: Header=BB6_17523 Depth=2
	s_or_b32 exec_lo, exec_lo, s16
	s_andn2_saveexec_b32 s16, s17
	s_cbranch_execz .LBB6_17655
	s_branch .LBB6_17637
.LBB6_17598:                            ;   in Loop: Header=BB6_17523 Depth=2
	buffer_load_dword v12, off, s[0:3], s33 offset:332 ; 4-byte Folded Reload
	v_ashrrev_i32_e32 v7, 31, v6
	s_mov_b32 s17, exec_lo
	v_lshrrev_b32_e32 v7, 20, v7
	v_add_nc_u32_e32 v7, v6, v7
	v_ashrrev_i32_e32 v7, 12, v7
	s_waitcnt vmcnt(0)
	v_sub_nc_u32_e32 v16, v7, v12
	v_cmpx_lt_i32_e32 0, v16
	s_cbranch_execz .LBB6_17602
; %bb.17599:                            ;   in Loop: Header=BB6_17523 Depth=2
	buffer_load_dword v55, off, s[0:3], s33 offset:336 ; 4-byte Folded Reload
	v_mov_b32_e32 v13, v11
	v_mov_b32_e32 v15, v9
	;; [unrolled: 1-line block ×4, first 2 shown]
	v_lshlrev_b32_e32 v31, 12, v103
	s_mov_b32 s23, 0
.LBB6_17600:                            ;   Parent Loop BB6_47 Depth=1
                                        ;     Parent Loop BB6_17523 Depth=2
                                        ; =>    This Inner Loop Header: Depth=3
	s_waitcnt vmcnt(0)
	v_add_co_u32 v29, vcc_lo, v55, v14
	v_add_co_ci_u32_e64 v30, null, 0, v15, vcc_lo
	v_sub_nc_u32_e32 v16, v16, v103
	v_add_co_u32 v36, vcc_lo, 0x800, v29
	v_add_co_ci_u32_e64 v37, null, 0, v30, vcc_lo
	s_clause 0x3
	global_load_dwordx4 v[17:20], v[29:30], off slc
	global_load_dwordx4 v[21:24], v[29:30], off offset:512 slc
	global_load_dwordx4 v[25:28], v[29:30], off offset:1024 slc
	;; [unrolled: 1-line block ×3, first 2 shown]
	s_clause 0x3
	global_load_dwordx4 v[66:69], v[36:37], off slc
	global_load_dwordx4 v[80:83], v[36:37], off offset:512 slc
	global_load_dwordx4 v[84:87], v[36:37], off offset:1024 slc
	global_load_dwordx4 v[96:99], v[36:37], off offset:1536 slc
	v_add_co_u32 v29, vcc_lo, v55, v12
	v_add_co_ci_u32_e64 v30, null, 0, v13, vcc_lo
	v_add_co_u32 v14, vcc_lo, v14, v31
	v_add_co_ci_u32_e64 v15, null, 0, v15, vcc_lo
	v_add_co_u32 v12, vcc_lo, v12, v31
	v_add_co_ci_u32_e64 v13, null, 0, v13, vcc_lo
	v_cmp_gt_i32_e32 vcc_lo, 1, v16
	v_add_co_u32 v36, s16, 0x800, v29
	v_add_co_ci_u32_e64 v37, null, 0, v30, s16
	s_or_b32 s23, vcc_lo, s23
	s_waitcnt vmcnt(7)
	global_store_dwordx4 v[29:30], v[17:20], off glc slc
	s_waitcnt vmcnt(6)
	global_store_dwordx4 v[29:30], v[21:24], off offset:512 glc slc
	s_waitcnt vmcnt(5)
	global_store_dwordx4 v[29:30], v[25:28], off offset:1024 glc slc
	;; [unrolled: 2-line block ×3, first 2 shown]
	s_waitcnt vmcnt(3)
	global_store_dwordx4 v[36:37], v[66:69], off glc slc
	s_waitcnt vmcnt(2)
	global_store_dwordx4 v[36:37], v[80:83], off offset:512 glc slc
	s_waitcnt vmcnt(1)
	global_store_dwordx4 v[36:37], v[84:87], off offset:1024 glc slc
	;; [unrolled: 2-line block ×3, first 2 shown]
	s_andn2_b32 exec_lo, exec_lo, s23
	s_cbranch_execnz .LBB6_17600
; %bb.17601:                            ;   in Loop: Header=BB6_17523 Depth=2
	s_or_b32 exec_lo, exec_lo, s23
.LBB6_17602:                            ;   in Loop: Header=BB6_17523 Depth=2
	s_or_b32 exec_lo, exec_lo, s17
	v_lshlrev_b32_e32 v14, 12, v7
	v_mov_b32_e32 v7, 0
	s_mov_b32 s16, 0
	s_mov_b32 s23, exec_lo
                                        ; implicit-def: $vgpr12
                                        ; implicit-def: $vgpr13
	v_cmpx_ne_u32_e64 v6, v14
	s_cbranch_execz .LBB6_17608
; %bb.17603:                            ;   in Loop: Header=BB6_17523 Depth=2
	buffer_load_dword v12, off, s[0:3], s33 offset:420 ; 4-byte Folded Reload
	v_lshlrev_b32_e32 v7, 5, v16
	v_sub_nc_u32_e32 v15, v6, v14
	s_mov_b32 s61, exec_lo
	v_ashrrev_i32_e32 v13, 31, v15
	v_lshrrev_b32_e32 v13, 23, v13
	v_add_nc_u32_e32 v17, v15, v13
	v_ashrrev_i32_e32 v19, 9, v17
	s_waitcnt vmcnt(0)
	v_sub_nc_u32_e32 v7, v12, v7
	v_ashrrev_i32_e32 v12, 31, v7
	v_lshrrev_b32_e32 v12, 27, v12
	v_add_nc_u32_e32 v12, v7, v12
	v_and_b32_e32 v16, 0xffffffe0, v12
	v_ashrrev_i32_e32 v18, 5, v12
	v_sub_nc_u32_e32 v13, v7, v16
	v_and_b32_e32 v7, 0xfffffe00, v17
	v_lshlrev_b32_e32 v16, 4, v13
	v_sub_nc_u32_e32 v12, v15, v7
	v_lshl_add_u32 v17, v18, 9, v16
	v_cmp_lt_i32_e32 vcc_lo, 15, v12
	v_sub_nc_u32_e32 v16, v15, v17
	v_add_co_ci_u32_e64 v19, null, 0, v19, vcc_lo
	v_sub_nc_u32_e32 v15, v19, v18
	v_cmpx_lt_i32_e32 15, v16
	s_cbranch_execz .LBB6_17607
; %bb.17604:                            ;   in Loop: Header=BB6_17523 Depth=2
	v_add_nc_u32_e32 v17, v17, v14
	v_lshlrev_b32_e32 v25, 9, v103
	s_mov_b32 s62, 0
	v_ashrrev_i32_e32 v18, 31, v17
	.p2align	6
.LBB6_17605:                            ;   Parent Loop BB6_47 Depth=1
                                        ;     Parent Loop BB6_17523 Depth=2
                                        ; =>    This Inner Loop Header: Depth=3
	v_add_co_u32 v19, s16, v8, v17
	v_add_co_ci_u32_e64 v20, null, v9, v18, s16
	v_sub_nc_u32_e32 v16, v16, v25
	v_add_co_u32 v23, s16, v10, v17
	global_load_dwordx4 v[19:22], v[19:20], off slc
	v_add_co_ci_u32_e64 v24, null, v11, v18, s16
	v_cmp_gt_i32_e64 s16, 16, v16
	v_add_co_u32 v17, s17, v17, v25
	v_sub_nc_u32_e32 v15, v15, v103
	v_add_co_ci_u32_e64 v18, null, 0, v18, s17
	s_or_b32 s62, s16, s62
	s_waitcnt vmcnt(0)
	global_store_dwordx4 v[23:24], v[19:22], off glc slc
	s_andn2_b32 exec_lo, exec_lo, s62
	s_cbranch_execnz .LBB6_17605
; %bb.17606:                            ;   in Loop: Header=BB6_17523 Depth=2
	s_or_b32 exec_lo, exec_lo, s62
.LBB6_17607:                            ;   in Loop: Header=BB6_17523 Depth=2
	s_or_b32 exec_lo, exec_lo, s61
	v_and_b32_e32 v16, 15, v6
	v_cmp_lt_i32_e64 s16, 0, v15
	v_sub_nc_u32_e32 v17, v12, v16
	v_cndmask_b32_e64 v18, 0, v103, s16
	v_cndmask_b32_e32 v12, v12, v16, vcc_lo
	v_cndmask_b32_e32 v16, 0, v17, vcc_lo
	v_sub_nc_u32_e32 v15, v18, v15
	v_cmp_ne_u32_e32 vcc_lo, 0, v12
	v_add3_u32 v7, v7, v14, v16
	v_lshl_add_u32 v13, v15, 5, v13
	s_and_b32 s16, vcc_lo, exec_lo
.LBB6_17608:                            ;   in Loop: Header=BB6_17523 Depth=2
	s_or_b32 exec_lo, exec_lo, s23
	s_and_saveexec_b32 s17, s16
	s_cbranch_execz .LBB6_17617
.LBB6_17609:                            ;   in Loop: Header=BB6_17523 Depth=2
	s_waitcnt vmcnt(0)
	v_ashrrev_i32_e32 v14, 31, v13
	v_ashrrev_i32_e32 v15, 31, v12
	s_mov_b32 s16, exec_lo
	v_lshrrev_b32_e32 v14, 27, v14
	v_lshrrev_b32_e32 v15, 22, v15
	v_add_nc_u32_e32 v17, v13, v14
	v_add_nc_u32_e32 v15, v12, v15
	v_ashrrev_i32_e32 v14, 5, v17
	v_ashrrev_i32_e32 v16, 10, v15
	v_sub_nc_u32_e32 v15, v16, v14
	v_cmpx_lt_i32_e32 0, v15
	s_cbranch_execz .LBB6_17613
; %bb.17610:                            ;   in Loop: Header=BB6_17523 Depth=2
	v_and_b32_e32 v17, 0xffffffe0, v17
	v_lshlrev_b32_e32 v18, 10, v14
	s_mov_b32 s23, 0
	v_sub_nc_u32_e32 v17, v13, v17
	v_add3_u32 v17, v7, v17, v18
	v_ashrrev_i32_e32 v18, 31, v17
.LBB6_17611:                            ;   Parent Loop BB6_47 Depth=1
                                        ;     Parent Loop BB6_17523 Depth=2
                                        ; =>    This Inner Loop Header: Depth=3
	v_add_co_u32 v19, vcc_lo, v17, v8
	v_add_co_ci_u32_e64 v20, null, v18, v9, vcc_lo
	v_sub_nc_u32_e32 v15, v15, v103
	s_clause 0x1f
	flat_load_ubyte v21, v[19:20] slc
	flat_load_ubyte v22, v[19:20] offset:32 slc
	flat_load_ubyte v23, v[19:20] offset:64 slc
	;; [unrolled: 1-line block ×31, first 2 shown]
	v_add_co_u32 v19, vcc_lo, v17, v10
	v_add_co_ci_u32_e64 v20, null, v18, v11, vcc_lo
	v_add_co_u32 v8, vcc_lo, v8, v46
	v_add_co_ci_u32_e64 v9, null, 0, v9, vcc_lo
	;; [unrolled: 2-line block ×3, first 2 shown]
	v_cmp_gt_i32_e32 vcc_lo, 1, v15
	s_waitcnt vmcnt(31) lgkmcnt(31)
	flat_store_byte v[19:20], v21 glc slc
	s_waitcnt vmcnt(30) lgkmcnt(31)
	flat_store_byte v[19:20], v22 offset:32 glc slc
	s_waitcnt vmcnt(29) lgkmcnt(31)
	flat_store_byte v[19:20], v23 offset:64 glc slc
	;; [unrolled: 2-line block ×31, first 2 shown]
	s_or_b32 s23, vcc_lo, s23
	s_andn2_b32 exec_lo, exec_lo, s23
	s_cbranch_execnz .LBB6_17611
; %bb.17612:                            ;   in Loop: Header=BB6_17523 Depth=2
	s_or_b32 exec_lo, exec_lo, s23
	s_clause 0x6
	buffer_load_dword v8, off, s[0:3], s33 offset:224
	buffer_load_dword v9, off, s[0:3], s33 offset:228
	;; [unrolled: 1-line block ×7, first 2 shown]
	s_waitcnt vmcnt(5)
	v_mov_b32_e32 v113, v9
	v_mov_b32_e32 v112, v8
.LBB6_17613:                            ;   in Loop: Header=BB6_17523 Depth=2
	s_or_b32 exec_lo, exec_lo, s16
	v_lshlrev_b32_e32 v8, 10, v16
	v_cmp_ne_u32_e32 vcc_lo, v12, v8
	s_and_b32 exec_lo, exec_lo, vcc_lo
	s_cbranch_execz .LBB6_17617
; %bb.17614:                            ;   in Loop: Header=BB6_17523 Depth=2
	v_lshlrev_b32_e32 v9, 5, v14
	s_waitcnt vmcnt(4)
	v_lshlrev_b32_e32 v10, 5, v15
	v_sub_nc_u32_e32 v9, v13, v9
	v_sub_nc_u32_e32 v9, v9, v10
	s_waitcnt vmcnt(3)
	v_add_nc_u32_e32 v11, v8, v9
	v_sub_nc_u32_e32 v10, v12, v11
	v_cmp_lt_i32_e32 vcc_lo, 0, v10
	s_and_b32 exec_lo, exec_lo, vcc_lo
	s_cbranch_execz .LBB6_17617
; %bb.17615:                            ;   in Loop: Header=BB6_17523 Depth=2
	s_trap 2
	ds_read_b64 v[8:9], v0
	v_add_nc_u32_e32 v7, v11, v7
	s_mov_b32 s23, 0
	v_ashrrev_i32_e32 v11, 31, v7
	.p2align	6
.LBB6_17616:                            ;   Parent Loop BB6_47 Depth=1
                                        ;     Parent Loop BB6_17523 Depth=2
                                        ; =>    This Inner Loop Header: Depth=3
	s_waitcnt lgkmcnt(0)
	v_add_co_u32 v12, vcc_lo, v8, v7
	v_add_co_ci_u32_e64 v13, null, v9, v11, vcc_lo
	v_sub_nc_u32_e32 v10, v10, v114
	v_add_co_u32 v7, s16, v7, v114
	flat_load_ubyte v14, v[12:13] slc
	v_add_co_ci_u32_e64 v11, null, 0, v11, s16
	v_cmp_gt_i32_e32 vcc_lo, 1, v10
	s_or_b32 s23, vcc_lo, s23
	s_waitcnt vmcnt(0) lgkmcnt(0)
	flat_store_byte v[12:13], v14 glc slc
	s_andn2_b32 exec_lo, exec_lo, s23
	s_cbranch_execnz .LBB6_17616
.LBB6_17617:                            ;   in Loop: Header=BB6_17523 Depth=2
	s_or_b32 exec_lo, exec_lo, s17
	v_cmp_lt_i32_e64 s16, 0, v6
	s_and_saveexec_b32 s17, s6
	s_cbranch_execz .LBB6_17594
.LBB6_17618:                            ;   in Loop: Header=BB6_17523 Depth=2
	s_and_saveexec_b32 s23, s29
	s_xor_b32 s23, exec_lo, s23
	s_cbranch_execz .LBB6_17633
; %bb.17619:                            ;   in Loop: Header=BB6_17523 Depth=2
	s_and_saveexec_b32 s61, s11
	s_cbranch_execz .LBB6_17632
; %bb.17620:                            ;   in Loop: Header=BB6_17523 Depth=2
	s_mov_b32 s63, exec_lo
	s_mov_b32 s62, exec_lo
	v_mbcnt_lo_u32_b32 v6, s63, 0
	s_waitcnt vmcnt(0) lgkmcnt(0)
	s_waitcnt_vscnt null, 0x0
	buffer_gl1_inv
	buffer_gl0_inv
	v_cmpx_eq_u32_e32 0, v6
	s_cbranch_execz .LBB6_17622
; %bb.17621:                            ;   in Loop: Header=BB6_17523 Depth=2
	s_bcnt1_i32_b32 s63, s63
	v_mov_b32_e32 v7, v2
	v_mov_b32_e32 v6, s63
	ds_add_u64 v0, v[6:7]
	s_trap 2
.LBB6_17622:                            ;   in Loop: Header=BB6_17523 Depth=2
	s_or_b32 exec_lo, exec_lo, s62
	s_trap 2
	ds_read_b64 v[6:7], v0
	s_waitcnt lgkmcnt(0)
	buffer_gl0_inv
	v_add_co_u32 v38, vcc_lo, v38, v103
	v_add_co_ci_u32_e64 v39, null, 0, v39, vcc_lo
	s_mov_b32 s62, exec_lo
	v_cmpx_lt_u64_e64 v[6:7], v[38:39]
	s_cbranch_execz .LBB6_17631
; %bb.17623:                            ;   in Loop: Header=BB6_17523 Depth=2
	s_mov_b32 s63, 0
	s_mov_b32 s74, 0
                                        ; implicit-def: $sgpr72
                                        ; implicit-def: $sgpr73
	s_inst_prefetch 0x1
	s_branch .LBB6_17625
	.p2align	6
.LBB6_17624:                            ;   in Loop: Header=BB6_17625 Depth=3
	s_or_b32 exec_lo, exec_lo, s76
	s_and_b32 s75, exec_lo, s77
	s_or_b32 s63, s75, s63
	s_andn2_b32 s72, s72, exec_lo
	s_and_b32 s75, s73, exec_lo
	s_or_b32 s72, s72, s75
	s_andn2_b32 exec_lo, exec_lo, s63
	s_cbranch_execz .LBB6_17629
.LBB6_17625:                            ;   Parent Loop BB6_47 Depth=1
                                        ;     Parent Loop BB6_17523 Depth=2
                                        ; =>    This Inner Loop Header: Depth=3
	s_add_i32 s74, s74, 1
	s_cmpk_lg_i32 s74, 0x2710
	s_cselect_b32 s75, -1, 0
	s_and_b32 vcc_lo, exec_lo, s75
	s_cbranch_vccz .LBB6_17627
; %bb.17626:                            ;   in Loop: Header=BB6_17625 Depth=3
	s_mov_b32 s77, -1
	s_or_b32 s73, s73, exec_lo
	s_and_saveexec_b32 s76, s75
	s_cbranch_execz .LBB6_17624
	s_branch .LBB6_17628
	.p2align	6
.LBB6_17627:                            ;   in Loop: Header=BB6_17625 Depth=3
	s_trap 2
	ds_read_b64 v[6:7], v0
	s_andn2_b32 s75, s75, exec_lo
	s_mov_b32 s74, 0
	s_waitcnt lgkmcnt(0)
	flat_load_dword v6, v[6:7] glc dlc
	s_waitcnt vmcnt(0) lgkmcnt(0)
	buffer_gl1_inv
	buffer_gl0_inv
	v_cmp_eq_u32_e32 vcc_lo, 0, v6
	s_and_b32 s76, vcc_lo, exec_lo
	s_or_b32 s75, s75, s76
	s_mov_b32 s77, -1
	s_or_b32 s73, s73, exec_lo
	s_and_saveexec_b32 s76, s75
	s_cbranch_execz .LBB6_17624
.LBB6_17628:                            ;   in Loop: Header=BB6_17625 Depth=3
	s_sleep 1
	s_trap 2
	ds_read_b64 v[6:7], v0
	s_waitcnt lgkmcnt(0)
	buffer_gl0_inv
	s_andn2_b32 s73, s73, exec_lo
	v_cmp_ge_u64_e32 vcc_lo, v[6:7], v[38:39]
	s_orn2_b32 s77, vcc_lo, exec_lo
	s_branch .LBB6_17624
.LBB6_17629:                            ;   in Loop: Header=BB6_17523 Depth=2
	s_inst_prefetch 0x2
	s_or_b32 exec_lo, exec_lo, s63
	s_and_saveexec_b32 s63, s72
	s_xor_b32 s63, exec_lo, s63
	s_cbranch_execz .LBB6_17631
; %bb.17630:                            ;   in Loop: Header=BB6_17523 Depth=2
	v_mov_b32_e32 v6, 1
	ds_write_b32 v0, v6
	s_trap 2
.LBB6_17631:                            ;   in Loop: Header=BB6_17523 Depth=2
	s_or_b32 exec_lo, exec_lo, s62
	;;#ASMSTART
	s_wakeup
	;;#ASMEND
.LBB6_17632:                            ;   in Loop: Header=BB6_17523 Depth=2
	s_or_b32 exec_lo, exec_lo, s61
.LBB6_17633:                            ;   in Loop: Header=BB6_17523 Depth=2
	s_andn2_saveexec_b32 s23, s23
	s_cbranch_execz .LBB6_17635
; %bb.17634:                            ;   in Loop: Header=BB6_17523 Depth=2
	s_waitcnt vmcnt(0) lgkmcnt(0)
	s_waitcnt_vscnt null, 0x0
	buffer_gl1_inv
	buffer_gl0_inv
	s_barrier
.LBB6_17635:                            ;   in Loop: Header=BB6_17523 Depth=2
	s_or_b32 exec_lo, exec_lo, s23
	s_or_b32 exec_lo, exec_lo, s17
	s_and_saveexec_b32 s17, s15
	s_xor_b32 s17, exec_lo, s17
	s_cbranch_execnz .LBB6_17595
.LBB6_17636:                            ;   in Loop: Header=BB6_17523 Depth=2
	s_andn2_saveexec_b32 s16, s17
	s_cbranch_execz .LBB6_17655
.LBB6_17637:                            ;   in Loop: Header=BB6_17523 Depth=2
	s_and_saveexec_b32 s17, s29
	s_xor_b32 s17, exec_lo, s17
	s_cbranch_execz .LBB6_17652
; %bb.17638:                            ;   in Loop: Header=BB6_17523 Depth=2
	s_and_saveexec_b32 s23, s11
	s_cbranch_execz .LBB6_17651
; %bb.17639:                            ;   in Loop: Header=BB6_17523 Depth=2
	s_mov_b32 s62, exec_lo
	s_mov_b32 s61, exec_lo
	v_mbcnt_lo_u32_b32 v6, s62, 0
	;;#ASMSTART
	s_waitcnt lgkmcnt(0) vmcnt(0)
	;;#ASMEND
	v_cmpx_eq_u32_e32 0, v6
	s_cbranch_execz .LBB6_17641
; %bb.17640:                            ;   in Loop: Header=BB6_17523 Depth=2
	s_bcnt1_i32_b32 s62, s62
	v_mov_b32_e32 v7, v2
	v_mov_b32_e32 v6, s62
	s_waitcnt vmcnt(0) lgkmcnt(0)
	s_waitcnt_vscnt null, 0x0
	ds_add_u64 v0, v[6:7]
	s_trap 2
.LBB6_17641:                            ;   in Loop: Header=BB6_17523 Depth=2
	s_or_b32 exec_lo, exec_lo, s61
	s_trap 2
	ds_read_b64 v[6:7], v0
	s_waitcnt vmcnt(0) lgkmcnt(0)
	buffer_gl0_inv
	v_add_co_u32 v38, vcc_lo, v38, v103
	v_add_co_ci_u32_e64 v39, null, 0, v39, vcc_lo
	s_mov_b32 s61, exec_lo
	v_cmpx_lt_u64_e64 v[6:7], v[38:39]
	s_cbranch_execz .LBB6_17650
; %bb.17642:                            ;   in Loop: Header=BB6_17523 Depth=2
	s_mov_b32 s62, 0
	s_mov_b32 s73, 0
                                        ; implicit-def: $sgpr63
                                        ; implicit-def: $sgpr72
	s_inst_prefetch 0x1
	s_branch .LBB6_17644
	.p2align	6
.LBB6_17643:                            ;   in Loop: Header=BB6_17644 Depth=3
	s_or_b32 exec_lo, exec_lo, s75
	s_and_b32 s74, exec_lo, s76
	s_or_b32 s62, s74, s62
	s_andn2_b32 s63, s63, exec_lo
	s_and_b32 s74, s72, exec_lo
	s_or_b32 s63, s63, s74
	s_andn2_b32 exec_lo, exec_lo, s62
	s_cbranch_execz .LBB6_17648
.LBB6_17644:                            ;   Parent Loop BB6_47 Depth=1
                                        ;     Parent Loop BB6_17523 Depth=2
                                        ; =>    This Inner Loop Header: Depth=3
	s_add_i32 s73, s73, 1
	s_cmpk_lg_i32 s73, 0x2710
	s_cselect_b32 s74, -1, 0
	s_and_b32 vcc_lo, exec_lo, s74
	s_cbranch_vccz .LBB6_17646
; %bb.17645:                            ;   in Loop: Header=BB6_17644 Depth=3
	s_mov_b32 s76, -1
	s_or_b32 s72, s72, exec_lo
	s_and_saveexec_b32 s75, s74
	s_cbranch_execz .LBB6_17643
	s_branch .LBB6_17647
	.p2align	6
.LBB6_17646:                            ;   in Loop: Header=BB6_17644 Depth=3
	s_trap 2
	ds_read_b64 v[6:7], v0
	s_andn2_b32 s74, s74, exec_lo
	s_mov_b32 s73, 0
	s_waitcnt lgkmcnt(0)
	s_waitcnt_vscnt null, 0x0
	flat_load_dword v6, v[6:7] glc dlc
	s_waitcnt vmcnt(0) lgkmcnt(0)
	buffer_gl1_inv
	buffer_gl0_inv
	v_cmp_eq_u32_e32 vcc_lo, 0, v6
	s_and_b32 s75, vcc_lo, exec_lo
	s_or_b32 s74, s74, s75
	s_mov_b32 s76, -1
	s_or_b32 s72, s72, exec_lo
	s_and_saveexec_b32 s75, s74
	s_cbranch_execz .LBB6_17643
.LBB6_17647:                            ;   in Loop: Header=BB6_17644 Depth=3
	s_sleep 1
	s_trap 2
	ds_read_b64 v[6:7], v0
	s_waitcnt lgkmcnt(0)
	buffer_gl0_inv
	s_andn2_b32 s72, s72, exec_lo
	v_cmp_ge_u64_e32 vcc_lo, v[6:7], v[38:39]
	s_orn2_b32 s76, vcc_lo, exec_lo
	s_branch .LBB6_17643
.LBB6_17648:                            ;   in Loop: Header=BB6_17523 Depth=2
	s_inst_prefetch 0x2
	s_or_b32 exec_lo, exec_lo, s62
	s_and_saveexec_b32 s62, s63
	s_xor_b32 s62, exec_lo, s62
	s_cbranch_execz .LBB6_17650
; %bb.17649:                            ;   in Loop: Header=BB6_17523 Depth=2
	v_mov_b32_e32 v6, 1
	ds_write_b32 v0, v6
	s_trap 2
.LBB6_17650:                            ;   in Loop: Header=BB6_17523 Depth=2
	s_or_b32 exec_lo, exec_lo, s61
	;;#ASMSTART
	s_wakeup
	;;#ASMEND
.LBB6_17651:                            ;   in Loop: Header=BB6_17523 Depth=2
	s_or_b32 exec_lo, exec_lo, s23
.LBB6_17652:                            ;   in Loop: Header=BB6_17523 Depth=2
	s_andn2_saveexec_b32 s17, s17
	s_cbranch_execz .LBB6_17654
; %bb.17653:                            ;   in Loop: Header=BB6_17523 Depth=2
	;;#ASMSTART
	s_waitcnt lgkmcnt(0) vmcnt(0)
	;;#ASMEND
	s_barrier
.LBB6_17654:                            ;   in Loop: Header=BB6_17523 Depth=2
	s_or_b32 exec_lo, exec_lo, s17
.LBB6_17655:                            ;   in Loop: Header=BB6_17523 Depth=2
	s_or_b32 exec_lo, exec_lo, s16
	v_and_b32_e32 v6, 32, v100
	s_mov_b32 s16, exec_lo
	v_cmpx_ne_u32_e32 0, v6
	s_cbranch_execz .LBB6_17522
; %bb.17656:                            ;   in Loop: Header=BB6_17523 Depth=2
	v_add_co_u32 v64, vcc_lo, v64, 2
	v_add_co_ci_u32_e64 v65, null, 0, v65, vcc_lo
	s_waitcnt vmcnt(0) lgkmcnt(0)
	s_waitcnt_vscnt null, 0x0
	flat_store_dwordx2 v[32:33], v[64:65]
	s_branch .LBB6_17522
.LBB6_17657:                            ;   in Loop: Header=BB6_47 Depth=1
	s_or_b32 exec_lo, exec_lo, s19
.LBB6_17658:                            ;   in Loop: Header=BB6_47 Depth=1
	s_or_b32 exec_lo, exec_lo, s18
	s_mov_b32 s17, exec_lo
	v_cmpx_gt_i32_e32 2, v6
	s_cbranch_execnz .LBB6_17659
; %bb.17829:                            ;   in Loop: Header=BB6_47 Depth=1
	s_getpc_b64 s[34:35]
.Lpost_getpc52:
	s_add_u32 s34, s34, (.LBB6_46-.Lpost_getpc52)&4294967295
	s_addc_u32 s35, s35, (.LBB6_46-.Lpost_getpc52)>>32
	s_setpc_b64 s[34:35]
.LBB6_17659:                            ;   in Loop: Header=BB6_47 Depth=1
	v_cmp_eq_u32_e64 s19, 0, v6
	s_mov_b32 s18, 0
	s_branch .LBB6_17661
.LBB6_17660:                            ;   in Loop: Header=BB6_17661 Depth=2
	s_or_b32 exec_lo, exec_lo, s16
	v_add_nc_u32_e32 v3, v1, v3
	s_mov_b32 s19, 0
	s_andn2_b32 exec_lo, exec_lo, s18
	s_cbranch_execnz .LBB6_17661
; %bb.17831:                            ;   in Loop: Header=BB6_47 Depth=1
	s_getpc_b64 s[34:35]
.Lpost_getpc53:
	s_add_u32 s34, s34, (.LBB6_45-.Lpost_getpc53)&4294967295
	s_addc_u32 s35, s35, (.LBB6_45-.Lpost_getpc53)>>32
	s_setpc_b64 s[34:35]
.LBB6_17661:                            ;   Parent Loop BB6_47 Depth=1
                                        ; =>  This Loop Header: Depth=2
                                        ;       Child Loop BB6_17667 Depth 3
                                        ;       Child Loop BB6_17691 Depth 3
	;; [unrolled: 1-line block ×3, first 2 shown]
	v_and_b32_e32 v4, 4, v100
	s_mov_b32 s21, exec_lo
	v_cmpx_ne_u32_e32 0, v4
	s_cbranch_execz .LBB6_17683
; %bb.17662:                            ;   in Loop: Header=BB6_17661 Depth=2
	v_add_co_u32 v8, vcc_lo, v64, 2
	v_add_co_ci_u32_e64 v9, null, 0, v65, vcc_lo
	s_mov_b32 s22, exec_lo
	s_waitcnt vmcnt(0) lgkmcnt(1)
	v_cmpx_lt_u64_e64 v[48:49], v[8:9]
	s_cbranch_execz .LBB6_17674
; %bb.17663:                            ;   in Loop: Header=BB6_17661 Depth=2
	v_and_b32_e32 v4, 64, v100
	s_mov_b32 s23, 0
	s_mov_b32 s72, 0
                                        ; implicit-def: $sgpr61
                                        ; implicit-def: $sgpr62
                                        ; implicit-def: $sgpr63
	v_cmp_eq_u32_e32 vcc_lo, 0, v4
	s_branch .LBB6_17667
.LBB6_17664:                            ;   in Loop: Header=BB6_17667 Depth=3
	s_waitcnt vmcnt(0) lgkmcnt(0)
	v_cmp_ge_u64_e64 s16, v[48:49], v[8:9]
	s_or_b32 s75, s75, exec_lo
	s_orn2_b32 s74, s16, exec_lo
.LBB6_17665:                            ;   in Loop: Header=BB6_17667 Depth=3
	s_or_b32 exec_lo, exec_lo, s77
	s_andn2_b32 s16, s63, exec_lo
	s_and_b32 s63, s75, exec_lo
	s_andn2_b32 s62, s62, exec_lo
	s_and_b32 s74, s74, exec_lo
	s_or_b32 s63, s16, s63
	s_or_b32 s62, s62, s74
.LBB6_17666:                            ;   in Loop: Header=BB6_17667 Depth=3
	s_or_b32 exec_lo, exec_lo, s73
	s_and_b32 s16, exec_lo, s62
	s_or_b32 s23, s16, s23
	s_andn2_b32 s16, s61, exec_lo
	s_and_b32 s61, s63, exec_lo
	s_or_b32 s61, s16, s61
	s_andn2_b32 exec_lo, exec_lo, s23
	s_cbranch_execz .LBB6_17671
.LBB6_17667:                            ;   Parent Loop BB6_47 Depth=1
                                        ;     Parent Loop BB6_17661 Depth=2
                                        ; =>    This Inner Loop Header: Depth=3
	s_sleep 1
	s_waitcnt vmcnt(0) lgkmcnt(0)
	flat_load_dwordx2 v[48:49], v[32:33] glc dlc
	s_or_b32 s63, s63, exec_lo
	s_or_b32 s62, s62, exec_lo
                                        ; implicit-def: $vgpr4
	s_and_saveexec_b32 s73, vcc_lo
	s_cbranch_execz .LBB6_17666
; %bb.17668:                            ;   in Loop: Header=BB6_17667 Depth=3
	s_cmpk_lt_i32 s72, 0x270f
	s_mov_b32 s74, -1
	s_cselect_b32 s76, -1, 0
	s_cmpk_gt_i32 s72, 0x270e
	s_cbranch_scc0 .LBB6_17670
; %bb.17669:                            ;   in Loop: Header=BB6_17667 Depth=3
	s_trap 2
	ds_read_b64 v[4:5], v0
	s_andn2_b32 s72, s76, exec_lo
	s_mov_b32 s75, 0
	s_waitcnt vmcnt(0) lgkmcnt(0)
	s_waitcnt_vscnt null, 0x0
	flat_load_dword v4, v[4:5] glc dlc
	s_waitcnt vmcnt(0) lgkmcnt(0)
	buffer_gl1_inv
	buffer_gl0_inv
	v_cmp_eq_u32_e64 s16, 0, v4
	s_and_b32 s16, s16, exec_lo
	s_or_b32 s76, s72, s16
	s_mov_b32 s72, 0
	s_and_saveexec_b32 s77, s76
	s_cbranch_execz .LBB6_17665
	s_branch .LBB6_17664
.LBB6_17670:                            ;   in Loop: Header=BB6_17667 Depth=3
	s_add_i32 s72, s72, 1
	s_mov_b32 s75, -1
                                        ; implicit-def: $vgpr4
	s_and_saveexec_b32 s77, s76
	s_cbranch_execz .LBB6_17665
	s_branch .LBB6_17664
.LBB6_17671:                            ;   in Loop: Header=BB6_17661 Depth=2
	s_or_b32 exec_lo, exec_lo, s23
	s_xor_b32 s16, s61, -1
	s_and_saveexec_b32 s23, s16
	s_xor_b32 s16, exec_lo, s23
	s_cbranch_execz .LBB6_17673
; %bb.17672:                            ;   in Loop: Header=BB6_17661 Depth=2
	v_or_b32_e32 v100, 64, v100
	s_waitcnt vmcnt(0) lgkmcnt(0)
	s_waitcnt_vscnt null, 0x0
	ds_write_b32 v0, v4
	s_trap 2
.LBB6_17673:                            ;   in Loop: Header=BB6_17661 Depth=2
	s_or_b32 exec_lo, exec_lo, s16
.LBB6_17674:                            ;   in Loop: Header=BB6_17661 Depth=2
	s_or_b32 exec_lo, exec_lo, s22
	v_and_b32_e32 v4, 0x100, v100
	s_mov_b32 s16, -1
	;;#ASMSTART
	s_wakeup
	;;#ASMEND
                                        ; implicit-def: $vgpr10_vgpr11
	v_cmp_ne_u32_e32 vcc_lo, 0, v4
	v_and_b32_e32 v4, 7, v64
	s_and_saveexec_b32 s22, vcc_lo
	s_cbranch_execz .LBB6_17678
; %bb.17675:                            ;   in Loop: Header=BB6_17661 Depth=2
	v_mad_u64_u32 v[12:13], null, v4, 24, v[112:113]
	s_mov_b32 s23, exec_lo
                                        ; implicit-def: $vgpr10_vgpr11
	flat_load_dword v5, v[12:13]
	s_waitcnt vmcnt(0) lgkmcnt(0)
	v_cmp_ne_u32_e32 vcc_lo, 1, v5
	v_cmpx_eq_u32_e32 1, v5
	s_cbranch_execz .LBB6_17677
; %bb.17676:                            ;   in Loop: Header=BB6_17661 Depth=2
	flat_load_dword v10, v[12:13] offset:4 glc dlc
	s_waitcnt vmcnt(0) lgkmcnt(0)
	v_ashrrev_i32_e32 v11, 31, v10
.LBB6_17677:                            ;   in Loop: Header=BB6_17661 Depth=2
	s_or_b32 exec_lo, exec_lo, s23
	s_orn2_b32 s16, vcc_lo, exec_lo
.LBB6_17678:                            ;   in Loop: Header=BB6_17661 Depth=2
	s_or_b32 exec_lo, exec_lo, s22
	s_and_saveexec_b32 s22, s16
; %bb.17679:                            ;   in Loop: Header=BB6_17661 Depth=2
	v_mad_i64_i32 v[10:11], null, v4, v54, 0
; %bb.17680:                            ;   in Loop: Header=BB6_17661 Depth=2
	s_or_b32 exec_lo, exec_lo, s22
	v_add_co_u32 v4, vcc_lo, v34, v10
	v_and_b32_e32 v6, 0x2000, v100
	v_add_co_ci_u32_e64 v5, null, v35, v11, vcc_lo
	s_mov_b32 s16, exec_lo
	ds_write_b64 v0, v[4:5] offset:720
	v_cmpx_ne_u32_e32 0, v6
	s_cbranch_execz .LBB6_17682
; %bb.17681:                            ;   in Loop: Header=BB6_17661 Depth=2
	ds_read_b64 v[4:5], v0 offset:872
	s_waitcnt lgkmcnt(0)
	v_add_co_u32 v4, vcc_lo, v4, 1
	v_add_co_ci_u32_e64 v5, null, 0, v5, vcc_lo
	ds_write_b64 v0, v[4:5] offset:872
.LBB6_17682:                            ;   in Loop: Header=BB6_17661 Depth=2
	s_or_b32 exec_lo, exec_lo, s16
	v_mov_b32_e32 v65, v9
	v_mov_b32_e32 v64, v8
.LBB6_17683:                            ;   in Loop: Header=BB6_17661 Depth=2
	s_or_b32 exec_lo, exec_lo, s21
	s_xor_b32 s16, s19, -1
	s_and_b32 s16, exec_lo, s16
	s_or_b32 s18, s16, s18
	s_and_saveexec_b32 s16, s6
	s_cbranch_execz .LBB6_17702
; %bb.17684:                            ;   in Loop: Header=BB6_17661 Depth=2
	s_and_saveexec_b32 s19, s29
	s_xor_b32 s19, exec_lo, s19
	s_cbranch_execz .LBB6_17699
; %bb.17685:                            ;   in Loop: Header=BB6_17661 Depth=2
	s_and_saveexec_b32 s21, s11
	s_cbranch_execz .LBB6_17698
; %bb.17686:                            ;   in Loop: Header=BB6_17661 Depth=2
	s_mov_b32 s23, exec_lo
	s_mov_b32 s22, exec_lo
	v_mbcnt_lo_u32_b32 v4, s23, 0
	s_waitcnt vmcnt(0) lgkmcnt(0)
	s_waitcnt_vscnt null, 0x0
	buffer_gl1_inv
	buffer_gl0_inv
	v_cmpx_eq_u32_e32 0, v4
	s_cbranch_execz .LBB6_17688
; %bb.17687:                            ;   in Loop: Header=BB6_17661 Depth=2
	s_bcnt1_i32_b32 s23, s23
	v_mov_b32_e32 v5, v2
	v_mov_b32_e32 v4, s23
	ds_add_u64 v0, v[4:5]
	s_trap 2
.LBB6_17688:                            ;   in Loop: Header=BB6_17661 Depth=2
	s_or_b32 exec_lo, exec_lo, s22
	s_trap 2
	ds_read_b64 v[4:5], v0
	s_waitcnt lgkmcnt(0)
	buffer_gl0_inv
	v_add_co_u32 v38, vcc_lo, v38, v103
	v_add_co_ci_u32_e64 v39, null, 0, v39, vcc_lo
	s_mov_b32 s22, exec_lo
	v_cmpx_lt_u64_e64 v[4:5], v[38:39]
	s_cbranch_execz .LBB6_17697
; %bb.17689:                            ;   in Loop: Header=BB6_17661 Depth=2
	s_mov_b32 s23, 0
	s_mov_b32 s63, 0
                                        ; implicit-def: $sgpr61
                                        ; implicit-def: $sgpr62
	s_inst_prefetch 0x1
	s_branch .LBB6_17691
	.p2align	6
.LBB6_17690:                            ;   in Loop: Header=BB6_17691 Depth=3
	s_or_b32 exec_lo, exec_lo, s73
	s_and_b32 s72, exec_lo, s74
	s_or_b32 s23, s72, s23
	s_andn2_b32 s61, s61, exec_lo
	s_and_b32 s72, s62, exec_lo
	s_or_b32 s61, s61, s72
	s_andn2_b32 exec_lo, exec_lo, s23
	s_cbranch_execz .LBB6_17695
.LBB6_17691:                            ;   Parent Loop BB6_47 Depth=1
                                        ;     Parent Loop BB6_17661 Depth=2
                                        ; =>    This Inner Loop Header: Depth=3
	s_add_i32 s63, s63, 1
	s_cmpk_lg_i32 s63, 0x2710
	s_cselect_b32 s72, -1, 0
	s_and_b32 vcc_lo, exec_lo, s72
	s_cbranch_vccz .LBB6_17693
; %bb.17692:                            ;   in Loop: Header=BB6_17691 Depth=3
	s_mov_b32 s74, -1
	s_or_b32 s62, s62, exec_lo
	s_and_saveexec_b32 s73, s72
	s_cbranch_execz .LBB6_17690
	s_branch .LBB6_17694
	.p2align	6
.LBB6_17693:                            ;   in Loop: Header=BB6_17691 Depth=3
	s_trap 2
	ds_read_b64 v[4:5], v0
	s_andn2_b32 s72, s72, exec_lo
	s_mov_b32 s63, 0
	s_waitcnt lgkmcnt(0)
	flat_load_dword v4, v[4:5] glc dlc
	s_waitcnt vmcnt(0) lgkmcnt(0)
	buffer_gl1_inv
	buffer_gl0_inv
	v_cmp_eq_u32_e32 vcc_lo, 0, v4
	s_and_b32 s73, vcc_lo, exec_lo
	s_or_b32 s72, s72, s73
	s_mov_b32 s74, -1
	s_or_b32 s62, s62, exec_lo
	s_and_saveexec_b32 s73, s72
	s_cbranch_execz .LBB6_17690
.LBB6_17694:                            ;   in Loop: Header=BB6_17691 Depth=3
	s_sleep 1
	s_trap 2
	ds_read_b64 v[4:5], v0
	s_waitcnt lgkmcnt(0)
	buffer_gl0_inv
	s_andn2_b32 s62, s62, exec_lo
	v_cmp_ge_u64_e32 vcc_lo, v[4:5], v[38:39]
	s_orn2_b32 s74, vcc_lo, exec_lo
	s_branch .LBB6_17690
.LBB6_17695:                            ;   in Loop: Header=BB6_17661 Depth=2
	s_inst_prefetch 0x2
	s_or_b32 exec_lo, exec_lo, s23
	s_and_saveexec_b32 s23, s61
	s_xor_b32 s23, exec_lo, s23
	s_cbranch_execz .LBB6_17697
; %bb.17696:                            ;   in Loop: Header=BB6_17661 Depth=2
	v_mov_b32_e32 v4, 1
	ds_write_b32 v0, v4
	s_trap 2
.LBB6_17697:                            ;   in Loop: Header=BB6_17661 Depth=2
	s_or_b32 exec_lo, exec_lo, s22
	;;#ASMSTART
	s_wakeup
	;;#ASMEND
.LBB6_17698:                            ;   in Loop: Header=BB6_17661 Depth=2
	s_or_b32 exec_lo, exec_lo, s21
.LBB6_17699:                            ;   in Loop: Header=BB6_17661 Depth=2
	s_andn2_saveexec_b32 s19, s19
	s_cbranch_execz .LBB6_17701
; %bb.17700:                            ;   in Loop: Header=BB6_17661 Depth=2
	s_waitcnt vmcnt(0) lgkmcnt(0)
	s_waitcnt_vscnt null, 0x0
	buffer_gl1_inv
	buffer_gl0_inv
	s_barrier
.LBB6_17701:                            ;   in Loop: Header=BB6_17661 Depth=2
	s_or_b32 exec_lo, exec_lo, s19
.LBB6_17702:                            ;   in Loop: Header=BB6_17661 Depth=2
	s_or_b32 exec_lo, exec_lo, s16
	v_sub_nc_u32_e32 v4, v0, v3
	v_min_i32_e32 v1, v1, v4
	s_and_saveexec_b32 s16, s15
	s_xor_b32 s19, exec_lo, s16
	s_cbranch_execz .LBB6_17706
; %bb.17703:                            ;   in Loop: Header=BB6_17661 Depth=2
	s_trap 2
	ds_read_b32 v4, v0
	v_cmp_lt_i32_e32 vcc_lo, 0, v1
	s_waitcnt lgkmcnt(0)
	v_readfirstlane_b32 s16, v4
	v_and_b32_e32 v4, 16, v100
	s_cmp_eq_u32 s16, 0
	v_cmp_ne_u32_e64 s16, 0, v4
	s_cselect_b32 s21, -1, 0
	s_and_b32 s21, vcc_lo, s21
	s_and_b32 s21, s16, s21
	s_and_saveexec_b32 s16, s21
	s_cbranch_execz .LBB6_17705
; %bb.17704:                            ;   in Loop: Header=BB6_17661 Depth=2
	s_waitcnt vmcnt(0)
	s_waitcnt_vscnt null, 0x0
	buffer_gl1_inv
	buffer_gl0_inv
.LBB6_17705:                            ;   in Loop: Header=BB6_17661 Depth=2
	s_or_b32 exec_lo, exec_lo, s16
.LBB6_17706:                            ;   in Loop: Header=BB6_17661 Depth=2
	s_andn2_saveexec_b32 s16, s19
	s_cbranch_execz .LBB6_17725
; %bb.17707:                            ;   in Loop: Header=BB6_17661 Depth=2
	s_and_saveexec_b32 s19, s29
	s_xor_b32 s19, exec_lo, s19
	s_cbranch_execz .LBB6_17722
; %bb.17708:                            ;   in Loop: Header=BB6_17661 Depth=2
	s_and_saveexec_b32 s21, s11
	s_cbranch_execz .LBB6_17721
; %bb.17709:                            ;   in Loop: Header=BB6_17661 Depth=2
	s_mov_b32 s23, exec_lo
	s_mov_b32 s22, exec_lo
	v_mbcnt_lo_u32_b32 v4, s23, 0
	;;#ASMSTART
	s_waitcnt lgkmcnt(0) vmcnt(0)
	;;#ASMEND
	v_cmpx_eq_u32_e32 0, v4
	s_cbranch_execz .LBB6_17711
; %bb.17710:                            ;   in Loop: Header=BB6_17661 Depth=2
	s_bcnt1_i32_b32 s23, s23
	v_mov_b32_e32 v5, v2
	v_mov_b32_e32 v4, s23
	s_waitcnt vmcnt(0) lgkmcnt(0)
	s_waitcnt_vscnt null, 0x0
	ds_add_u64 v0, v[4:5]
	s_trap 2
.LBB6_17711:                            ;   in Loop: Header=BB6_17661 Depth=2
	s_or_b32 exec_lo, exec_lo, s22
	s_trap 2
	ds_read_b64 v[4:5], v0
	s_waitcnt vmcnt(0) lgkmcnt(0)
	buffer_gl0_inv
	v_add_co_u32 v38, vcc_lo, v38, v103
	v_add_co_ci_u32_e64 v39, null, 0, v39, vcc_lo
	s_mov_b32 s22, exec_lo
	v_cmpx_lt_u64_e64 v[4:5], v[38:39]
	s_cbranch_execz .LBB6_17720
; %bb.17712:                            ;   in Loop: Header=BB6_17661 Depth=2
	s_mov_b32 s23, 0
	s_mov_b32 s63, 0
                                        ; implicit-def: $sgpr61
                                        ; implicit-def: $sgpr62
	s_inst_prefetch 0x1
	s_branch .LBB6_17714
	.p2align	6
.LBB6_17713:                            ;   in Loop: Header=BB6_17714 Depth=3
	s_or_b32 exec_lo, exec_lo, s73
	s_and_b32 s72, exec_lo, s74
	s_or_b32 s23, s72, s23
	s_andn2_b32 s61, s61, exec_lo
	s_and_b32 s72, s62, exec_lo
	s_or_b32 s61, s61, s72
	s_andn2_b32 exec_lo, exec_lo, s23
	s_cbranch_execz .LBB6_17718
.LBB6_17714:                            ;   Parent Loop BB6_47 Depth=1
                                        ;     Parent Loop BB6_17661 Depth=2
                                        ; =>    This Inner Loop Header: Depth=3
	s_add_i32 s63, s63, 1
	s_cmpk_lg_i32 s63, 0x2710
	s_cselect_b32 s72, -1, 0
	s_and_b32 vcc_lo, exec_lo, s72
	s_cbranch_vccz .LBB6_17716
; %bb.17715:                            ;   in Loop: Header=BB6_17714 Depth=3
	s_mov_b32 s74, -1
	s_or_b32 s62, s62, exec_lo
	s_and_saveexec_b32 s73, s72
	s_cbranch_execz .LBB6_17713
	s_branch .LBB6_17717
	.p2align	6
.LBB6_17716:                            ;   in Loop: Header=BB6_17714 Depth=3
	s_trap 2
	ds_read_b64 v[4:5], v0
	s_andn2_b32 s72, s72, exec_lo
	s_mov_b32 s63, 0
	s_waitcnt lgkmcnt(0)
	s_waitcnt_vscnt null, 0x0
	flat_load_dword v4, v[4:5] glc dlc
	s_waitcnt vmcnt(0) lgkmcnt(0)
	buffer_gl1_inv
	buffer_gl0_inv
	v_cmp_eq_u32_e32 vcc_lo, 0, v4
	s_and_b32 s73, vcc_lo, exec_lo
	s_or_b32 s72, s72, s73
	s_mov_b32 s74, -1
	s_or_b32 s62, s62, exec_lo
	s_and_saveexec_b32 s73, s72
	s_cbranch_execz .LBB6_17713
.LBB6_17717:                            ;   in Loop: Header=BB6_17714 Depth=3
	s_sleep 1
	s_trap 2
	ds_read_b64 v[4:5], v0
	s_waitcnt lgkmcnt(0)
	buffer_gl0_inv
	s_andn2_b32 s62, s62, exec_lo
	v_cmp_ge_u64_e32 vcc_lo, v[4:5], v[38:39]
	s_orn2_b32 s74, vcc_lo, exec_lo
	s_branch .LBB6_17713
.LBB6_17718:                            ;   in Loop: Header=BB6_17661 Depth=2
	s_inst_prefetch 0x2
	s_or_b32 exec_lo, exec_lo, s23
	s_and_saveexec_b32 s23, s61
	s_xor_b32 s23, exec_lo, s23
	s_cbranch_execz .LBB6_17720
; %bb.17719:                            ;   in Loop: Header=BB6_17661 Depth=2
	v_mov_b32_e32 v4, 1
	ds_write_b32 v0, v4
	s_trap 2
.LBB6_17720:                            ;   in Loop: Header=BB6_17661 Depth=2
	s_or_b32 exec_lo, exec_lo, s22
	;;#ASMSTART
	s_wakeup
	;;#ASMEND
.LBB6_17721:                            ;   in Loop: Header=BB6_17661 Depth=2
	s_or_b32 exec_lo, exec_lo, s21
.LBB6_17722:                            ;   in Loop: Header=BB6_17661 Depth=2
	s_andn2_saveexec_b32 s19, s19
	s_cbranch_execz .LBB6_17724
; %bb.17723:                            ;   in Loop: Header=BB6_17661 Depth=2
	;;#ASMSTART
	s_waitcnt lgkmcnt(0) vmcnt(0)
	;;#ASMEND
	s_barrier
.LBB6_17724:                            ;   in Loop: Header=BB6_17661 Depth=2
	s_or_b32 exec_lo, exec_lo, s19
.LBB6_17725:                            ;   in Loop: Header=BB6_17661 Depth=2
	s_or_b32 exec_lo, exec_lo, s16
	v_and_b32_e32 v4, 32, v100
	s_mov_b32 s16, exec_lo
	v_cmpx_ne_u32_e32 0, v4
	s_cbranch_execz .LBB6_17660
; %bb.17726:                            ;   in Loop: Header=BB6_17661 Depth=2
	v_add_co_u32 v64, vcc_lo, v64, 2
	v_add_co_ci_u32_e64 v65, null, 0, v65, vcc_lo
	s_waitcnt vmcnt(0) lgkmcnt(0)
	s_waitcnt_vscnt null, 0x0
	flat_store_dwordx2 v[32:33], v[64:65]
	s_branch .LBB6_17660
.LBB6_17727:
	s_or_b32 exec_lo, exec_lo, s27
	s_clause 0x4
	buffer_load_dword v19, off, s[0:3], s33 offset:512
	buffer_load_dword v31, off, s[0:3], s33 offset:516
	;; [unrolled: 1-line block ×5, first 2 shown]
.LBB6_17728:
	s_or_b32 exec_lo, exec_lo, s26
	v_and_b32_e32 v0, 0x800, v100
	s_mov_b32 s5, exec_lo
	v_cmpx_eq_u32_e32 0, v0
	s_cbranch_execz .LBB6_17761
; %bb.17729:
	v_and_b32_e32 v0, 48, v100
	s_mov_b32 s4, exec_lo
	v_cmpx_ne_u32_e32 0, v0
	s_cbranch_execz .LBB6_17731
; %bb.17730:
	s_waitcnt vmcnt(0)
	flat_store_dwordx2 v[21:22], v[64:65] offset:104
.LBB6_17731:
	s_or_b32 exec_lo, exec_lo, s4
	v_and_b32_e32 v0, 0x88, v100
	s_mov_b32 s6, exec_lo
	v_cmpx_eq_u32_e32 0x88, v0
	s_cbranch_execz .LBB6_17741
; %bb.17732:
	v_add_nc_u32_e32 v0, 6, v64
	v_and_b32_e32 v4, 64, v100
	s_mov_b32 s7, 0
	v_and_b32_e32 v0, 7, v0
	v_cmp_eq_u32_e64 s4, 0, v4
	v_mad_u64_u32 v[2:3], null, v0, 24, v[112:113]
	flat_load_dwordx2 v[0:1], v[2:3] offset:8 glc dlc
	s_waitcnt vmcnt(0) lgkmcnt(0)
	v_cmp_ne_u64_e32 vcc_lo, -1, v[0:1]
	s_and_b32 s4, vcc_lo, s4
	s_and_b32 exec_lo, exec_lo, s4
	s_cbranch_execz .LBB6_17741
; %bb.17733:
	s_mov_b32 s11, 0
                                        ; implicit-def: $sgpr4
                                        ; implicit-def: $sgpr10
	s_inst_prefetch 0x1
	s_branch .LBB6_17736
	.p2align	6
.LBB6_17734:                            ;   in Loop: Header=BB6_17736 Depth=1
	flat_load_dwordx2 v[4:5], v[2:3] offset:8 glc dlc
	s_waitcnt vmcnt(0)
	s_andn2_b32 s10, s10, exec_lo
	s_waitcnt lgkmcnt(0)
	v_cmp_eq_u64_e32 vcc_lo, -1, v[4:5]
	s_orn2_b32 s13, vcc_lo, exec_lo
.LBB6_17735:                            ;   in Loop: Header=BB6_17736 Depth=1
	s_or_b32 exec_lo, exec_lo, s14
	s_and_b32 s12, exec_lo, s13
	s_or_b32 s7, s12, s7
	s_andn2_b32 s4, s4, exec_lo
	s_and_b32 s12, s10, exec_lo
	s_or_b32 s4, s4, s12
	s_andn2_b32 exec_lo, exec_lo, s7
	s_cbranch_execz .LBB6_17739
.LBB6_17736:                            ; =>This Inner Loop Header: Depth=1
	s_cmpk_lt_i32 s11, 0x270f
	s_cselect_b32 s12, -1, 0
	s_and_b32 vcc_lo, exec_lo, s12
	s_cbranch_vccnz .LBB6_17738
; %bb.17737:                            ;   in Loop: Header=BB6_17736 Depth=1
	s_trap 2
	ds_read_b64 v[0:1], v0
	s_andn2_b32 s12, s12, exec_lo
	s_mov_b32 s11, 0
	s_waitcnt lgkmcnt(0)
	s_waitcnt_vscnt null, 0x0
	flat_load_dword v0, v[0:1] glc dlc
	s_waitcnt vmcnt(0) lgkmcnt(0)
	buffer_gl1_inv
	buffer_gl0_inv
	v_cmp_eq_u32_e32 vcc_lo, 0, v0
	s_and_b32 s13, vcc_lo, exec_lo
	s_or_b32 s12, s12, s13
	s_mov_b32 s13, -1
	s_or_b32 s10, s10, exec_lo
	s_and_saveexec_b32 s14, s12
	s_cbranch_execz .LBB6_17735
	s_branch .LBB6_17734
	.p2align	6
.LBB6_17738:                            ;   in Loop: Header=BB6_17736 Depth=1
	s_add_i32 s11, s11, 1
                                        ; implicit-def: $vgpr0
	s_mov_b32 s13, -1
	s_or_b32 s10, s10, exec_lo
	s_and_saveexec_b32 s14, s12
	s_cbranch_execz .LBB6_17735
	s_branch .LBB6_17734
.LBB6_17739:
	s_inst_prefetch 0x2
	s_or_b32 exec_lo, exec_lo, s7
	s_and_saveexec_b32 s7, s4
	s_xor_b32 s7, exec_lo, s7
	s_cbranch_execz .LBB6_17741
; %bb.17740:
	s_waitcnt_vscnt null, 0x0
	ds_write_b32 v0, v0
	s_trap 2
.LBB6_17741:
	s_or_b32 exec_lo, exec_lo, s6
	v_and_b32_e32 v0, 0x2000, v100
	s_mov_b32 s4, exec_lo
	v_cmpx_ne_u32_e32 0, v0
	s_cbranch_execz .LBB6_17743
; %bb.17742:
	s_trap 2
	ds_read_b64 v[0:1], v0
	s_clause 0x1
	buffer_load_dword v2, off, s[0:3], s33 offset:532
	buffer_load_dword v3, off, s[0:3], s33 offset:536
	s_waitcnt vmcnt(0) lgkmcnt(0)
	flat_store_dwordx2 v[2:3], v[0:1] offset:16
.LBB6_17743:
	s_or_b32 exec_lo, exec_lo, s4
	s_waitcnt vmcnt(4)
	v_cmp_ne_u32_e32 vcc_lo, 32, v19
	s_and_b32 exec_lo, exec_lo, vcc_lo
	s_cbranch_execz .LBB6_17761
; %bb.17744:
	s_waitcnt vmcnt(2)
	v_cmp_ne_u32_sdwa s4, v19, v20 src0_sel:DWORD src1_sel:WORD_0
	s_and_saveexec_b32 s6, s4
	s_xor_b32 s4, exec_lo, s6
	s_cbranch_execz .LBB6_17759
; %bb.17745:
	v_and_b32_e32 v0, 31, v31
	s_mov_b32 s6, exec_lo
	v_cmpx_eq_u32_e32 0, v0
	s_cbranch_execz .LBB6_17758
; %bb.17746:
	s_mov_b32 s10, exec_lo
	s_mov_b32 s7, exec_lo
	v_mbcnt_lo_u32_b32 v0, s10, 0
	s_waitcnt vmcnt(0) lgkmcnt(0)
	s_waitcnt_vscnt null, 0x0
	buffer_gl1_inv
	buffer_gl0_inv
	v_cmpx_eq_u32_e32 0, v0
	s_cbranch_execz .LBB6_17748
; %bb.17747:
	s_bcnt1_i32_b32 s10, s10
	v_mov_b32_e32 v1, 0
	v_mov_b32_e32 v0, s10
	ds_add_u64 v0, v[0:1]
	s_trap 2
.LBB6_17748:
	s_or_b32 exec_lo, exec_lo, s7
	s_trap 2
	ds_read_b64 v[2:3], v0
	s_waitcnt lgkmcnt(0)
	buffer_gl0_inv
	v_lshrrev_b32_e32 v0, 5, v19
	s_mov_b32 s7, exec_lo
	v_add_co_u32 v0, vcc_lo, v38, v0
	v_add_co_ci_u32_e64 v1, null, 0, v39, vcc_lo
	v_cmpx_lt_u64_e64 v[2:3], v[0:1]
	s_cbranch_execz .LBB6_17757
; %bb.17749:
	s_mov_b32 s10, 0
	s_mov_b32 s13, 0
                                        ; implicit-def: $sgpr11
                                        ; implicit-def: $sgpr12
	s_inst_prefetch 0x1
	s_branch .LBB6_17751
	.p2align	6
.LBB6_17750:                            ;   in Loop: Header=BB6_17751 Depth=1
	s_or_b32 exec_lo, exec_lo, s15
	s_and_b32 s14, exec_lo, s16
	s_or_b32 s10, s14, s10
	s_andn2_b32 s11, s11, exec_lo
	s_and_b32 s14, s12, exec_lo
	s_or_b32 s11, s11, s14
	s_andn2_b32 exec_lo, exec_lo, s10
	s_cbranch_execz .LBB6_17755
.LBB6_17751:                            ; =>This Inner Loop Header: Depth=1
	s_add_i32 s13, s13, 1
	s_cmpk_lg_i32 s13, 0x2710
	s_cselect_b32 s14, -1, 0
	s_and_b32 vcc_lo, exec_lo, s14
	s_cbranch_vccz .LBB6_17753
; %bb.17752:                            ;   in Loop: Header=BB6_17751 Depth=1
	s_mov_b32 s16, -1
	s_or_b32 s12, s12, exec_lo
	s_and_saveexec_b32 s15, s14
	s_cbranch_execz .LBB6_17750
	s_branch .LBB6_17754
.LBB6_17753:                            ;   in Loop: Header=BB6_17751 Depth=1
	s_trap 2
	ds_read_b64 v[2:3], v0
	s_andn2_b32 s14, s14, exec_lo
	s_mov_b32 s13, 0
	s_waitcnt lgkmcnt(0)
	flat_load_dword v2, v[2:3] glc dlc
	s_waitcnt vmcnt(0) lgkmcnt(0)
	buffer_gl1_inv
	buffer_gl0_inv
	v_cmp_eq_u32_e32 vcc_lo, 0, v2
	s_and_b32 s15, vcc_lo, exec_lo
	s_or_b32 s14, s14, s15
	s_mov_b32 s16, -1
	s_or_b32 s12, s12, exec_lo
	s_and_saveexec_b32 s15, s14
	s_cbranch_execz .LBB6_17750
.LBB6_17754:                            ;   in Loop: Header=BB6_17751 Depth=1
	s_sleep 1
	s_trap 2
	ds_read_b64 v[2:3], v0
	s_waitcnt lgkmcnt(0)
	buffer_gl0_inv
	s_andn2_b32 s12, s12, exec_lo
	v_cmp_ge_u64_e32 vcc_lo, v[2:3], v[0:1]
	s_orn2_b32 s16, vcc_lo, exec_lo
	s_branch .LBB6_17750
.LBB6_17755:
	s_inst_prefetch 0x2
	s_or_b32 exec_lo, exec_lo, s10
	s_and_saveexec_b32 s10, s11
	s_xor_b32 s10, exec_lo, s10
	s_cbranch_execz .LBB6_17757
; %bb.17756:
	v_mov_b32_e32 v0, 1
	ds_write_b32 v0, v0
	s_trap 2
.LBB6_17757:
	s_or_b32 exec_lo, exec_lo, s7
	;;#ASMSTART
	s_wakeup
	;;#ASMEND
.LBB6_17758:
	s_or_b32 exec_lo, exec_lo, s6
.LBB6_17759:
	s_andn2_saveexec_b32 s4, s4
	s_cbranch_execz .LBB6_17761
; %bb.17760:
	s_waitcnt vmcnt(0) lgkmcnt(0)
	s_waitcnt_vscnt null, 0x0
	buffer_gl1_inv
	buffer_gl0_inv
	s_barrier
.LBB6_17761:
	s_or_b32 exec_lo, exec_lo, s5
.LBB6_17762:
	s_andn2_saveexec_b32 s25, s24
	s_cbranch_execz .LBB6_17764
; %bb.17763:
	s_getpc_b64 s[4:5]
	s_add_u32 s4, s4, __PRETTY_FUNCTION__._ZN10PrimitivesI12rccl_bfloat813FuncPreMulSumIS0_E12FanSymmetricILi1EELi0E11ProtoSimpleILi2ELi2ELi0ELi4ELi0ELi0EELi0ELb0ELi0ELi0ELi0EEC2EiiPKiS9_PKvPvmhhhP15ncclDevWorkCollP14ncclDevWorkP2pii@rel32@lo+4
	s_addc_u32 s5, s5, __PRETTY_FUNCTION__._ZN10PrimitivesI12rccl_bfloat813FuncPreMulSumIS0_E12FanSymmetricILi1EELi0E11ProtoSimpleILi2ELi2ELi0ELi4ELi0ELi0EELi0ELb0ELi0ELi0ELi0EEC2EiiPKiS9_PKvPvmhhhP15ncclDevWorkCollP14ncclDevWorkP2pii@rel32@hi+12
	v_mov_b32_e32 v0, s4
	v_mov_b32_e32 v1, s5
	s_getpc_b64 s[6:7]
	s_add_u32 s6, s6, __assert_fail@rel32@lo+4
	s_addc_u32 s7, s7, __assert_fail@rel32@hi+12
	s_swappc_b64 s[30:31], s[6:7]
	; divergent unreachable
.LBB6_17764:
	s_or_b32 exec_lo, exec_lo, s25
	s_clause 0x2e
	buffer_load_dword v126, off, s[0:3], s33
	buffer_load_dword v125, off, s[0:3], s33 offset:4
	buffer_load_dword v124, off, s[0:3], s33 offset:8
	;; [unrolled: 1-line block ×46, first 2 shown]
	v_readlane_b32 s30, v127, 0
	v_readlane_b32 s31, v127, 1
	s_mov_b32 s32, s33
	s_or_saveexec_b32 s4, -1
	buffer_load_dword v127, off, s[0:3], s33 offset:540 ; 4-byte Folded Reload
	s_mov_b32 exec_lo, s4
	s_mov_b32 s33, s88
	s_waitcnt vmcnt(0) lgkmcnt(0)
	s_setpc_b64 s[30:31]
.Lfunc_end6:
	.size	_ZN12_GLOBAL__N_17runRingI12rccl_bfloat813FuncPreMulSumIS1_E11ProtoSimpleILi2ELi2ELi0ELi4ELi0ELi0EELi0ELi0ELi4ELi0EEEviiP15ncclDevWorkColl, .Lfunc_end6-_ZN12_GLOBAL__N_17runRingI12rccl_bfloat813FuncPreMulSumIS1_E11ProtoSimpleILi2ELi2ELi0ELi4ELi0ELi0EELi0ELi0ELi4ELi0EEEviiP15ncclDevWorkColl
                                        ; -- End function
	.set .L_ZN12_GLOBAL__N_17runRingI12rccl_bfloat813FuncPreMulSumIS1_E11ProtoSimpleILi2ELi2ELi0ELi4ELi0ELi0EELi0ELi0ELi4ELi0EEEviiP15ncclDevWorkColl.num_vgpr, max(128, .L__assert_fail.num_vgpr)
	.set .L_ZN12_GLOBAL__N_17runRingI12rccl_bfloat813FuncPreMulSumIS1_E11ProtoSimpleILi2ELi2ELi0ELi4ELi0ELi0EELi0ELi0ELi4ELi0EEEviiP15ncclDevWorkColl.num_agpr, max(0, .L__assert_fail.num_agpr)
	.set .L_ZN12_GLOBAL__N_17runRingI12rccl_bfloat813FuncPreMulSumIS1_E11ProtoSimpleILi2ELi2ELi0ELi4ELi0ELi0EELi0ELi0ELi4ELi0EEEviiP15ncclDevWorkColl.numbered_sgpr, max(89, .L__assert_fail.numbered_sgpr)
	.set .L_ZN12_GLOBAL__N_17runRingI12rccl_bfloat813FuncPreMulSumIS1_E11ProtoSimpleILi2ELi2ELi0ELi4ELi0ELi0EELi0ELi0ELi4ELi0EEEviiP15ncclDevWorkColl.num_named_barrier, max(0, .L__assert_fail.num_named_barrier)
	.set .L_ZN12_GLOBAL__N_17runRingI12rccl_bfloat813FuncPreMulSumIS1_E11ProtoSimpleILi2ELi2ELi0ELi4ELi0ELi0EELi0ELi0ELi4ELi0EEEviiP15ncclDevWorkColl.private_seg_size, 560+max(.L__assert_fail.private_seg_size)
	.set .L_ZN12_GLOBAL__N_17runRingI12rccl_bfloat813FuncPreMulSumIS1_E11ProtoSimpleILi2ELi2ELi0ELi4ELi0ELi0EELi0ELi0ELi4ELi0EEEviiP15ncclDevWorkColl.uses_vcc, or(1, .L__assert_fail.uses_vcc)
	.set .L_ZN12_GLOBAL__N_17runRingI12rccl_bfloat813FuncPreMulSumIS1_E11ProtoSimpleILi2ELi2ELi0ELi4ELi0ELi0EELi0ELi0ELi4ELi0EEEviiP15ncclDevWorkColl.uses_flat_scratch, or(1, .L__assert_fail.uses_flat_scratch)
	.set .L_ZN12_GLOBAL__N_17runRingI12rccl_bfloat813FuncPreMulSumIS1_E11ProtoSimpleILi2ELi2ELi0ELi4ELi0ELi0EELi0ELi0ELi4ELi0EEEviiP15ncclDevWorkColl.has_dyn_sized_stack, or(0, .L__assert_fail.has_dyn_sized_stack)
	.set .L_ZN12_GLOBAL__N_17runRingI12rccl_bfloat813FuncPreMulSumIS1_E11ProtoSimpleILi2ELi2ELi0ELi4ELi0ELi0EELi0ELi0ELi4ELi0EEEviiP15ncclDevWorkColl.has_recursion, or(1, .L__assert_fail.has_recursion)
	.set .L_ZN12_GLOBAL__N_17runRingI12rccl_bfloat813FuncPreMulSumIS1_E11ProtoSimpleILi2ELi2ELi0ELi4ELi0ELi0EELi0ELi0ELi4ELi0EEEviiP15ncclDevWorkColl.has_indirect_call, or(0, .L__assert_fail.has_indirect_call)
	.section	.AMDGPU.csdata,"",@progbits
; Function info:
; codeLenInByte = 654296
; TotalNumSgprs: 91
; NumVgprs: 128
; ScratchSize: 624
; MemoryBound: 1
	.text
	.p2align	2                               ; -- Begin function _Z56ncclDevFunc_AllReduce_RING_SIMPLE_PreMulSum_f8e5m2_0_0_4v
	.type	_Z56ncclDevFunc_AllReduce_RING_SIMPLE_PreMulSum_f8e5m2_0_0_4v,@function
_Z56ncclDevFunc_AllReduce_RING_SIMPLE_PreMulSum_f8e5m2_0_0_4v: ; @_Z56ncclDevFunc_AllReduce_RING_SIMPLE_PreMulSum_f8e5m2_0_0_4v
; %bb.0:
	s_waitcnt vmcnt(0) expcnt(0) lgkmcnt(0)
	s_mov_b32 s94, s33
	s_mov_b32 s33, s32
	s_or_saveexec_b32 s4, -1
	buffer_store_dword v43, off, s[0:3], s33 offset:16 ; 4-byte Folded Spill
	s_mov_b32 exec_lo, s4
	s_addk_i32 s32, 0x400
	buffer_store_dword v40, off, s[0:3], s33 offset:12 ; 4-byte Folded Spill
	buffer_store_dword v41, off, s[0:3], s33 offset:8 ; 4-byte Folded Spill
	;; [unrolled: 1-line block ×3, first 2 shown]
	buffer_store_dword v127, off, s[0:3], s33 ; 4-byte Folded Spill
	v_writelane_b32 v43, s34, 0
	v_writelane_b32 v43, s35, 1
	;; [unrolled: 1-line block ×4, first 2 shown]
	s_trap 2
	ds_read_b32 v0, v0
	v_mov_b32_e32 v40, v31
	s_mov_b32 s89, s12
	s_mov_b64 s[90:91], s[8:9]
	s_mov_b32 s4, exec_lo
	v_and_b32_e32 v41, 0x3ff, v40
	s_waitcnt lgkmcnt(0)
	v_cmpx_lt_i32_e64 v41, v0
	s_cbranch_execz .LBB7_5
; %bb.1:
	s_load_dword s5, s[90:91], 0x0
	v_mov_b32_e32 v1, 0
	v_mov_b32_e32 v3, v41
                                        ; implicit-def: $vgpr4
	s_waitcnt lgkmcnt(0)
	s_cmp_lt_u32 s89, s5
	s_cselect_b32 s5, 12, 18
	s_add_u32 s6, s90, s5
	s_addc_u32 s7, s91, 0
	s_mov_b32 s5, 0
	global_load_ushort v1, v1, s[6:7]
	s_trap 2
	ds_read_b32 v2, v0
	s_mov_b32 s6, 0
	s_waitcnt vmcnt(0) lgkmcnt(0)
	v_mul_lo_u32 v2, v2, v1
	s_branch .LBB7_3
	.p2align	6
.LBB7_2:                                ;   in Loop: Header=BB7_3 Depth=1
	s_or_b32 exec_lo, exec_lo, s7
	v_add_nc_u32_e32 v3, v3, v1
	v_add_nc_u32_e32 v4, v4, v2
	v_cmp_ge_i32_e32 vcc_lo, v3, v0
	s_or_b32 s6, vcc_lo, s6
	s_andn2_b32 exec_lo, exec_lo, s6
	s_cbranch_execz .LBB7_5
.LBB7_3:                                ; =>This Inner Loop Header: Depth=1
	ds_read_b32 v5, v4
	s_mov_b32 s7, exec_lo
	s_waitcnt lgkmcnt(0)
	v_and_b32_e32 v5, 0x1000000, v5
	v_cmpx_ne_u32_e32 0, v5
	s_cbranch_execz .LBB7_2
; %bb.4:                                ;   in Loop: Header=BB7_3 Depth=1
	ds_read_b64 v[5:6], v4 offset:104
	s_waitcnt lgkmcnt(0)
	flat_load_ubyte v5, v[5:6]
	v_mov_b32_e32 v6, s5
	s_waitcnt vmcnt(0) lgkmcnt(0)
	v_and_b32_e32 v5, 0xffff, v5
	ds_write_b64 v4, v[5:6] offset:104
	s_branch .LBB7_2
.LBB7_5:
	s_or_b32 exec_lo, exec_lo, s4
	s_waitcnt lgkmcnt(0)
	s_waitcnt_vscnt null, 0x0
	s_barrier
	buffer_gl0_inv
	s_trap 2
	ds_read_b32 v0, v0
	s_waitcnt lgkmcnt(0)
	v_cmp_gt_i32_e32 vcc_lo, 1, v0
	s_cbranch_vccnz .LBB7_13
; %bb.6:
	v_mov_b32_e32 v42, 5
	s_mov_b32 s92, 0
	s_inst_prefetch 0x1
	s_branch .LBB7_8
	.p2align	6
.LBB7_7:                                ;   in Loop: Header=BB7_8 Depth=1
	s_or_b32 exec_lo, exec_lo, s93
	s_trap 2
	ds_read_b32 v0, v0
	s_add_i32 s92, s92, 1
	s_waitcnt lgkmcnt(0)
	v_cmp_lt_i32_e32 vcc_lo, s92, v0
	s_cbranch_vccz .LBB7_13
.LBB7_8:                                ; =>This Inner Loop Header: Depth=1
	s_trap 2
	ds_read_b32 v0, v0
	s_cmp_eq_u32 s92, 0
	s_cbranch_scc1 .LBB7_11
; %bb.9:                                ;   in Loop: Header=BB7_8 Depth=1
	s_trap 2
	s_waitcnt lgkmcnt(0)
	ds_read_b32 v1, v0
	s_waitcnt lgkmcnt(0)
	v_xor_b32_e32 v1, v1, v0
	v_and_b32_e32 v1, 0xff0000, v1
	v_cmp_eq_u32_e32 vcc_lo, 0, v1
	s_cbranch_vccnz .LBB7_11
; %bb.10:                               ;   in Loop: Header=BB7_8 Depth=1
	s_barrier
	buffer_gl0_inv
	ds_read_b32 v0, v0
.LBB7_11:                               ;   in Loop: Header=BB7_8 Depth=1
	s_waitcnt lgkmcnt(0)
	v_lshlrev_b32_sdwa v1, v42, v0 dst_sel:DWORD dst_unused:UNUSED_PAD src0_sel:DWORD src1_sel:BYTE_2
	s_mov_b32 s93, exec_lo
	v_cmpx_lt_u32_e64 v41, v1
	s_cbranch_execz .LBB7_7
; %bb.12:                               ;   in Loop: Header=BB7_8 Depth=1
	s_mov_b64 s[4:5], src_shared_base
	v_mov_b32_e32 v31, v40
	v_mov_b32_e32 v0, v41
	;; [unrolled: 1-line block ×3, first 2 shown]
	s_getpc_b64 s[6:7]
	s_add_u32 s6, s6, _ZN12_GLOBAL__N_17runRingI12rccl_bfloat813FuncPreMulSumIS1_E11ProtoSimpleILi2ELi2ELi0ELi4ELi0ELi0EELi0ELi0ELi4ELi0EEEviiP15ncclDevWorkColl@rel32@lo+4
	s_addc_u32 s7, s7, _ZN12_GLOBAL__N_17runRingI12rccl_bfloat813FuncPreMulSumIS1_E11ProtoSimpleILi2ELi2ELi0ELi4ELi0ELi0EELi0ELi0ELi4ELi0EEEviiP15ncclDevWorkColl@rel32@hi+12
	s_mov_b64 s[8:9], s[90:91]
	s_mov_b32 s12, s89
	s_swappc_b64 s[30:31], s[6:7]
	s_branch .LBB7_7
.LBB7_13:
	s_inst_prefetch 0x2
	s_clause 0x3
	buffer_load_dword v127, off, s[0:3], s33
	buffer_load_dword v42, off, s[0:3], s33 offset:4
	buffer_load_dword v41, off, s[0:3], s33 offset:8
	;; [unrolled: 1-line block ×3, first 2 shown]
	v_readlane_b32 s30, v43, 2
	v_readlane_b32 s31, v43, 3
	;; [unrolled: 1-line block ×4, first 2 shown]
	s_mov_b32 s32, s33
	s_or_saveexec_b32 s4, -1
	buffer_load_dword v43, off, s[0:3], s33 offset:16 ; 4-byte Folded Reload
	s_mov_b32 exec_lo, s4
	s_mov_b32 s33, s94
	s_waitcnt vmcnt(0)
	s_setpc_b64 s[30:31]
.Lfunc_end7:
	.size	_Z56ncclDevFunc_AllReduce_RING_SIMPLE_PreMulSum_f8e5m2_0_0_4v, .Lfunc_end7-_Z56ncclDevFunc_AllReduce_RING_SIMPLE_PreMulSum_f8e5m2_0_0_4v
                                        ; -- End function
	.set .L_Z56ncclDevFunc_AllReduce_RING_SIMPLE_PreMulSum_f8e5m2_0_0_4v.num_vgpr, max(128, .L_ZN12_GLOBAL__N_17runRingI12rccl_bfloat813FuncPreMulSumIS1_E11ProtoSimpleILi2ELi2ELi0ELi4ELi0ELi0EELi0ELi0ELi4ELi0EEEviiP15ncclDevWorkColl.num_vgpr)
	.set .L_Z56ncclDevFunc_AllReduce_RING_SIMPLE_PreMulSum_f8e5m2_0_0_4v.num_agpr, max(0, .L_ZN12_GLOBAL__N_17runRingI12rccl_bfloat813FuncPreMulSumIS1_E11ProtoSimpleILi2ELi2ELi0ELi4ELi0ELi0EELi0ELi0ELi4ELi0EEEviiP15ncclDevWorkColl.num_agpr)
	.set .L_Z56ncclDevFunc_AllReduce_RING_SIMPLE_PreMulSum_f8e5m2_0_0_4v.numbered_sgpr, max(95, .L_ZN12_GLOBAL__N_17runRingI12rccl_bfloat813FuncPreMulSumIS1_E11ProtoSimpleILi2ELi2ELi0ELi4ELi0ELi0EELi0ELi0ELi4ELi0EEEviiP15ncclDevWorkColl.numbered_sgpr)
	.set .L_Z56ncclDevFunc_AllReduce_RING_SIMPLE_PreMulSum_f8e5m2_0_0_4v.num_named_barrier, max(0, .L_ZN12_GLOBAL__N_17runRingI12rccl_bfloat813FuncPreMulSumIS1_E11ProtoSimpleILi2ELi2ELi0ELi4ELi0ELi0EELi0ELi0ELi4ELi0EEEviiP15ncclDevWorkColl.num_named_barrier)
	.set .L_Z56ncclDevFunc_AllReduce_RING_SIMPLE_PreMulSum_f8e5m2_0_0_4v.private_seg_size, 32+max(.L_ZN12_GLOBAL__N_17runRingI12rccl_bfloat813FuncPreMulSumIS1_E11ProtoSimpleILi2ELi2ELi0ELi4ELi0ELi0EELi0ELi0ELi4ELi0EEEviiP15ncclDevWorkColl.private_seg_size)
	.set .L_Z56ncclDevFunc_AllReduce_RING_SIMPLE_PreMulSum_f8e5m2_0_0_4v.uses_vcc, or(1, .L_ZN12_GLOBAL__N_17runRingI12rccl_bfloat813FuncPreMulSumIS1_E11ProtoSimpleILi2ELi2ELi0ELi4ELi0ELi0EELi0ELi0ELi4ELi0EEEviiP15ncclDevWorkColl.uses_vcc)
	.set .L_Z56ncclDevFunc_AllReduce_RING_SIMPLE_PreMulSum_f8e5m2_0_0_4v.uses_flat_scratch, or(0, .L_ZN12_GLOBAL__N_17runRingI12rccl_bfloat813FuncPreMulSumIS1_E11ProtoSimpleILi2ELi2ELi0ELi4ELi0ELi0EELi0ELi0ELi4ELi0EEEviiP15ncclDevWorkColl.uses_flat_scratch)
	.set .L_Z56ncclDevFunc_AllReduce_RING_SIMPLE_PreMulSum_f8e5m2_0_0_4v.has_dyn_sized_stack, or(0, .L_ZN12_GLOBAL__N_17runRingI12rccl_bfloat813FuncPreMulSumIS1_E11ProtoSimpleILi2ELi2ELi0ELi4ELi0ELi0EELi0ELi0ELi4ELi0EEEviiP15ncclDevWorkColl.has_dyn_sized_stack)
	.set .L_Z56ncclDevFunc_AllReduce_RING_SIMPLE_PreMulSum_f8e5m2_0_0_4v.has_recursion, or(1, .L_ZN12_GLOBAL__N_17runRingI12rccl_bfloat813FuncPreMulSumIS1_E11ProtoSimpleILi2ELi2ELi0ELi4ELi0ELi0EELi0ELi0ELi4ELi0EEEviiP15ncclDevWorkColl.has_recursion)
	.set .L_Z56ncclDevFunc_AllReduce_RING_SIMPLE_PreMulSum_f8e5m2_0_0_4v.has_indirect_call, or(0, .L_ZN12_GLOBAL__N_17runRingI12rccl_bfloat813FuncPreMulSumIS1_E11ProtoSimpleILi2ELi2ELi0ELi4ELi0ELi0EELi0ELi0ELi4ELi0EEEviiP15ncclDevWorkColl.has_indirect_call)
	.section	.AMDGPU.csdata,"",@progbits
; Function info:
; codeLenInByte = 744
; TotalNumSgprs: 97
; NumVgprs: 128
; ScratchSize: 656
; MemoryBound: 0
	.text
	.p2alignl 6, 3214868480
	.fill 48, 4, 3214868480
	.section	.AMDGPU.gpr_maximums,"",@progbits
	.set amdgpu.max_num_vgpr, 128
	.set amdgpu.max_num_agpr, 0
	.set amdgpu.max_num_sgpr, 95
	.text
	.type	__const.__assert_fail.fmt,@object ; @__const.__assert_fail.fmt
	.section	.rodata.str1.16,"aMS",@progbits,1
	.p2align	4, 0x0
__const.__assert_fail.fmt:
	.asciz	"%s:%u: %s: Device-side assertion `%s' failed.\n"
	.size	__const.__assert_fail.fmt, 47

	.type	.str.3,@object                  ; @.str.3
	.section	.rodata.str1.1,"aMS",@progbits,1
.str.3:
	.asciz	"2*(nrecv+nsend) <= nthreads"
	.size	.str.3, 28

	.type	.str.4,@object                  ; @.str.4
.str.4:
	.asciz	"/root/src/amdgpu-assembly/repos/ROCm__rccl/hipify/src/device/prims_simple.h"
	.size	.str.4, 76

	.type	__PRETTY_FUNCTION__._ZN10PrimitivesI12rccl_bfloat813FuncPreMulSumIS0_E12FanSymmetricILi1EELi0E11ProtoSimpleILi2ELi2ELi0ELi1ELi0ELi0EELi0ELb0ELi0ELi0ELi0EEC2EiiPKiS9_PKvPvmhhhP15ncclDevWorkCollP14ncclDevWorkP2pii,@object ; @__PRETTY_FUNCTION__._ZN10PrimitivesI12rccl_bfloat813FuncPreMulSumIS0_E12FanSymmetricILi1EELi0E11ProtoSimpleILi2ELi2ELi0ELi1ELi0ELi0EELi0ELb0ELi0ELi0ELi0EEC2EiiPKiS9_PKvPvmhhhP15ncclDevWorkCollP14ncclDevWorkP2pii
__PRETTY_FUNCTION__._ZN10PrimitivesI12rccl_bfloat813FuncPreMulSumIS0_E12FanSymmetricILi1EELi0E11ProtoSimpleILi2ELi2ELi0ELi1ELi0ELi0EELi0ELb0ELi0ELi0ELi0EEC2EiiPKiS9_PKvPvmhhhP15ncclDevWorkCollP14ncclDevWorkP2pii:
	.asciz	"Primitives<rccl_bfloat8, FuncPreMulSum<rccl_bfloat8>, FanSymmetric<1>, 0, ProtoSimple<2, 2, 0, 1>, 0>::Primitives(int, int, const int *, const int *, const void *, void *, uint64_t, uint8_t, uint8_t, uint8_t, struct ncclDevWorkColl *, struct ncclDevWorkP2p *, int, int) [T = rccl_bfloat8, RedOp = FuncPreMulSum<rccl_bfloat8>, Fan = FanSymmetric<1>, Direct = 0, Proto = ProtoSimple<2, 2, 0, 1>, P2p = 0, isNetOffload = false, Metadata = 0, Pipeline = 0, useAcc = 0]"
	.size	__PRETTY_FUNCTION__._ZN10PrimitivesI12rccl_bfloat813FuncPreMulSumIS0_E12FanSymmetricILi1EELi0E11ProtoSimpleILi2ELi2ELi0ELi1ELi0ELi0EELi0ELb0ELi0ELi0ELi0EEC2EiiPKiS9_PKvPvmhhhP15ncclDevWorkCollP14ncclDevWorkP2pii, 465

	.type	__PRETTY_FUNCTION__._ZN10PrimitivesI12rccl_bfloat813FuncPreMulSumIS0_E12FanSymmetricILi1EELi0E11ProtoSimpleILi2ELi2ELi0ELi2ELi0ELi0EELi0ELb0ELi0ELi0ELi0EEC2EiiPKiS9_PKvPvmhhhP15ncclDevWorkCollP14ncclDevWorkP2pii,@object ; @__PRETTY_FUNCTION__._ZN10PrimitivesI12rccl_bfloat813FuncPreMulSumIS0_E12FanSymmetricILi1EELi0E11ProtoSimpleILi2ELi2ELi0ELi2ELi0ELi0EELi0ELb0ELi0ELi0ELi0EEC2EiiPKiS9_PKvPvmhhhP15ncclDevWorkCollP14ncclDevWorkP2pii
__PRETTY_FUNCTION__._ZN10PrimitivesI12rccl_bfloat813FuncPreMulSumIS0_E12FanSymmetricILi1EELi0E11ProtoSimpleILi2ELi2ELi0ELi2ELi0ELi0EELi0ELb0ELi0ELi0ELi0EEC2EiiPKiS9_PKvPvmhhhP15ncclDevWorkCollP14ncclDevWorkP2pii:
	.asciz	"Primitives<rccl_bfloat8, FuncPreMulSum<rccl_bfloat8>, FanSymmetric<1>, 0, ProtoSimple<2, 2, 0, 2>, 0>::Primitives(int, int, const int *, const int *, const void *, void *, uint64_t, uint8_t, uint8_t, uint8_t, struct ncclDevWorkColl *, struct ncclDevWorkP2p *, int, int) [T = rccl_bfloat8, RedOp = FuncPreMulSum<rccl_bfloat8>, Fan = FanSymmetric<1>, Direct = 0, Proto = ProtoSimple<2, 2, 0, 2>, P2p = 0, isNetOffload = false, Metadata = 0, Pipeline = 0, useAcc = 0]"
	.size	__PRETTY_FUNCTION__._ZN10PrimitivesI12rccl_bfloat813FuncPreMulSumIS0_E12FanSymmetricILi1EELi0E11ProtoSimpleILi2ELi2ELi0ELi2ELi0ELi0EELi0ELb0ELi0ELi0ELi0EEC2EiiPKiS9_PKvPvmhhhP15ncclDevWorkCollP14ncclDevWorkP2pii, 465

	.type	__PRETTY_FUNCTION__._ZN10PrimitivesI12rccl_bfloat813FuncPreMulSumIS0_E12FanSymmetricILi1EELi0E11ProtoSimpleILi2ELi2ELi0ELi4ELi0ELi0EELi0ELb0ELi0ELi0ELi0EEC2EiiPKiS9_PKvPvmhhhP15ncclDevWorkCollP14ncclDevWorkP2pii,@object ; @__PRETTY_FUNCTION__._ZN10PrimitivesI12rccl_bfloat813FuncPreMulSumIS0_E12FanSymmetricILi1EELi0E11ProtoSimpleILi2ELi2ELi0ELi4ELi0ELi0EELi0ELb0ELi0ELi0ELi0EEC2EiiPKiS9_PKvPvmhhhP15ncclDevWorkCollP14ncclDevWorkP2pii
__PRETTY_FUNCTION__._ZN10PrimitivesI12rccl_bfloat813FuncPreMulSumIS0_E12FanSymmetricILi1EELi0E11ProtoSimpleILi2ELi2ELi0ELi4ELi0ELi0EELi0ELb0ELi0ELi0ELi0EEC2EiiPKiS9_PKvPvmhhhP15ncclDevWorkCollP14ncclDevWorkP2pii:
	.asciz	"Primitives<rccl_bfloat8, FuncPreMulSum<rccl_bfloat8>, FanSymmetric<1>, 0, ProtoSimple<2, 2, 0, 4>, 0>::Primitives(int, int, const int *, const int *, const void *, void *, uint64_t, uint8_t, uint8_t, uint8_t, struct ncclDevWorkColl *, struct ncclDevWorkP2p *, int, int) [T = rccl_bfloat8, RedOp = FuncPreMulSum<rccl_bfloat8>, Fan = FanSymmetric<1>, Direct = 0, Proto = ProtoSimple<2, 2, 0, 4>, P2p = 0, isNetOffload = false, Metadata = 0, Pipeline = 0, useAcc = 0]"
	.size	__PRETTY_FUNCTION__._ZN10PrimitivesI12rccl_bfloat813FuncPreMulSumIS0_E12FanSymmetricILi1EELi0E11ProtoSimpleILi2ELi2ELi0ELi4ELi0ELi0EELi0ELb0ELi0ELi0ELi0EEC2EiiPKiS9_PKvPvmhhhP15ncclDevWorkCollP14ncclDevWorkP2pii, 465

	.type	__hip_cuid_a0f61f8e01500d03,@object ; @__hip_cuid_a0f61f8e01500d03
	.section	.bss,"aw",@nobits
	.globl	__hip_cuid_a0f61f8e01500d03
__hip_cuid_a0f61f8e01500d03:
	.byte	0                               ; 0x0
	.size	__hip_cuid_a0f61f8e01500d03, 1

	.ident	"AMD clang version 22.0.0git (https://github.com/RadeonOpenCompute/llvm-project roc-7.2.4 26084 f58b06dce1f9c15707c5f808fd002e18c2accf7e)"
	.section	".note.GNU-stack","",@progbits
	.addrsig
	.addrsig_sym _Z56ncclDevFunc_AllReduce_RING_SIMPLE_PreMulSum_f8e5m2_0_0_1v
	.addrsig_sym _Z56ncclDevFunc_AllReduce_RING_SIMPLE_PreMulSum_f8e5m2_0_0_2v
	.addrsig_sym _Z56ncclDevFunc_AllReduce_RING_SIMPLE_PreMulSum_f8e5m2_0_0_4v
	.addrsig_sym ncclShmem
	.addrsig_sym __hip_cuid_a0f61f8e01500d03
	.amdgpu_metadata
---
amdhsa.kernels:  []
amdhsa.target:   amdgcn-amd-amdhsa--gfx1030
amdhsa.version:
  - 1
  - 2
...

	.end_amdgpu_metadata
